;; amdgpu-corpus repo=ROCm/rocSOLVER kind=compiled arch=gfx1100 opt=O3
	.text
	.amdgcn_target "amdgcn-amd-amdhsa--gfx1100"
	.amdhsa_code_object_version 6
	.section	.text._ZN9rocsolver6v33100L18trti2_kernel_smallILi1EdPdEEv13rocblas_fill_17rocblas_diagonal_T1_iil,"axG",@progbits,_ZN9rocsolver6v33100L18trti2_kernel_smallILi1EdPdEEv13rocblas_fill_17rocblas_diagonal_T1_iil,comdat
	.globl	_ZN9rocsolver6v33100L18trti2_kernel_smallILi1EdPdEEv13rocblas_fill_17rocblas_diagonal_T1_iil ; -- Begin function _ZN9rocsolver6v33100L18trti2_kernel_smallILi1EdPdEEv13rocblas_fill_17rocblas_diagonal_T1_iil
	.p2align	8
	.type	_ZN9rocsolver6v33100L18trti2_kernel_smallILi1EdPdEEv13rocblas_fill_17rocblas_diagonal_T1_iil,@function
_ZN9rocsolver6v33100L18trti2_kernel_smallILi1EdPdEEv13rocblas_fill_17rocblas_diagonal_T1_iil: ; @_ZN9rocsolver6v33100L18trti2_kernel_smallILi1EdPdEEv13rocblas_fill_17rocblas_diagonal_T1_iil
; %bb.0:
	s_mov_b32 s2, exec_lo
	v_cmpx_eq_u32_e32 0, v0
	s_cbranch_execz .LBB0_2
; %bb.1:
	s_clause 0x2
	s_load_b64 s[2:3], s[0:1], 0x18
	s_load_b32 s4, s[0:1], 0x10
	s_load_b64 s[6:7], s[0:1], 0x8
	s_ashr_i32 s5, s15, 31
	s_load_b32 s0, s[0:1], 0x4
	s_waitcnt lgkmcnt(0)
	s_mul_i32 s3, s15, s3
	s_mul_hi_u32 s8, s15, s2
	s_mul_i32 s5, s5, s2
	s_add_i32 s3, s8, s3
	s_mul_i32 s2, s15, s2
	s_add_i32 s3, s3, s5
	s_ashr_i32 s5, s4, 31
	s_lshl_b64 s[2:3], s[2:3], 3
	s_delay_alu instid0(SALU_CYCLE_1) | instskip(SKIP_2) | instid1(SALU_CYCLE_1)
	s_add_u32 s6, s6, s2
	s_addc_u32 s7, s7, s3
	s_lshl_b64 s[2:3], s[4:5], 3
	s_add_u32 s2, s6, s2
	s_addc_u32 s3, s7, s3
	s_cmpk_eq_i32 s0, 0x84
	s_load_b64 s[4:5], s[2:3], 0x0
	s_cselect_b32 s0, -1, 0
	s_waitcnt lgkmcnt(0)
	v_div_scale_f64 v[0:1], null, s[4:5], s[4:5], 1.0
	v_div_scale_f64 v[6:7], vcc_lo, 1.0, s[4:5], 1.0
	s_delay_alu instid0(VALU_DEP_2) | instskip(SKIP_2) | instid1(VALU_DEP_1)
	v_rcp_f64_e32 v[2:3], v[0:1]
	s_waitcnt_depctr 0xfff
	v_fma_f64 v[4:5], -v[0:1], v[2:3], 1.0
	v_fma_f64 v[2:3], v[2:3], v[4:5], v[2:3]
	s_delay_alu instid0(VALU_DEP_1) | instskip(NEXT) | instid1(VALU_DEP_1)
	v_fma_f64 v[4:5], -v[0:1], v[2:3], 1.0
	v_fma_f64 v[2:3], v[2:3], v[4:5], v[2:3]
	s_delay_alu instid0(VALU_DEP_1) | instskip(NEXT) | instid1(VALU_DEP_1)
	v_mul_f64 v[4:5], v[6:7], v[2:3]
	v_fma_f64 v[0:1], -v[0:1], v[4:5], v[6:7]
	s_delay_alu instid0(VALU_DEP_1) | instskip(SKIP_1) | instid1(VALU_DEP_2)
	v_div_fmas_f64 v[0:1], v[0:1], v[2:3], v[4:5]
	v_mov_b32_e32 v2, 0
	v_div_fixup_f64 v[0:1], v[0:1], s[4:5], 1.0
	s_delay_alu instid0(VALU_DEP_1) | instskip(NEXT) | instid1(VALU_DEP_2)
	v_cndmask_b32_e64 v1, v1, s5, s0
	v_cndmask_b32_e64 v0, v0, s4, s0
	global_store_b64 v2, v[0:1], s[2:3]
.LBB0_2:
	s_nop 0
	s_sendmsg sendmsg(MSG_DEALLOC_VGPRS)
	s_endpgm
	.section	.rodata,"a",@progbits
	.p2align	6, 0x0
	.amdhsa_kernel _ZN9rocsolver6v33100L18trti2_kernel_smallILi1EdPdEEv13rocblas_fill_17rocblas_diagonal_T1_iil
		.amdhsa_group_segment_fixed_size 0
		.amdhsa_private_segment_fixed_size 0
		.amdhsa_kernarg_size 32
		.amdhsa_user_sgpr_count 15
		.amdhsa_user_sgpr_dispatch_ptr 0
		.amdhsa_user_sgpr_queue_ptr 0
		.amdhsa_user_sgpr_kernarg_segment_ptr 1
		.amdhsa_user_sgpr_dispatch_id 0
		.amdhsa_user_sgpr_private_segment_size 0
		.amdhsa_wavefront_size32 1
		.amdhsa_uses_dynamic_stack 0
		.amdhsa_enable_private_segment 0
		.amdhsa_system_sgpr_workgroup_id_x 1
		.amdhsa_system_sgpr_workgroup_id_y 0
		.amdhsa_system_sgpr_workgroup_id_z 0
		.amdhsa_system_sgpr_workgroup_info 0
		.amdhsa_system_vgpr_workitem_id 0
		.amdhsa_next_free_vgpr 8
		.amdhsa_next_free_sgpr 16
		.amdhsa_reserve_vcc 1
		.amdhsa_float_round_mode_32 0
		.amdhsa_float_round_mode_16_64 0
		.amdhsa_float_denorm_mode_32 3
		.amdhsa_float_denorm_mode_16_64 3
		.amdhsa_dx10_clamp 1
		.amdhsa_ieee_mode 1
		.amdhsa_fp16_overflow 0
		.amdhsa_workgroup_processor_mode 1
		.amdhsa_memory_ordered 1
		.amdhsa_forward_progress 0
		.amdhsa_shared_vgpr_count 0
		.amdhsa_exception_fp_ieee_invalid_op 0
		.amdhsa_exception_fp_denorm_src 0
		.amdhsa_exception_fp_ieee_div_zero 0
		.amdhsa_exception_fp_ieee_overflow 0
		.amdhsa_exception_fp_ieee_underflow 0
		.amdhsa_exception_fp_ieee_inexact 0
		.amdhsa_exception_int_div_zero 0
	.end_amdhsa_kernel
	.section	.text._ZN9rocsolver6v33100L18trti2_kernel_smallILi1EdPdEEv13rocblas_fill_17rocblas_diagonal_T1_iil,"axG",@progbits,_ZN9rocsolver6v33100L18trti2_kernel_smallILi1EdPdEEv13rocblas_fill_17rocblas_diagonal_T1_iil,comdat
.Lfunc_end0:
	.size	_ZN9rocsolver6v33100L18trti2_kernel_smallILi1EdPdEEv13rocblas_fill_17rocblas_diagonal_T1_iil, .Lfunc_end0-_ZN9rocsolver6v33100L18trti2_kernel_smallILi1EdPdEEv13rocblas_fill_17rocblas_diagonal_T1_iil
                                        ; -- End function
	.section	.AMDGPU.csdata,"",@progbits
; Kernel info:
; codeLenInByte = 280
; NumSgprs: 18
; NumVgprs: 8
; ScratchSize: 0
; MemoryBound: 0
; FloatMode: 240
; IeeeMode: 1
; LDSByteSize: 0 bytes/workgroup (compile time only)
; SGPRBlocks: 2
; VGPRBlocks: 0
; NumSGPRsForWavesPerEU: 18
; NumVGPRsForWavesPerEU: 8
; Occupancy: 16
; WaveLimiterHint : 0
; COMPUTE_PGM_RSRC2:SCRATCH_EN: 0
; COMPUTE_PGM_RSRC2:USER_SGPR: 15
; COMPUTE_PGM_RSRC2:TRAP_HANDLER: 0
; COMPUTE_PGM_RSRC2:TGID_X_EN: 1
; COMPUTE_PGM_RSRC2:TGID_Y_EN: 0
; COMPUTE_PGM_RSRC2:TGID_Z_EN: 0
; COMPUTE_PGM_RSRC2:TIDIG_COMP_CNT: 0
	.section	.text._ZN9rocsolver6v33100L18trti2_kernel_smallILi2EdPdEEv13rocblas_fill_17rocblas_diagonal_T1_iil,"axG",@progbits,_ZN9rocsolver6v33100L18trti2_kernel_smallILi2EdPdEEv13rocblas_fill_17rocblas_diagonal_T1_iil,comdat
	.globl	_ZN9rocsolver6v33100L18trti2_kernel_smallILi2EdPdEEv13rocblas_fill_17rocblas_diagonal_T1_iil ; -- Begin function _ZN9rocsolver6v33100L18trti2_kernel_smallILi2EdPdEEv13rocblas_fill_17rocblas_diagonal_T1_iil
	.p2align	8
	.type	_ZN9rocsolver6v33100L18trti2_kernel_smallILi2EdPdEEv13rocblas_fill_17rocblas_diagonal_T1_iil,@function
_ZN9rocsolver6v33100L18trti2_kernel_smallILi2EdPdEEv13rocblas_fill_17rocblas_diagonal_T1_iil: ; @_ZN9rocsolver6v33100L18trti2_kernel_smallILi2EdPdEEv13rocblas_fill_17rocblas_diagonal_T1_iil
; %bb.0:
	s_mov_b32 s2, exec_lo
	v_cmpx_gt_u32_e32 2, v0
	s_cbranch_execz .LBB1_20
; %bb.1:
	s_load_b256 s[4:11], s[0:1], 0x0
	s_ashr_i32 s0, s15, 31
	v_lshlrev_b32_e32 v7, 3, v0
	v_mov_b32_e32 v5, 0
	v_mov_b32_e32 v6, 0xbff00000
	s_waitcnt lgkmcnt(0)
	s_mul_i32 s1, s15, s11
	s_mul_hi_u32 s2, s15, s10
	s_mul_i32 s3, s0, s10
	s_add_i32 s1, s2, s1
	s_mul_i32 s0, s15, s10
	s_add_i32 s1, s1, s3
	s_ashr_i32 s3, s8, 31
	s_lshl_b64 s[0:1], s[0:1], 3
	s_mov_b32 s2, s8
	s_add_u32 s6, s6, s0
	s_addc_u32 s7, s7, s1
	s_lshl_b64 s[0:1], s[2:3], 3
	s_mov_b32 s2, s9
	s_add_u32 s0, s6, s0
	s_addc_u32 s1, s7, s1
	v_add_co_u32 v11, s6, s0, v7
	s_ashr_i32 s3, s9, 31
	v_add_co_ci_u32_e64 v12, null, s1, 0, s6
	s_lshl_b64 s[2:3], s[2:3], 3
	s_cmpk_lg_i32 s5, 0x84
	v_add_co_u32 v9, vcc_lo, v11, s2
	s_delay_alu instid0(VALU_DEP_2)
	v_add_co_ci_u32_e32 v10, vcc_lo, s3, v12, vcc_lo
	s_clause 0x1
	global_load_b64 v[1:2], v7, s[0:1]
	global_load_b64 v[3:4], v[9:10], off
	v_cmp_eq_u32_e64 s0, 0, v0
	s_cselect_b32 s2, -1, 0
	s_cmpk_eq_i32 s5, 0x84
	s_cbranch_scc1 .LBB1_3
; %bb.2:
	v_cmp_eq_u32_e64 s1, 1, v0
	s_waitcnt vmcnt(0)
	s_delay_alu instid0(VALU_DEP_1) | instskip(SKIP_1) | instid1(VALU_DEP_1)
	v_cndmask_b32_e64 v6, v2, v4, s1
	v_cndmask_b32_e64 v5, v1, v3, s1
	v_div_scale_f64 v[13:14], null, v[5:6], v[5:6], 1.0
	v_div_scale_f64 v[19:20], vcc_lo, 1.0, v[5:6], 1.0
	s_delay_alu instid0(VALU_DEP_2) | instskip(SKIP_2) | instid1(VALU_DEP_1)
	v_rcp_f64_e32 v[15:16], v[13:14]
	s_waitcnt_depctr 0xfff
	v_fma_f64 v[17:18], -v[13:14], v[15:16], 1.0
	v_fma_f64 v[15:16], v[15:16], v[17:18], v[15:16]
	s_delay_alu instid0(VALU_DEP_1) | instskip(NEXT) | instid1(VALU_DEP_1)
	v_fma_f64 v[17:18], -v[13:14], v[15:16], 1.0
	v_fma_f64 v[15:16], v[15:16], v[17:18], v[15:16]
	s_delay_alu instid0(VALU_DEP_1) | instskip(NEXT) | instid1(VALU_DEP_1)
	v_mul_f64 v[17:18], v[19:20], v[15:16]
	v_fma_f64 v[13:14], -v[13:14], v[17:18], v[19:20]
	s_delay_alu instid0(VALU_DEP_1) | instskip(NEXT) | instid1(VALU_DEP_1)
	v_div_fmas_f64 v[13:14], v[13:14], v[15:16], v[17:18]
	v_div_fixup_f64 v[5:6], v[13:14], v[5:6], 1.0
	s_delay_alu instid0(VALU_DEP_1) | instskip(NEXT) | instid1(VALU_DEP_2)
	v_cndmask_b32_e64 v4, v4, v6, s1
	v_cndmask_b32_e64 v3, v3, v5, s1
	;; [unrolled: 1-line block ×4, first 2 shown]
	v_xor_b32_e32 v6, 0x80000000, v6
.LBB1_3:
	v_add_nc_u32_e32 v13, 16, v7
	s_cmpk_lg_i32 s4, 0x79
	ds_store_b64 v7, v[5:6]
	s_cbranch_scc0 .LBB1_7
; %bb.4:
	s_waitcnt vmcnt(0)
	v_dual_mov_b32 v8, v4 :: v_dual_mov_b32 v7, v3
	v_dual_mov_b32 v6, v2 :: v_dual_mov_b32 v5, v1
	s_mov_b32 s0, exec_lo
	ds_store_b64 v13, v[1:2]
	s_waitcnt lgkmcnt(0)
	s_barrier
	buffer_gl0_inv
	v_cmpx_eq_u32_e32 1, v0
	s_cbranch_execz .LBB1_11
; %bb.5:
	s_and_b32 vcc_lo, exec_lo, s2
	s_cbranch_vccz .LBB1_8
; %bb.6:
	ds_load_b64 v[5:6], v13
	v_cmp_eq_u32_e32 vcc_lo, 1, v0
	v_dual_cndmask_b32 v8, v2, v4 :: v_dual_cndmask_b32 v7, v1, v3
	s_waitcnt lgkmcnt(0)
	s_delay_alu instid0(VALU_DEP_1)
	v_mul_f64 v[5:6], v[7:8], v[5:6]
	s_cbranch_execz .LBB1_9
	s_branch .LBB1_10
.LBB1_7:
                                        ; implicit-def: $vgpr5_vgpr6_vgpr7_vgpr8
	s_branch .LBB1_12
.LBB1_8:
                                        ; implicit-def: $vgpr5_vgpr6
.LBB1_9:
	ds_load_b64 v[5:6], v13
.LBB1_10:
	v_mov_b32_e32 v7, 0
	ds_load_b64 v[7:8], v7
	s_waitcnt lgkmcnt(0)
	v_mul_f64 v[14:15], v[5:6], v[7:8]
	v_dual_mov_b32 v8, v4 :: v_dual_mov_b32 v7, v3
	v_dual_mov_b32 v6, v2 :: v_dual_mov_b32 v5, v1
	s_delay_alu instid0(VALU_DEP_3)
	v_dual_mov_b32 v6, v15 :: v_dual_mov_b32 v5, v14
.LBB1_11:
	s_or_b32 exec_lo, exec_lo, s0
	s_cbranch_execnz .LBB1_19
.LBB1_12:
	s_mov_b32 s0, exec_lo
	s_waitcnt vmcnt(0)
	ds_store_b64 v13, v[3:4]
	s_waitcnt lgkmcnt(0)
	s_barrier
	buffer_gl0_inv
	v_cmpx_eq_u32_e32 0, v0
	s_cbranch_execz .LBB1_18
; %bb.13:
	s_and_b32 vcc_lo, exec_lo, s2
	s_cbranch_vccz .LBB1_15
; %bb.14:
	ds_load_b64 v[5:6], v13
	v_cmp_eq_u32_e32 vcc_lo, 1, v0
	v_dual_cndmask_b32 v4, v2, v4 :: v_dual_cndmask_b32 v3, v1, v3
	s_waitcnt lgkmcnt(0)
	s_delay_alu instid0(VALU_DEP_1)
	v_mul_f64 v[3:4], v[3:4], v[5:6]
	s_cbranch_execz .LBB1_16
	s_branch .LBB1_17
.LBB1_15:
                                        ; implicit-def: $vgpr3_vgpr4
.LBB1_16:
	ds_load_b64 v[3:4], v13
.LBB1_17:
	v_mov_b32_e32 v0, 0
	ds_load_b64 v[5:6], v0 offset:8
	s_waitcnt lgkmcnt(0)
	v_mul_f64 v[3:4], v[3:4], v[5:6]
.LBB1_18:
	s_or_b32 exec_lo, exec_lo, s0
	s_delay_alu instid0(VALU_DEP_1)
	v_dual_mov_b32 v8, v4 :: v_dual_mov_b32 v7, v3
	v_dual_mov_b32 v6, v2 :: v_dual_mov_b32 v5, v1
.LBB1_19:
	s_clause 0x1
	global_store_b64 v[11:12], v[5:6], off
	global_store_b64 v[9:10], v[7:8], off
.LBB1_20:
	s_nop 0
	s_sendmsg sendmsg(MSG_DEALLOC_VGPRS)
	s_endpgm
	.section	.rodata,"a",@progbits
	.p2align	6, 0x0
	.amdhsa_kernel _ZN9rocsolver6v33100L18trti2_kernel_smallILi2EdPdEEv13rocblas_fill_17rocblas_diagonal_T1_iil
		.amdhsa_group_segment_fixed_size 32
		.amdhsa_private_segment_fixed_size 0
		.amdhsa_kernarg_size 32
		.amdhsa_user_sgpr_count 15
		.amdhsa_user_sgpr_dispatch_ptr 0
		.amdhsa_user_sgpr_queue_ptr 0
		.amdhsa_user_sgpr_kernarg_segment_ptr 1
		.amdhsa_user_sgpr_dispatch_id 0
		.amdhsa_user_sgpr_private_segment_size 0
		.amdhsa_wavefront_size32 1
		.amdhsa_uses_dynamic_stack 0
		.amdhsa_enable_private_segment 0
		.amdhsa_system_sgpr_workgroup_id_x 1
		.amdhsa_system_sgpr_workgroup_id_y 0
		.amdhsa_system_sgpr_workgroup_id_z 0
		.amdhsa_system_sgpr_workgroup_info 0
		.amdhsa_system_vgpr_workitem_id 0
		.amdhsa_next_free_vgpr 21
		.amdhsa_next_free_sgpr 16
		.amdhsa_reserve_vcc 1
		.amdhsa_float_round_mode_32 0
		.amdhsa_float_round_mode_16_64 0
		.amdhsa_float_denorm_mode_32 3
		.amdhsa_float_denorm_mode_16_64 3
		.amdhsa_dx10_clamp 1
		.amdhsa_ieee_mode 1
		.amdhsa_fp16_overflow 0
		.amdhsa_workgroup_processor_mode 1
		.amdhsa_memory_ordered 1
		.amdhsa_forward_progress 0
		.amdhsa_shared_vgpr_count 0
		.amdhsa_exception_fp_ieee_invalid_op 0
		.amdhsa_exception_fp_denorm_src 0
		.amdhsa_exception_fp_ieee_div_zero 0
		.amdhsa_exception_fp_ieee_overflow 0
		.amdhsa_exception_fp_ieee_underflow 0
		.amdhsa_exception_fp_ieee_inexact 0
		.amdhsa_exception_int_div_zero 0
	.end_amdhsa_kernel
	.section	.text._ZN9rocsolver6v33100L18trti2_kernel_smallILi2EdPdEEv13rocblas_fill_17rocblas_diagonal_T1_iil,"axG",@progbits,_ZN9rocsolver6v33100L18trti2_kernel_smallILi2EdPdEEv13rocblas_fill_17rocblas_diagonal_T1_iil,comdat
.Lfunc_end1:
	.size	_ZN9rocsolver6v33100L18trti2_kernel_smallILi2EdPdEEv13rocblas_fill_17rocblas_diagonal_T1_iil, .Lfunc_end1-_ZN9rocsolver6v33100L18trti2_kernel_smallILi2EdPdEEv13rocblas_fill_17rocblas_diagonal_T1_iil
                                        ; -- End function
	.section	.AMDGPU.csdata,"",@progbits
; Kernel info:
; codeLenInByte = 748
; NumSgprs: 18
; NumVgprs: 21
; ScratchSize: 0
; MemoryBound: 0
; FloatMode: 240
; IeeeMode: 1
; LDSByteSize: 32 bytes/workgroup (compile time only)
; SGPRBlocks: 2
; VGPRBlocks: 2
; NumSGPRsForWavesPerEU: 18
; NumVGPRsForWavesPerEU: 21
; Occupancy: 16
; WaveLimiterHint : 0
; COMPUTE_PGM_RSRC2:SCRATCH_EN: 0
; COMPUTE_PGM_RSRC2:USER_SGPR: 15
; COMPUTE_PGM_RSRC2:TRAP_HANDLER: 0
; COMPUTE_PGM_RSRC2:TGID_X_EN: 1
; COMPUTE_PGM_RSRC2:TGID_Y_EN: 0
; COMPUTE_PGM_RSRC2:TGID_Z_EN: 0
; COMPUTE_PGM_RSRC2:TIDIG_COMP_CNT: 0
	.section	.text._ZN9rocsolver6v33100L18trti2_kernel_smallILi3EdPdEEv13rocblas_fill_17rocblas_diagonal_T1_iil,"axG",@progbits,_ZN9rocsolver6v33100L18trti2_kernel_smallILi3EdPdEEv13rocblas_fill_17rocblas_diagonal_T1_iil,comdat
	.globl	_ZN9rocsolver6v33100L18trti2_kernel_smallILi3EdPdEEv13rocblas_fill_17rocblas_diagonal_T1_iil ; -- Begin function _ZN9rocsolver6v33100L18trti2_kernel_smallILi3EdPdEEv13rocblas_fill_17rocblas_diagonal_T1_iil
	.p2align	8
	.type	_ZN9rocsolver6v33100L18trti2_kernel_smallILi3EdPdEEv13rocblas_fill_17rocblas_diagonal_T1_iil,@function
_ZN9rocsolver6v33100L18trti2_kernel_smallILi3EdPdEEv13rocblas_fill_17rocblas_diagonal_T1_iil: ; @_ZN9rocsolver6v33100L18trti2_kernel_smallILi3EdPdEEv13rocblas_fill_17rocblas_diagonal_T1_iil
; %bb.0:
	s_mov_b32 s2, exec_lo
	v_cmpx_gt_u32_e32 3, v0
	s_cbranch_execz .LBB2_36
; %bb.1:
	s_load_b256 s[4:11], s[0:1], 0x0
	s_ashr_i32 s2, s15, 31
	v_lshlrev_b32_e32 v9, 3, v0
	v_mov_b32_e32 v7, 0
	v_mov_b32_e32 v8, 0xbff00000
	s_waitcnt lgkmcnt(0)
	s_ashr_i32 s1, s8, 31
	s_mov_b32 s0, s8
	s_mul_i32 s3, s15, s11
	s_mul_hi_u32 s8, s15, s10
	s_mul_i32 s11, s2, s10
	s_add_i32 s3, s8, s3
	s_mul_i32 s2, s15, s10
	s_add_i32 s3, s3, s11
	v_add3_u32 v1, s9, s9, v0
	s_lshl_b64 s[2:3], s[2:3], 3
	s_mov_b32 s8, s9
	s_add_u32 s2, s6, s2
	s_addc_u32 s3, s7, s3
	s_lshl_b64 s[0:1], s[0:1], 3
	v_ashrrev_i32_e32 v2, 31, v1
	s_add_u32 s0, s2, s0
	s_addc_u32 s1, s3, s1
	v_add_co_u32 v17, s2, s0, v9
	s_ashr_i32 s9, s9, 31
	v_lshlrev_b64 v[1:2], 3, v[1:2]
	v_add_co_ci_u32_e64 v18, null, s1, 0, s2
	s_lshl_b64 s[2:3], s[8:9], 3
	s_cmpk_lg_i32 s5, 0x84
	v_add_co_u32 v15, vcc_lo, v17, s2
	s_delay_alu instid0(VALU_DEP_2)
	v_add_co_ci_u32_e32 v16, vcc_lo, s3, v18, vcc_lo
	v_add_co_u32 v13, vcc_lo, s0, v1
	v_add_co_ci_u32_e32 v14, vcc_lo, s1, v2, vcc_lo
	s_clause 0x2
	global_load_b64 v[3:4], v[15:16], off
	global_load_b64 v[1:2], v9, s[0:1]
	global_load_b64 v[5:6], v[13:14], off
	v_cmp_eq_u32_e64 s0, 0, v0
	s_cselect_b32 s3, -1, 0
	s_cmpk_eq_i32 s5, 0x84
	s_cbranch_scc1 .LBB2_3
; %bb.2:
	v_cmp_eq_u32_e64 s1, 1, v0
	v_cmp_eq_u32_e64 s2, 2, v0
	s_waitcnt vmcnt(1)
	s_delay_alu instid0(VALU_DEP_2) | instskip(SKIP_2) | instid1(VALU_DEP_2)
	v_cndmask_b32_e64 v7, v2, v4, s1
	v_cndmask_b32_e64 v10, v1, v3, s1
	s_waitcnt vmcnt(0)
	v_cndmask_b32_e64 v8, v7, v6, s2
	s_delay_alu instid0(VALU_DEP_2) | instskip(NEXT) | instid1(VALU_DEP_1)
	v_cndmask_b32_e64 v7, v10, v5, s2
	v_div_scale_f64 v[10:11], null, v[7:8], v[7:8], 1.0
	v_div_scale_f64 v[23:24], vcc_lo, 1.0, v[7:8], 1.0
	s_delay_alu instid0(VALU_DEP_2) | instskip(SKIP_2) | instid1(VALU_DEP_1)
	v_rcp_f64_e32 v[19:20], v[10:11]
	s_waitcnt_depctr 0xfff
	v_fma_f64 v[21:22], -v[10:11], v[19:20], 1.0
	v_fma_f64 v[19:20], v[19:20], v[21:22], v[19:20]
	s_delay_alu instid0(VALU_DEP_1) | instskip(NEXT) | instid1(VALU_DEP_1)
	v_fma_f64 v[21:22], -v[10:11], v[19:20], 1.0
	v_fma_f64 v[19:20], v[19:20], v[21:22], v[19:20]
	s_delay_alu instid0(VALU_DEP_1) | instskip(NEXT) | instid1(VALU_DEP_1)
	v_mul_f64 v[21:22], v[23:24], v[19:20]
	v_fma_f64 v[10:11], -v[10:11], v[21:22], v[23:24]
	s_delay_alu instid0(VALU_DEP_1) | instskip(NEXT) | instid1(VALU_DEP_1)
	v_div_fmas_f64 v[10:11], v[10:11], v[19:20], v[21:22]
	v_div_fixup_f64 v[7:8], v[10:11], v[7:8], 1.0
	s_delay_alu instid0(VALU_DEP_1) | instskip(NEXT) | instid1(VALU_DEP_2)
	v_cndmask_b32_e64 v6, v6, v8, s2
	v_cndmask_b32_e64 v5, v5, v7, s2
	;; [unrolled: 1-line block ×6, first 2 shown]
	v_xor_b32_e32 v8, 0x80000000, v8
.LBB2_3:
	v_add_nc_u32_e32 v19, 32, v9
	s_cmpk_eq_i32 s4, 0x79
	ds_store_b64 v9, v[7:8]
	s_cbranch_scc1 .LBB2_7
; %bb.4:
	s_waitcnt vmcnt(0)
	v_dual_mov_b32 v12, v6 :: v_dual_mov_b32 v11, v5
	v_cmp_eq_u32_e64 s0, 2, v0
	v_dual_mov_b32 v10, v4 :: v_dual_mov_b32 v9, v3
	v_dual_mov_b32 v8, v2 :: v_dual_mov_b32 v7, v1
	ds_store_b64 v19, v[3:4]
	s_waitcnt lgkmcnt(0)
	s_barrier
	buffer_gl0_inv
	s_and_saveexec_b32 s1, s0
	s_cbranch_execz .LBB2_11
; %bb.5:
	s_and_b32 vcc_lo, exec_lo, s3
	s_cbranch_vccz .LBB2_8
; %bb.6:
	ds_load_b64 v[7:8], v19
	v_cmp_eq_u32_e32 vcc_lo, 1, v0
	v_cndmask_b32_e32 v9, v2, v4, vcc_lo
	v_cndmask_b32_e32 v11, v1, v3, vcc_lo
	v_cmp_eq_u32_e32 vcc_lo, 2, v0
	s_delay_alu instid0(VALU_DEP_2) | instskip(SKIP_1) | instid1(VALU_DEP_1)
	v_dual_cndmask_b32 v10, v9, v6 :: v_dual_cndmask_b32 v9, v11, v5
	s_waitcnt lgkmcnt(0)
	v_mul_f64 v[7:8], v[9:10], v[7:8]
	s_cbranch_execz .LBB2_9
	s_branch .LBB2_10
.LBB2_7:
                                        ; implicit-def: $vgpr7_vgpr8_vgpr9_vgpr10_vgpr11_vgpr12
	s_cbranch_execnz .LBB2_20
	s_branch .LBB2_35
.LBB2_8:
                                        ; implicit-def: $vgpr7_vgpr8
.LBB2_9:
	ds_load_b64 v[7:8], v19
.LBB2_10:
	v_mov_b32_e32 v9, 0
	ds_load_b64 v[9:10], v9 offset:8
	s_waitcnt lgkmcnt(0)
	v_mul_f64 v[20:21], v[7:8], v[9:10]
	v_dual_mov_b32 v12, v6 :: v_dual_mov_b32 v11, v5
	v_dual_mov_b32 v10, v4 :: v_dual_mov_b32 v9, v3
	;; [unrolled: 1-line block ×3, first 2 shown]
	s_delay_alu instid0(VALU_DEP_4)
	v_dual_mov_b32 v9, v20 :: v_dual_mov_b32 v10, v21
.LBB2_11:
	s_or_b32 exec_lo, exec_lo, s1
	s_mov_b32 s1, 0
	s_mov_b32 s2, exec_lo
	ds_store_b64 v19, v[7:8]
	s_waitcnt lgkmcnt(0)
	s_barrier
	buffer_gl0_inv
	v_cmpx_ne_u32_e32 0, v0
	s_cbranch_execz .LBB2_19
; %bb.12:
	s_and_not1_b32 vcc_lo, exec_lo, s3
	s_cbranch_vccnz .LBB2_14
; %bb.13:
	ds_load_b64 v[20:21], v19
	v_cmp_eq_u32_e32 vcc_lo, 1, v0
	v_dual_cndmask_b32 v8, v8, v10 :: v_dual_cndmask_b32 v7, v7, v9
	v_cmp_eq_u32_e32 vcc_lo, 2, v0
	s_delay_alu instid0(VALU_DEP_2) | instskip(SKIP_1) | instid1(VALU_DEP_1)
	v_dual_cndmask_b32 v8, v8, v12 :: v_dual_cndmask_b32 v7, v7, v11
	s_waitcnt lgkmcnt(0)
	v_mul_f64 v[7:8], v[7:8], v[20:21]
	s_cbranch_execz .LBB2_15
	s_branch .LBB2_16
.LBB2_14:
                                        ; implicit-def: $vgpr7_vgpr8
.LBB2_15:
	ds_load_b64 v[7:8], v19
.LBB2_16:
	s_and_saveexec_b32 s4, s0
	s_cbranch_execz .LBB2_18
; %bb.17:
	v_mov_b32_e32 v20, 0
	ds_load_b64 v[20:21], v20 offset:40
	s_waitcnt lgkmcnt(0)
	v_fma_f64 v[7:8], v[9:10], v[20:21], v[7:8]
.LBB2_18:
	s_or_b32 exec_lo, exec_lo, s4
	v_mov_b32_e32 v20, 0
	ds_load_b64 v[20:21], v20
	s_waitcnt lgkmcnt(0)
	v_mul_f64 v[7:8], v[7:8], v[20:21]
.LBB2_19:
	s_or_b32 exec_lo, exec_lo, s2
	s_delay_alu instid0(SALU_CYCLE_1)
	s_and_b32 vcc_lo, exec_lo, s1
	s_cbranch_vccz .LBB2_35
.LBB2_20:
	v_cmp_eq_u32_e64 s0, 0, v0
	s_waitcnt vmcnt(2)
	ds_store_b64 v19, v[3:4]
	s_waitcnt vmcnt(0) lgkmcnt(0)
	s_barrier
	buffer_gl0_inv
	s_and_saveexec_b32 s1, s0
	s_cbranch_execz .LBB2_26
; %bb.21:
	s_and_b32 vcc_lo, exec_lo, s3
	s_cbranch_vccz .LBB2_23
; %bb.22:
	ds_load_b64 v[7:8], v19
	v_cmp_eq_u32_e32 vcc_lo, 1, v0
	v_dual_cndmask_b32 v4, v2, v4 :: v_dual_cndmask_b32 v3, v1, v3
	v_cmp_eq_u32_e32 vcc_lo, 2, v0
	s_delay_alu instid0(VALU_DEP_2) | instskip(SKIP_1) | instid1(VALU_DEP_1)
	v_dual_cndmask_b32 v4, v4, v6 :: v_dual_cndmask_b32 v3, v3, v5
	s_waitcnt lgkmcnt(0)
	v_mul_f64 v[3:4], v[3:4], v[7:8]
	s_cbranch_execz .LBB2_24
	s_branch .LBB2_25
.LBB2_23:
                                        ; implicit-def: $vgpr3_vgpr4
.LBB2_24:
	ds_load_b64 v[3:4], v19
.LBB2_25:
	v_mov_b32_e32 v7, 0
	ds_load_b64 v[7:8], v7 offset:8
	s_waitcnt lgkmcnt(0)
	v_mul_f64 v[3:4], v[3:4], v[7:8]
.LBB2_26:
	s_or_b32 exec_lo, exec_lo, s1
	s_delay_alu instid0(SALU_CYCLE_1)
	s_mov_b32 s1, exec_lo
	ds_store_b64 v19, v[5:6]
	s_waitcnt lgkmcnt(0)
	s_barrier
	buffer_gl0_inv
	v_cmpx_ne_u32_e32 2, v0
	s_cbranch_execz .LBB2_34
; %bb.27:
	s_and_not1_b32 vcc_lo, exec_lo, s3
	s_cbranch_vccnz .LBB2_29
; %bb.28:
	ds_load_b64 v[7:8], v19
	v_cmp_eq_u32_e32 vcc_lo, 1, v0
	v_cndmask_b32_e32 v9, v2, v4, vcc_lo
	v_cndmask_b32_e32 v11, v1, v3, vcc_lo
	v_cmp_eq_u32_e32 vcc_lo, 2, v0
	s_delay_alu instid0(VALU_DEP_2) | instskip(SKIP_1) | instid1(VALU_DEP_1)
	v_dual_cndmask_b32 v10, v9, v6 :: v_dual_cndmask_b32 v9, v11, v5
	s_waitcnt lgkmcnt(0)
	v_mul_f64 v[7:8], v[9:10], v[7:8]
	s_cbranch_execz .LBB2_30
	s_branch .LBB2_31
.LBB2_29:
                                        ; implicit-def: $vgpr7_vgpr8
.LBB2_30:
	ds_load_b64 v[7:8], v19
.LBB2_31:
	s_and_saveexec_b32 s2, s0
	s_cbranch_execz .LBB2_33
; %bb.32:
	v_add_nc_u32_e32 v0, 1, v0
	ds_load_b64 v[9:10], v19 offset:8
	v_cmp_eq_u32_e32 vcc_lo, 1, v0
	v_dual_cndmask_b32 v11, v2, v4 :: v_dual_cndmask_b32 v12, v1, v3
	v_cmp_eq_u32_e32 vcc_lo, 2, v0
	s_delay_alu instid0(VALU_DEP_2) | instskip(SKIP_1) | instid1(VALU_DEP_1)
	v_dual_cndmask_b32 v6, v11, v6 :: v_dual_cndmask_b32 v5, v12, v5
	s_waitcnt lgkmcnt(0)
	v_fma_f64 v[7:8], v[5:6], v[9:10], v[7:8]
.LBB2_33:
	s_or_b32 exec_lo, exec_lo, s2
	v_mov_b32_e32 v0, 0
	ds_load_b64 v[5:6], v0 offset:16
	s_waitcnt lgkmcnt(0)
	v_mul_f64 v[5:6], v[7:8], v[5:6]
.LBB2_34:
	s_or_b32 exec_lo, exec_lo, s1
	s_delay_alu instid0(VALU_DEP_1)
	v_dual_mov_b32 v12, v6 :: v_dual_mov_b32 v11, v5
	v_dual_mov_b32 v10, v4 :: v_dual_mov_b32 v9, v3
	;; [unrolled: 1-line block ×3, first 2 shown]
.LBB2_35:
	s_clause 0x2
	global_store_b64 v[17:18], v[7:8], off
	global_store_b64 v[15:16], v[9:10], off
	;; [unrolled: 1-line block ×3, first 2 shown]
.LBB2_36:
	s_nop 0
	s_sendmsg sendmsg(MSG_DEALLOC_VGPRS)
	s_endpgm
	.section	.rodata,"a",@progbits
	.p2align	6, 0x0
	.amdhsa_kernel _ZN9rocsolver6v33100L18trti2_kernel_smallILi3EdPdEEv13rocblas_fill_17rocblas_diagonal_T1_iil
		.amdhsa_group_segment_fixed_size 56
		.amdhsa_private_segment_fixed_size 0
		.amdhsa_kernarg_size 32
		.amdhsa_user_sgpr_count 15
		.amdhsa_user_sgpr_dispatch_ptr 0
		.amdhsa_user_sgpr_queue_ptr 0
		.amdhsa_user_sgpr_kernarg_segment_ptr 1
		.amdhsa_user_sgpr_dispatch_id 0
		.amdhsa_user_sgpr_private_segment_size 0
		.amdhsa_wavefront_size32 1
		.amdhsa_uses_dynamic_stack 0
		.amdhsa_enable_private_segment 0
		.amdhsa_system_sgpr_workgroup_id_x 1
		.amdhsa_system_sgpr_workgroup_id_y 0
		.amdhsa_system_sgpr_workgroup_id_z 0
		.amdhsa_system_sgpr_workgroup_info 0
		.amdhsa_system_vgpr_workitem_id 0
		.amdhsa_next_free_vgpr 25
		.amdhsa_next_free_sgpr 16
		.amdhsa_reserve_vcc 1
		.amdhsa_float_round_mode_32 0
		.amdhsa_float_round_mode_16_64 0
		.amdhsa_float_denorm_mode_32 3
		.amdhsa_float_denorm_mode_16_64 3
		.amdhsa_dx10_clamp 1
		.amdhsa_ieee_mode 1
		.amdhsa_fp16_overflow 0
		.amdhsa_workgroup_processor_mode 1
		.amdhsa_memory_ordered 1
		.amdhsa_forward_progress 0
		.amdhsa_shared_vgpr_count 0
		.amdhsa_exception_fp_ieee_invalid_op 0
		.amdhsa_exception_fp_denorm_src 0
		.amdhsa_exception_fp_ieee_div_zero 0
		.amdhsa_exception_fp_ieee_overflow 0
		.amdhsa_exception_fp_ieee_underflow 0
		.amdhsa_exception_fp_ieee_inexact 0
		.amdhsa_exception_int_div_zero 0
	.end_amdhsa_kernel
	.section	.text._ZN9rocsolver6v33100L18trti2_kernel_smallILi3EdPdEEv13rocblas_fill_17rocblas_diagonal_T1_iil,"axG",@progbits,_ZN9rocsolver6v33100L18trti2_kernel_smallILi3EdPdEEv13rocblas_fill_17rocblas_diagonal_T1_iil,comdat
.Lfunc_end2:
	.size	_ZN9rocsolver6v33100L18trti2_kernel_smallILi3EdPdEEv13rocblas_fill_17rocblas_diagonal_T1_iil, .Lfunc_end2-_ZN9rocsolver6v33100L18trti2_kernel_smallILi3EdPdEEv13rocblas_fill_17rocblas_diagonal_T1_iil
                                        ; -- End function
	.section	.AMDGPU.csdata,"",@progbits
; Kernel info:
; codeLenInByte = 1292
; NumSgprs: 18
; NumVgprs: 25
; ScratchSize: 0
; MemoryBound: 0
; FloatMode: 240
; IeeeMode: 1
; LDSByteSize: 56 bytes/workgroup (compile time only)
; SGPRBlocks: 2
; VGPRBlocks: 3
; NumSGPRsForWavesPerEU: 18
; NumVGPRsForWavesPerEU: 25
; Occupancy: 16
; WaveLimiterHint : 0
; COMPUTE_PGM_RSRC2:SCRATCH_EN: 0
; COMPUTE_PGM_RSRC2:USER_SGPR: 15
; COMPUTE_PGM_RSRC2:TRAP_HANDLER: 0
; COMPUTE_PGM_RSRC2:TGID_X_EN: 1
; COMPUTE_PGM_RSRC2:TGID_Y_EN: 0
; COMPUTE_PGM_RSRC2:TGID_Z_EN: 0
; COMPUTE_PGM_RSRC2:TIDIG_COMP_CNT: 0
	.section	.text._ZN9rocsolver6v33100L18trti2_kernel_smallILi4EdPdEEv13rocblas_fill_17rocblas_diagonal_T1_iil,"axG",@progbits,_ZN9rocsolver6v33100L18trti2_kernel_smallILi4EdPdEEv13rocblas_fill_17rocblas_diagonal_T1_iil,comdat
	.globl	_ZN9rocsolver6v33100L18trti2_kernel_smallILi4EdPdEEv13rocblas_fill_17rocblas_diagonal_T1_iil ; -- Begin function _ZN9rocsolver6v33100L18trti2_kernel_smallILi4EdPdEEv13rocblas_fill_17rocblas_diagonal_T1_iil
	.p2align	8
	.type	_ZN9rocsolver6v33100L18trti2_kernel_smallILi4EdPdEEv13rocblas_fill_17rocblas_diagonal_T1_iil,@function
_ZN9rocsolver6v33100L18trti2_kernel_smallILi4EdPdEEv13rocblas_fill_17rocblas_diagonal_T1_iil: ; @_ZN9rocsolver6v33100L18trti2_kernel_smallILi4EdPdEEv13rocblas_fill_17rocblas_diagonal_T1_iil
; %bb.0:
	s_mov_b32 s2, exec_lo
	v_cmpx_gt_u32_e32 4, v0
	s_cbranch_execz .LBB3_62
; %bb.1:
	s_load_b256 s[4:11], s[0:1], 0x0
	s_ashr_i32 s2, s15, 31
	v_lshlrev_b32_e32 v11, 3, v0
	v_mov_b32_e32 v9, 0
	v_mov_b32_e32 v10, 0xbff00000
	s_waitcnt lgkmcnt(0)
	v_add3_u32 v1, s9, s9, v0
	s_ashr_i32 s1, s8, 31
	s_mov_b32 s0, s8
	s_mul_i32 s3, s15, s11
	s_mul_hi_u32 s8, s15, s10
	s_mul_i32 s11, s2, s10
	s_add_i32 s3, s8, s3
	s_mul_i32 s2, s15, s10
	s_add_i32 s3, s3, s11
	v_ashrrev_i32_e32 v2, 31, v1
	v_add_nc_u32_e32 v3, s9, v1
	s_lshl_b64 s[2:3], s[2:3], 3
	s_mov_b32 s8, s9
	s_add_u32 s2, s6, s2
	s_addc_u32 s3, s7, s3
	s_lshl_b64 s[0:1], s[0:1], 3
	v_lshlrev_b64 v[1:2], 3, v[1:2]
	v_ashrrev_i32_e32 v4, 31, v3
	s_add_u32 s0, s2, s0
	s_addc_u32 s1, s3, s1
	v_add_co_u32 v21, s2, s0, v11
	s_ashr_i32 s9, s9, 31
	v_add_co_ci_u32_e64 v22, null, s1, 0, s2
	v_lshlrev_b64 v[3:4], 3, v[3:4]
	v_add_co_u32 v19, vcc_lo, s0, v1
	s_lshl_b64 s[2:3], s[8:9], 3
	v_add_co_ci_u32_e32 v20, vcc_lo, s1, v2, vcc_lo
	v_add_co_u32 v23, vcc_lo, v21, s2
	v_add_co_ci_u32_e32 v24, vcc_lo, s3, v22, vcc_lo
	v_add_co_u32 v17, vcc_lo, s0, v3
	v_add_co_ci_u32_e32 v18, vcc_lo, s1, v4, vcc_lo
	s_clause 0x3
	global_load_b64 v[3:4], v[23:24], off
	global_load_b64 v[5:6], v[19:20], off
	global_load_b64 v[1:2], v11, s[0:1]
	global_load_b64 v[7:8], v[17:18], off
	v_cmp_eq_u32_e64 s0, 0, v0
	s_cmpk_lg_i32 s5, 0x84
	s_cselect_b32 s6, -1, 0
	s_cmpk_eq_i32 s5, 0x84
	s_cbranch_scc1 .LBB3_3
; %bb.2:
	v_cmp_eq_u32_e64 s1, 1, v0
	v_cmp_eq_u32_e64 s2, 2, v0
	;; [unrolled: 1-line block ×3, first 2 shown]
	s_waitcnt vmcnt(1)
	s_delay_alu instid0(VALU_DEP_3) | instskip(SKIP_1) | instid1(VALU_DEP_2)
	v_cndmask_b32_e64 v9, v2, v4, s1
	v_cndmask_b32_e64 v10, v1, v3, s1
	v_cndmask_b32_e64 v9, v9, v6, s2
	s_delay_alu instid0(VALU_DEP_2) | instskip(SKIP_1) | instid1(VALU_DEP_2)
	v_cndmask_b32_e64 v12, v10, v5, s2
	s_waitcnt vmcnt(0)
	v_cndmask_b32_e64 v10, v9, v8, s3
	s_delay_alu instid0(VALU_DEP_2) | instskip(NEXT) | instid1(VALU_DEP_1)
	v_cndmask_b32_e64 v9, v12, v7, s3
	v_div_scale_f64 v[12:13], null, v[9:10], v[9:10], 1.0
	v_div_scale_f64 v[27:28], vcc_lo, 1.0, v[9:10], 1.0
	s_delay_alu instid0(VALU_DEP_2) | instskip(SKIP_2) | instid1(VALU_DEP_1)
	v_rcp_f64_e32 v[14:15], v[12:13]
	s_waitcnt_depctr 0xfff
	v_fma_f64 v[25:26], -v[12:13], v[14:15], 1.0
	v_fma_f64 v[14:15], v[14:15], v[25:26], v[14:15]
	s_delay_alu instid0(VALU_DEP_1) | instskip(NEXT) | instid1(VALU_DEP_1)
	v_fma_f64 v[25:26], -v[12:13], v[14:15], 1.0
	v_fma_f64 v[14:15], v[14:15], v[25:26], v[14:15]
	s_delay_alu instid0(VALU_DEP_1) | instskip(NEXT) | instid1(VALU_DEP_1)
	v_mul_f64 v[25:26], v[27:28], v[14:15]
	v_fma_f64 v[12:13], -v[12:13], v[25:26], v[27:28]
	s_delay_alu instid0(VALU_DEP_1) | instskip(NEXT) | instid1(VALU_DEP_1)
	v_div_fmas_f64 v[12:13], v[12:13], v[14:15], v[25:26]
	v_div_fixup_f64 v[9:10], v[12:13], v[9:10], 1.0
	s_delay_alu instid0(VALU_DEP_1) | instskip(NEXT) | instid1(VALU_DEP_2)
	v_cndmask_b32_e64 v8, v8, v10, s3
	v_cndmask_b32_e64 v7, v7, v9, s3
	;; [unrolled: 1-line block ×8, first 2 shown]
	v_xor_b32_e32 v10, 0x80000000, v10
.LBB3_3:
	v_add_nc_u32_e32 v27, 32, v11
	s_cmpk_eq_i32 s4, 0x79
	ds_store_b64 v11, v[9:10]
	s_cbranch_scc1 .LBB3_7
; %bb.4:
	s_waitcnt vmcnt(0)
	v_dual_mov_b32 v16, v8 :: v_dual_mov_b32 v15, v7
	v_cmp_eq_u32_e64 s1, 3, v0
	v_dual_mov_b32 v14, v6 :: v_dual_mov_b32 v13, v5
	v_dual_mov_b32 v12, v4 :: v_dual_mov_b32 v11, v3
	;; [unrolled: 1-line block ×3, first 2 shown]
	ds_store_b64 v27, v[5:6]
	s_waitcnt lgkmcnt(0)
	s_barrier
	buffer_gl0_inv
	s_and_saveexec_b32 s0, s1
	s_cbranch_execz .LBB3_11
; %bb.5:
	s_and_b32 vcc_lo, exec_lo, s6
	s_cbranch_vccz .LBB3_8
; %bb.6:
	v_cmp_eq_u32_e32 vcc_lo, 1, v0
	ds_load_b64 v[9:10], v27
	v_dual_cndmask_b32 v11, v2, v4 :: v_dual_cndmask_b32 v12, v1, v3
	v_cmp_eq_u32_e32 vcc_lo, 2, v0
	s_delay_alu instid0(VALU_DEP_2) | instskip(NEXT) | instid1(VALU_DEP_3)
	v_cndmask_b32_e32 v11, v11, v6, vcc_lo
	v_cndmask_b32_e32 v13, v12, v5, vcc_lo
	v_cmp_eq_u32_e32 vcc_lo, 3, v0
	s_delay_alu instid0(VALU_DEP_2) | instskip(SKIP_1) | instid1(VALU_DEP_1)
	v_dual_cndmask_b32 v12, v11, v8 :: v_dual_cndmask_b32 v11, v13, v7
	s_waitcnt lgkmcnt(0)
	v_mul_f64 v[9:10], v[11:12], v[9:10]
	s_cbranch_execz .LBB3_9
	s_branch .LBB3_10
.LBB3_7:
                                        ; implicit-def: $vgpr9_vgpr10_vgpr11_vgpr12_vgpr13_vgpr14_vgpr15_vgpr16
	s_cbranch_execnz .LBB3_36
	s_branch .LBB3_61
.LBB3_8:
                                        ; implicit-def: $vgpr9_vgpr10
.LBB3_9:
	ds_load_b64 v[9:10], v27
.LBB3_10:
	v_mov_b32_e32 v11, 0
	ds_load_b64 v[11:12], v11 offset:16
	s_waitcnt lgkmcnt(0)
	v_mul_f64 v[25:26], v[9:10], v[11:12]
	v_dual_mov_b32 v16, v8 :: v_dual_mov_b32 v15, v7
	v_dual_mov_b32 v14, v6 :: v_dual_mov_b32 v13, v5
	;; [unrolled: 1-line block ×5, first 2 shown]
.LBB3_11:
	s_or_b32 exec_lo, exec_lo, s0
	v_cmp_lt_u32_e64 s0, 1, v0
	ds_store_b64 v27, v[11:12]
	s_waitcnt lgkmcnt(0)
	s_barrier
	buffer_gl0_inv
	s_and_saveexec_b32 s2, s0
	s_cbranch_execz .LBB3_19
; %bb.12:
	s_and_not1_b32 vcc_lo, exec_lo, s6
	s_cbranch_vccnz .LBB3_14
; %bb.13:
	v_cmp_eq_u32_e32 vcc_lo, 1, v0
	ds_load_b64 v[25:26], v27
	v_dual_cndmask_b32 v12, v10, v12 :: v_dual_cndmask_b32 v11, v9, v11
	v_cmp_eq_u32_e32 vcc_lo, 2, v0
	s_delay_alu instid0(VALU_DEP_2) | instskip(SKIP_1) | instid1(VALU_DEP_2)
	v_dual_cndmask_b32 v12, v12, v14 :: v_dual_cndmask_b32 v11, v11, v13
	v_cmp_eq_u32_e32 vcc_lo, 3, v0
	v_dual_cndmask_b32 v12, v12, v16 :: v_dual_cndmask_b32 v11, v11, v15
	s_waitcnt lgkmcnt(0)
	s_delay_alu instid0(VALU_DEP_1)
	v_mul_f64 v[11:12], v[11:12], v[25:26]
	s_cbranch_execz .LBB3_15
	s_branch .LBB3_16
.LBB3_14:
                                        ; implicit-def: $vgpr11_vgpr12
.LBB3_15:
	ds_load_b64 v[11:12], v27
.LBB3_16:
	s_and_saveexec_b32 s3, s1
	s_cbranch_execz .LBB3_18
; %bb.17:
	v_mov_b32_e32 v25, 0
	ds_load_b64 v[25:26], v25 offset:48
	s_waitcnt lgkmcnt(0)
	v_fma_f64 v[11:12], v[13:14], v[25:26], v[11:12]
.LBB3_18:
	s_or_b32 exec_lo, exec_lo, s3
	v_mov_b32_e32 v25, 0
	ds_load_b64 v[25:26], v25 offset:8
	s_waitcnt lgkmcnt(0)
	v_mul_f64 v[11:12], v[11:12], v[25:26]
.LBB3_19:
	s_or_b32 exec_lo, exec_lo, s2
	s_mov_b32 s2, 0
	s_mov_b32 s3, exec_lo
	ds_store_b64 v27, v[9:10]
	s_waitcnt lgkmcnt(0)
	s_barrier
	buffer_gl0_inv
	v_cmpx_ne_u32_e32 0, v0
	s_cbranch_execz .LBB3_35
; %bb.20:
	s_and_not1_b32 vcc_lo, exec_lo, s6
	s_cbranch_vccnz .LBB3_22
; %bb.21:
	v_cmp_eq_u32_e32 vcc_lo, 1, v0
	ds_load_b64 v[25:26], v27
	v_dual_cndmask_b32 v28, v10, v12 :: v_dual_cndmask_b32 v29, v9, v11
	v_cmp_eq_u32_e32 vcc_lo, 2, v0
	s_delay_alu instid0(VALU_DEP_2) | instskip(NEXT) | instid1(VALU_DEP_3)
	v_cndmask_b32_e32 v28, v28, v14, vcc_lo
	v_cndmask_b32_e32 v30, v29, v13, vcc_lo
	v_cmp_eq_u32_e32 vcc_lo, 3, v0
	s_delay_alu instid0(VALU_DEP_2) | instskip(SKIP_1) | instid1(VALU_DEP_1)
	v_dual_cndmask_b32 v29, v28, v16 :: v_dual_cndmask_b32 v28, v30, v15
	s_waitcnt lgkmcnt(0)
	v_mul_f64 v[25:26], v[28:29], v[25:26]
	s_cbranch_execz .LBB3_23
	s_branch .LBB3_24
.LBB3_22:
                                        ; implicit-def: $vgpr25_vgpr26
.LBB3_23:
	ds_load_b64 v[25:26], v27
.LBB3_24:
	s_and_saveexec_b32 s4, s0
	s_cbranch_execz .LBB3_34
; %bb.25:
	v_dual_mov_b32 v30, 1 :: v_dual_add_nc_u32 v29, -2, v0
	v_add_nc_u32_e32 v28, -1, v0
	s_mov_b32 s5, exec_lo
	s_delay_alu instid0(VALU_DEP_2)
	v_cmpx_lt_u32_e32 6, v29
	s_cbranch_execz .LBB3_29
; %bb.26:
	s_delay_alu instid0(VALU_DEP_2) | instskip(SKIP_3) | instid1(VALU_DEP_1)
	v_and_b32_e32 v29, -8, v28
	s_mov_b32 s7, 0
	s_mov_b64 s[0:1], 8
	s_mov_b32 s8, 40
	v_sub_nc_u32_e32 v29, 0, v29
.LBB3_27:                               ; =>This Inner Loop Header: Depth=1
	s_add_i32 s9, s0, -7
	s_delay_alu instid0(SALU_CYCLE_1)
	s_cmp_eq_u32 s9, 1
	s_cselect_b32 vcc_lo, -1, 0
	v_dual_mov_b32 v40, s8 :: v_dual_cndmask_b32 v35, v9, v11
	v_cndmask_b32_e32 v34, v10, v12, vcc_lo
	s_cmp_eq_u32 s9, 2
	ds_load_2addr_b64 v[30:33], v40 offset1:1
	s_cselect_b32 vcc_lo, -1, 0
	s_cmp_eq_u32 s9, 3
	v_dual_cndmask_b32 v35, v35, v13 :: v_dual_cndmask_b32 v34, v34, v14
	s_cselect_b32 vcc_lo, -1, 0
	s_add_i32 s9, s0, -6
	s_delay_alu instid0(VALU_DEP_1)
	v_dual_cndmask_b32 v38, v35, v15 :: v_dual_cndmask_b32 v39, v34, v16
	ds_load_2addr_b64 v[34:37], v40 offset0:2 offset1:3
	s_cmp_eq_u32 s9, 1
	s_cselect_b32 vcc_lo, -1, 0
	s_cmp_eq_u32 s9, 2
	s_waitcnt lgkmcnt(1)
	v_fma_f64 v[25:26], v[38:39], v[30:31], v[25:26]
	v_dual_cndmask_b32 v30, v10, v12 :: v_dual_cndmask_b32 v31, v9, v11
	s_cselect_b32 vcc_lo, -1, 0
	s_cmp_eq_u32 s9, 3
	s_delay_alu instid0(VALU_DEP_1) | instskip(NEXT) | instid1(VALU_DEP_2)
	v_cndmask_b32_e32 v30, v30, v14, vcc_lo
	v_cndmask_b32_e32 v38, v31, v13, vcc_lo
	s_cselect_b32 vcc_lo, -1, 0
	s_add_i32 s9, s0, -5
	s_delay_alu instid0(VALU_DEP_2) | instskip(NEXT) | instid1(VALU_DEP_2)
	v_cndmask_b32_e32 v31, v30, v16, vcc_lo
	v_cndmask_b32_e32 v30, v38, v15, vcc_lo
	s_cmp_eq_u32 s9, 1
	s_cselect_b32 vcc_lo, -1, 0
	s_cmp_eq_u32 s9, 2
	s_delay_alu instid0(VALU_DEP_1) | instskip(SKIP_3) | instid1(VALU_DEP_1)
	v_fma_f64 v[25:26], v[30:31], v[32:33], v[25:26]
	v_dual_cndmask_b32 v30, v10, v12 :: v_dual_cndmask_b32 v31, v9, v11
	s_cselect_b32 vcc_lo, -1, 0
	s_cmp_eq_u32 s9, 3
	v_cndmask_b32_e32 v30, v30, v14, vcc_lo
	s_delay_alu instid0(VALU_DEP_2) | instskip(SKIP_2) | instid1(VALU_DEP_1)
	v_cndmask_b32_e32 v32, v31, v13, vcc_lo
	s_cselect_b32 vcc_lo, -1, 0
	s_add_i32 s9, s0, -4
	v_dual_cndmask_b32 v31, v30, v16 :: v_dual_cndmask_b32 v30, v32, v15
	s_cmp_eq_u32 s9, 1
	s_cselect_b32 vcc_lo, -1, 0
	s_cmp_eq_u32 s9, 2
	s_waitcnt lgkmcnt(0)
	v_fma_f64 v[25:26], v[30:31], v[34:35], v[25:26]
	v_dual_cndmask_b32 v30, v10, v12 :: v_dual_cndmask_b32 v31, v9, v11
	s_cselect_b32 vcc_lo, -1, 0
	s_cmp_eq_u32 s9, 3
	s_delay_alu instid0(VALU_DEP_1) | instskip(NEXT) | instid1(VALU_DEP_2)
	v_cndmask_b32_e32 v30, v30, v14, vcc_lo
	v_cndmask_b32_e32 v32, v31, v13, vcc_lo
	s_cselect_b32 vcc_lo, -1, 0
	s_add_i32 s9, s0, -3
	s_delay_alu instid0(VALU_DEP_1)
	v_dual_cndmask_b32 v31, v30, v16 :: v_dual_cndmask_b32 v30, v32, v15
	s_cmp_eq_u32 s9, 1
	s_cselect_b32 vcc_lo, -1, 0
	s_cmp_eq_u32 s9, 2
	v_dual_cndmask_b32 v34, v10, v12 :: v_dual_cndmask_b32 v35, v9, v11
	s_cselect_b32 vcc_lo, -1, 0
	s_cmp_eq_u32 s9, 3
	s_delay_alu instid0(VALU_DEP_1) | instskip(SKIP_2) | instid1(VALU_DEP_1)
	v_dual_cndmask_b32 v34, v34, v14 :: v_dual_cndmask_b32 v35, v35, v13
	s_cselect_b32 vcc_lo, -1, 0
	s_add_i32 s9, s0, -2
	v_dual_cndmask_b32 v39, v34, v16 :: v_dual_cndmask_b32 v38, v35, v15
	s_cmp_eq_u32 s9, 1
	s_cselect_b32 vcc_lo, -1, 0
	s_cmp_eq_u32 s9, 2
	v_fma_f64 v[25:26], v[30:31], v[36:37], v[25:26]
	ds_load_2addr_b64 v[30:33], v40 offset0:4 offset1:5
	ds_load_2addr_b64 v[34:37], v40 offset0:6 offset1:7
	s_waitcnt lgkmcnt(1)
	v_fma_f64 v[25:26], v[38:39], v[30:31], v[25:26]
	v_dual_cndmask_b32 v30, v10, v12 :: v_dual_cndmask_b32 v31, v9, v11
	s_cselect_b32 vcc_lo, -1, 0
	s_cmp_eq_u32 s9, 3
	s_delay_alu instid0(VALU_DEP_1) | instskip(NEXT) | instid1(VALU_DEP_2)
	v_cndmask_b32_e32 v30, v30, v14, vcc_lo
	v_cndmask_b32_e32 v38, v31, v13, vcc_lo
	s_cselect_b32 vcc_lo, -1, 0
	s_add_i32 s9, s0, -1
	s_delay_alu instid0(VALU_DEP_2) | instskip(NEXT) | instid1(VALU_DEP_2)
	v_cndmask_b32_e32 v31, v30, v16, vcc_lo
	v_cndmask_b32_e32 v30, v38, v15, vcc_lo
	s_cmp_eq_u32 s9, 1
	s_cselect_b32 vcc_lo, -1, 0
	s_cmp_eq_u32 s9, 2
	s_delay_alu instid0(VALU_DEP_1) | instskip(SKIP_3) | instid1(VALU_DEP_1)
	v_fma_f64 v[25:26], v[30:31], v[32:33], v[25:26]
	v_dual_cndmask_b32 v30, v10, v12 :: v_dual_cndmask_b32 v31, v9, v11
	s_cselect_b32 vcc_lo, -1, 0
	s_cmp_eq_u32 s9, 3
	v_cndmask_b32_e32 v30, v30, v14, vcc_lo
	s_delay_alu instid0(VALU_DEP_2) | instskip(SKIP_2) | instid1(VALU_DEP_1)
	v_cndmask_b32_e32 v32, v31, v13, vcc_lo
	s_cselect_b32 vcc_lo, -1, 0
	s_cmp_eq_u32 s0, 1
	v_dual_cndmask_b32 v31, v30, v16 :: v_dual_cndmask_b32 v30, v32, v15
	s_cselect_b32 vcc_lo, -1, 0
	s_cmp_eq_u32 s0, 2
	s_waitcnt lgkmcnt(0)
	s_delay_alu instid0(VALU_DEP_1) | instskip(SKIP_3) | instid1(VALU_DEP_1)
	v_fma_f64 v[25:26], v[30:31], v[34:35], v[25:26]
	v_dual_cndmask_b32 v30, v10, v12 :: v_dual_cndmask_b32 v31, v9, v11
	s_cselect_b32 vcc_lo, -1, 0
	s_cmp_eq_u32 s0, 3
	v_cndmask_b32_e32 v30, v30, v14, vcc_lo
	s_delay_alu instid0(VALU_DEP_2) | instskip(SKIP_3) | instid1(VALU_DEP_1)
	v_cndmask_b32_e32 v32, v31, v13, vcc_lo
	s_cselect_b32 vcc_lo, -1, 0
	s_add_u32 s0, s0, 8
	s_addc_u32 s1, s1, 0
	v_dual_cndmask_b32 v31, v30, v16 :: v_dual_cndmask_b32 v30, v32, v15
	s_add_i32 s9, s0, -7
	s_add_i32 s8, s8, 64
	s_delay_alu instid0(VALU_DEP_1) | instskip(SKIP_1) | instid1(VALU_DEP_1)
	v_fma_f64 v[25:26], v[30:31], v[36:37], v[25:26]
	v_add_nc_u32_e32 v30, s0, v29
	v_cmp_eq_u32_e32 vcc_lo, 8, v30
	v_mov_b32_e32 v30, s9
	s_or_b32 s7, vcc_lo, s7
	s_delay_alu instid0(SALU_CYCLE_1)
	s_and_not1_b32 exec_lo, exec_lo, s7
	s_cbranch_execnz .LBB3_27
; %bb.28:
	s_or_b32 exec_lo, exec_lo, s7
.LBB3_29:
	s_delay_alu instid0(SALU_CYCLE_1) | instskip(SKIP_3) | instid1(VALU_DEP_1)
	s_or_b32 exec_lo, exec_lo, s5
	v_and_b32_e32 v28, 7, v28
	s_mov_b32 s5, 0
	s_mov_b32 s1, exec_lo
	v_cmpx_ne_u32_e32 0, v28
	s_cbranch_execz .LBB3_33
; %bb.30:
	v_lshl_add_u32 v29, v30, 3, 32
	v_mov_b32_e32 v31, 0
	.p2align	6
.LBB3_31:                               ; =>This Inner Loop Header: Depth=1
	ds_load_b64 v[32:33], v29
	v_cmp_eq_u32_e32 vcc_lo, 1, v30
	v_cmp_eq_u32_e64 s0, 2, v30
	v_add_nc_u32_e32 v28, -1, v28
	v_dual_cndmask_b32 v34, v10, v12 :: v_dual_add_nc_u32 v29, 8, v29
	v_cndmask_b32_e32 v35, v9, v11, vcc_lo
	v_cmp_eq_u32_e32 vcc_lo, 3, v30
	s_delay_alu instid0(VALU_DEP_3) | instskip(NEXT) | instid1(VALU_DEP_3)
	v_cndmask_b32_e64 v34, v34, v14, s0
	v_cndmask_b32_e64 v36, v35, v13, s0
	v_add_co_u32 v30, s0, v30, 1
	s_delay_alu instid0(VALU_DEP_1) | instskip(NEXT) | instid1(VALU_DEP_3)
	v_add_co_ci_u32_e64 v31, s0, 0, v31, s0
	v_dual_cndmask_b32 v35, v34, v16 :: v_dual_cndmask_b32 v34, v36, v15
	v_cmp_eq_u32_e32 vcc_lo, 0, v28
	s_waitcnt lgkmcnt(0)
	s_delay_alu instid0(VALU_DEP_2) | instskip(SKIP_1) | instid1(SALU_CYCLE_1)
	v_fma_f64 v[25:26], v[34:35], v[32:33], v[25:26]
	s_or_b32 s5, vcc_lo, s5
	s_and_not1_b32 exec_lo, exec_lo, s5
	s_cbranch_execnz .LBB3_31
; %bb.32:
	s_or_b32 exec_lo, exec_lo, s5
.LBB3_33:
	s_delay_alu instid0(SALU_CYCLE_1)
	s_or_b32 exec_lo, exec_lo, s1
.LBB3_34:
	s_delay_alu instid0(SALU_CYCLE_1)
	s_or_b32 exec_lo, exec_lo, s4
	v_mov_b32_e32 v9, 0
	ds_load_b64 v[9:10], v9
	s_waitcnt lgkmcnt(0)
	v_mul_f64 v[9:10], v[25:26], v[9:10]
.LBB3_35:
	s_or_b32 exec_lo, exec_lo, s3
	s_delay_alu instid0(SALU_CYCLE_1)
	s_and_b32 vcc_lo, exec_lo, s2
	s_cbranch_vccz .LBB3_61
.LBB3_36:
	v_cmp_eq_u32_e64 s0, 0, v0
	s_waitcnt vmcnt(3)
	ds_store_b64 v27, v[3:4]
	s_waitcnt vmcnt(0) lgkmcnt(0)
	s_barrier
	buffer_gl0_inv
	s_and_saveexec_b32 s1, s0
	s_cbranch_execz .LBB3_42
; %bb.37:
	s_and_b32 vcc_lo, exec_lo, s6
	s_cbranch_vccz .LBB3_39
; %bb.38:
	v_cmp_eq_u32_e32 vcc_lo, 1, v0
	ds_load_b64 v[9:10], v27
	v_dual_cndmask_b32 v4, v2, v4 :: v_dual_cndmask_b32 v3, v1, v3
	v_cmp_eq_u32_e32 vcc_lo, 2, v0
	s_delay_alu instid0(VALU_DEP_2) | instskip(SKIP_1) | instid1(VALU_DEP_2)
	v_dual_cndmask_b32 v4, v4, v6 :: v_dual_cndmask_b32 v3, v3, v5
	v_cmp_eq_u32_e32 vcc_lo, 3, v0
	v_dual_cndmask_b32 v4, v4, v8 :: v_dual_cndmask_b32 v3, v3, v7
	s_waitcnt lgkmcnt(0)
	s_delay_alu instid0(VALU_DEP_1)
	v_mul_f64 v[3:4], v[3:4], v[9:10]
	s_cbranch_execz .LBB3_40
	s_branch .LBB3_41
.LBB3_39:
                                        ; implicit-def: $vgpr3_vgpr4
.LBB3_40:
	ds_load_b64 v[3:4], v27
.LBB3_41:
	v_mov_b32_e32 v9, 0
	ds_load_b64 v[9:10], v9 offset:8
	s_waitcnt lgkmcnt(0)
	v_mul_f64 v[3:4], v[3:4], v[9:10]
.LBB3_42:
	s_or_b32 exec_lo, exec_lo, s1
	v_add_nc_u32_e32 v11, 1, v0
	v_cmp_gt_u32_e64 s1, 2, v0
	v_cndmask_b32_e64 v12, 0, 1, s6
	ds_store_b64 v27, v[5:6]
	s_waitcnt lgkmcnt(0)
	s_barrier
	buffer_gl0_inv
	s_and_saveexec_b32 s2, s1
	s_cbranch_execz .LBB3_50
; %bb.43:
	s_and_not1_b32 vcc_lo, exec_lo, s6
	s_cbranch_vccnz .LBB3_45
; %bb.44:
	v_cmp_eq_u32_e32 vcc_lo, 1, v0
	ds_load_b64 v[9:10], v27
	v_dual_cndmask_b32 v13, v2, v4 :: v_dual_cndmask_b32 v14, v1, v3
	v_cmp_eq_u32_e32 vcc_lo, 2, v0
	s_delay_alu instid0(VALU_DEP_2) | instskip(NEXT) | instid1(VALU_DEP_3)
	v_cndmask_b32_e32 v13, v13, v6, vcc_lo
	v_cndmask_b32_e32 v15, v14, v5, vcc_lo
	v_cmp_eq_u32_e32 vcc_lo, 3, v0
	s_delay_alu instid0(VALU_DEP_2) | instskip(SKIP_1) | instid1(VALU_DEP_1)
	v_dual_cndmask_b32 v14, v13, v8 :: v_dual_cndmask_b32 v13, v15, v7
	s_waitcnt lgkmcnt(0)
	v_mul_f64 v[9:10], v[13:14], v[9:10]
	s_cbranch_execz .LBB3_46
	s_branch .LBB3_47
.LBB3_45:
                                        ; implicit-def: $vgpr9_vgpr10
.LBB3_46:
	ds_load_b64 v[9:10], v27
.LBB3_47:
	s_and_saveexec_b32 s3, s0
	s_cbranch_execz .LBB3_49
; %bb.48:
	v_cmp_eq_u32_e32 vcc_lo, 1, v11
	ds_load_b64 v[13:14], v27 offset:8
	v_dual_cndmask_b32 v15, v2, v4 :: v_dual_cndmask_b32 v16, v1, v3
	v_cmp_eq_u32_e32 vcc_lo, 2, v11
	s_delay_alu instid0(VALU_DEP_2) | instskip(SKIP_1) | instid1(VALU_DEP_2)
	v_dual_cndmask_b32 v6, v15, v6 :: v_dual_cndmask_b32 v5, v16, v5
	v_cmp_eq_u32_e32 vcc_lo, 3, v11
	v_dual_cndmask_b32 v6, v6, v8 :: v_dual_cndmask_b32 v5, v5, v7
	s_waitcnt lgkmcnt(0)
	s_delay_alu instid0(VALU_DEP_1)
	v_fma_f64 v[9:10], v[5:6], v[13:14], v[9:10]
.LBB3_49:
	s_or_b32 exec_lo, exec_lo, s3
	v_mov_b32_e32 v5, 0
	ds_load_b64 v[5:6], v5 offset:16
	s_waitcnt lgkmcnt(0)
	v_mul_f64 v[5:6], v[9:10], v[5:6]
.LBB3_50:
	s_or_b32 exec_lo, exec_lo, s2
	s_delay_alu instid0(SALU_CYCLE_1)
	s_mov_b32 s2, exec_lo
	ds_store_b64 v27, v[7:8]
	s_waitcnt lgkmcnt(0)
	s_barrier
	buffer_gl0_inv
	v_cmpx_ne_u32_e32 3, v0
	s_cbranch_execz .LBB3_60
; %bb.51:
	v_cmp_ne_u32_e32 vcc_lo, 1, v12
	s_cbranch_vccnz .LBB3_53
; %bb.52:
	v_cmp_eq_u32_e32 vcc_lo, 1, v0
	ds_load_b64 v[9:10], v27
	v_dual_cndmask_b32 v12, v2, v4 :: v_dual_cndmask_b32 v13, v1, v3
	v_cmp_eq_u32_e32 vcc_lo, 2, v0
	s_delay_alu instid0(VALU_DEP_2) | instskip(NEXT) | instid1(VALU_DEP_3)
	v_cndmask_b32_e32 v12, v12, v6, vcc_lo
	v_cndmask_b32_e32 v14, v13, v5, vcc_lo
	v_cmp_eq_u32_e32 vcc_lo, 3, v0
	s_delay_alu instid0(VALU_DEP_2) | instskip(SKIP_1) | instid1(VALU_DEP_1)
	v_dual_cndmask_b32 v13, v12, v8 :: v_dual_cndmask_b32 v12, v14, v7
	s_waitcnt lgkmcnt(0)
	v_mul_f64 v[9:10], v[12:13], v[9:10]
	s_cbranch_execz .LBB3_54
	s_branch .LBB3_55
.LBB3_53:
                                        ; implicit-def: $vgpr9_vgpr10
.LBB3_54:
	ds_load_b64 v[9:10], v27
.LBB3_55:
	s_and_saveexec_b32 s3, s1
	s_cbranch_execz .LBB3_59
; %bb.56:
	v_cmp_eq_u32_e32 vcc_lo, 1, v11
	ds_load_b64 v[12:13], v27 offset:8
	v_cndmask_b32_e32 v0, v2, v4, vcc_lo
	v_cndmask_b32_e32 v14, v1, v3, vcc_lo
	v_cmp_eq_u32_e32 vcc_lo, 2, v11
	s_delay_alu instid0(VALU_DEP_2) | instskip(NEXT) | instid1(VALU_DEP_4)
	v_cndmask_b32_e32 v14, v14, v5, vcc_lo
	v_cndmask_b32_e32 v0, v0, v6, vcc_lo
	v_cmp_eq_u32_e32 vcc_lo, 3, v11
	s_delay_alu instid0(VALU_DEP_2) | instskip(SKIP_1) | instid1(VALU_DEP_1)
	v_dual_cndmask_b32 v7, v14, v7 :: v_dual_cndmask_b32 v8, v0, v8
	s_waitcnt lgkmcnt(0)
	v_fma_f64 v[9:10], v[7:8], v[12:13], v[9:10]
	s_and_saveexec_b32 s1, s0
	s_cbranch_execz .LBB3_58
; %bb.57:
	v_mov_b32_e32 v0, 0
	ds_load_b64 v[7:8], v0 offset:48
	s_waitcnt lgkmcnt(0)
	v_fma_f64 v[9:10], v[5:6], v[7:8], v[9:10]
.LBB3_58:
	s_or_b32 exec_lo, exec_lo, s1
.LBB3_59:
	s_delay_alu instid0(SALU_CYCLE_1)
	s_or_b32 exec_lo, exec_lo, s3
	v_mov_b32_e32 v0, 0
	ds_load_b64 v[7:8], v0 offset:24
	s_waitcnt lgkmcnt(0)
	v_mul_f64 v[7:8], v[9:10], v[7:8]
.LBB3_60:
	s_or_b32 exec_lo, exec_lo, s2
	s_delay_alu instid0(VALU_DEP_1)
	v_dual_mov_b32 v16, v8 :: v_dual_mov_b32 v15, v7
	v_dual_mov_b32 v14, v6 :: v_dual_mov_b32 v13, v5
	v_dual_mov_b32 v12, v4 :: v_dual_mov_b32 v11, v3
	v_dual_mov_b32 v10, v2 :: v_dual_mov_b32 v9, v1
.LBB3_61:
	s_clause 0x3
	global_store_b64 v[21:22], v[9:10], off
	global_store_b64 v[23:24], v[11:12], off
	;; [unrolled: 1-line block ×4, first 2 shown]
.LBB3_62:
	s_nop 0
	s_sendmsg sendmsg(MSG_DEALLOC_VGPRS)
	s_endpgm
	.section	.rodata,"a",@progbits
	.p2align	6, 0x0
	.amdhsa_kernel _ZN9rocsolver6v33100L18trti2_kernel_smallILi4EdPdEEv13rocblas_fill_17rocblas_diagonal_T1_iil
		.amdhsa_group_segment_fixed_size 64
		.amdhsa_private_segment_fixed_size 0
		.amdhsa_kernarg_size 32
		.amdhsa_user_sgpr_count 15
		.amdhsa_user_sgpr_dispatch_ptr 0
		.amdhsa_user_sgpr_queue_ptr 0
		.amdhsa_user_sgpr_kernarg_segment_ptr 1
		.amdhsa_user_sgpr_dispatch_id 0
		.amdhsa_user_sgpr_private_segment_size 0
		.amdhsa_wavefront_size32 1
		.amdhsa_uses_dynamic_stack 0
		.amdhsa_enable_private_segment 0
		.amdhsa_system_sgpr_workgroup_id_x 1
		.amdhsa_system_sgpr_workgroup_id_y 0
		.amdhsa_system_sgpr_workgroup_id_z 0
		.amdhsa_system_sgpr_workgroup_info 0
		.amdhsa_system_vgpr_workitem_id 0
		.amdhsa_next_free_vgpr 41
		.amdhsa_next_free_sgpr 16
		.amdhsa_reserve_vcc 1
		.amdhsa_float_round_mode_32 0
		.amdhsa_float_round_mode_16_64 0
		.amdhsa_float_denorm_mode_32 3
		.amdhsa_float_denorm_mode_16_64 3
		.amdhsa_dx10_clamp 1
		.amdhsa_ieee_mode 1
		.amdhsa_fp16_overflow 0
		.amdhsa_workgroup_processor_mode 1
		.amdhsa_memory_ordered 1
		.amdhsa_forward_progress 0
		.amdhsa_shared_vgpr_count 0
		.amdhsa_exception_fp_ieee_invalid_op 0
		.amdhsa_exception_fp_denorm_src 0
		.amdhsa_exception_fp_ieee_div_zero 0
		.amdhsa_exception_fp_ieee_overflow 0
		.amdhsa_exception_fp_ieee_underflow 0
		.amdhsa_exception_fp_ieee_inexact 0
		.amdhsa_exception_int_div_zero 0
	.end_amdhsa_kernel
	.section	.text._ZN9rocsolver6v33100L18trti2_kernel_smallILi4EdPdEEv13rocblas_fill_17rocblas_diagonal_T1_iil,"axG",@progbits,_ZN9rocsolver6v33100L18trti2_kernel_smallILi4EdPdEEv13rocblas_fill_17rocblas_diagonal_T1_iil,comdat
.Lfunc_end3:
	.size	_ZN9rocsolver6v33100L18trti2_kernel_smallILi4EdPdEEv13rocblas_fill_17rocblas_diagonal_T1_iil, .Lfunc_end3-_ZN9rocsolver6v33100L18trti2_kernel_smallILi4EdPdEEv13rocblas_fill_17rocblas_diagonal_T1_iil
                                        ; -- End function
	.section	.AMDGPU.csdata,"",@progbits
; Kernel info:
; codeLenInByte = 2792
; NumSgprs: 18
; NumVgprs: 41
; ScratchSize: 0
; MemoryBound: 0
; FloatMode: 240
; IeeeMode: 1
; LDSByteSize: 64 bytes/workgroup (compile time only)
; SGPRBlocks: 2
; VGPRBlocks: 5
; NumSGPRsForWavesPerEU: 18
; NumVGPRsForWavesPerEU: 41
; Occupancy: 16
; WaveLimiterHint : 0
; COMPUTE_PGM_RSRC2:SCRATCH_EN: 0
; COMPUTE_PGM_RSRC2:USER_SGPR: 15
; COMPUTE_PGM_RSRC2:TRAP_HANDLER: 0
; COMPUTE_PGM_RSRC2:TGID_X_EN: 1
; COMPUTE_PGM_RSRC2:TGID_Y_EN: 0
; COMPUTE_PGM_RSRC2:TGID_Z_EN: 0
; COMPUTE_PGM_RSRC2:TIDIG_COMP_CNT: 0
	.section	.text._ZN9rocsolver6v33100L18trti2_kernel_smallILi5EdPdEEv13rocblas_fill_17rocblas_diagonal_T1_iil,"axG",@progbits,_ZN9rocsolver6v33100L18trti2_kernel_smallILi5EdPdEEv13rocblas_fill_17rocblas_diagonal_T1_iil,comdat
	.globl	_ZN9rocsolver6v33100L18trti2_kernel_smallILi5EdPdEEv13rocblas_fill_17rocblas_diagonal_T1_iil ; -- Begin function _ZN9rocsolver6v33100L18trti2_kernel_smallILi5EdPdEEv13rocblas_fill_17rocblas_diagonal_T1_iil
	.p2align	8
	.type	_ZN9rocsolver6v33100L18trti2_kernel_smallILi5EdPdEEv13rocblas_fill_17rocblas_diagonal_T1_iil,@function
_ZN9rocsolver6v33100L18trti2_kernel_smallILi5EdPdEEv13rocblas_fill_17rocblas_diagonal_T1_iil: ; @_ZN9rocsolver6v33100L18trti2_kernel_smallILi5EdPdEEv13rocblas_fill_17rocblas_diagonal_T1_iil
; %bb.0:
	s_mov_b32 s2, exec_lo
	v_cmpx_gt_u32_e32 5, v0
	s_cbranch_execz .LBB4_88
; %bb.1:
	s_load_b256 s[16:23], s[0:1], 0x0
	s_ashr_i32 s2, s15, 31
	v_lshlrev_b32_e32 v19, 3, v0
	v_mov_b32_e32 v17, 0
	v_dual_mov_b32 v18, 0xbff00000 :: v_dual_mov_b32 v43, 0
	s_waitcnt lgkmcnt(0)
	v_add3_u32 v1, s21, s21, v0
	s_mul_i32 s3, s15, s23
	s_mul_hi_u32 s4, s15, s22
	s_mul_i32 s5, s2, s22
	s_add_i32 s3, s4, s3
	v_add_nc_u32_e32 v3, s21, v1
	s_mul_i32 s2, s15, s22
	s_add_i32 s3, s3, s5
	v_ashrrev_i32_e32 v2, 31, v1
	s_lshl_b64 s[2:3], s[2:3], 3
	s_ashr_i32 s1, s20, 31
	s_mov_b32 s0, s20
	s_add_u32 s2, s18, s2
	v_add_nc_u32_e32 v5, s21, v3
	s_addc_u32 s3, s19, s3
	s_lshl_b64 s[0:1], s[0:1], 3
	v_lshlrev_b64 v[1:2], 3, v[1:2]
	v_ashrrev_i32_e32 v4, 31, v3
	s_add_u32 s0, s2, s0
	s_addc_u32 s1, s3, s1
	v_add_co_u32 v39, s2, s0, v19
	v_ashrrev_i32_e32 v6, 31, v5
	s_mov_b32 s4, s21
	s_ashr_i32 s5, s21, 31
	v_add_co_ci_u32_e64 v40, null, s1, 0, s2
	v_lshlrev_b64 v[3:4], 3, v[3:4]
	v_add_co_u32 v35, vcc_lo, s0, v1
	s_lshl_b64 s[2:3], s[4:5], 3
	v_add_co_ci_u32_e32 v36, vcc_lo, s1, v2, vcc_lo
	v_add_co_u32 v41, vcc_lo, v39, s2
	v_lshlrev_b64 v[1:2], 3, v[5:6]
	v_add_co_ci_u32_e32 v42, vcc_lo, s3, v40, vcc_lo
	v_add_co_u32 v37, vcc_lo, s0, v3
	v_add_co_ci_u32_e32 v38, vcc_lo, s1, v4, vcc_lo
	s_delay_alu instid0(VALU_DEP_4)
	v_add_co_u32 v33, vcc_lo, s0, v1
	v_add_co_ci_u32_e32 v34, vcc_lo, s1, v2, vcc_lo
	s_clause 0x4
	global_load_b64 v[1:2], v19, s[0:1]
	global_load_b64 v[3:4], v[41:42], off
	global_load_b64 v[5:6], v[35:36], off
	;; [unrolled: 1-line block ×4, first 2 shown]
	v_cmp_eq_u32_e64 s0, 0, v0
	s_cmpk_lg_i32 s17, 0x84
	s_cselect_b32 s5, -1, 0
	s_cmpk_eq_i32 s17, 0x84
	s_cbranch_scc1 .LBB4_3
; %bb.2:
	v_cmp_eq_u32_e64 s1, 1, v0
	v_cmp_eq_u32_e64 s2, 2, v0
	;; [unrolled: 1-line block ×4, first 2 shown]
	s_waitcnt vmcnt(3)
	v_cndmask_b32_e64 v11, v2, v4, s1
	v_cndmask_b32_e64 v12, v1, v3, s1
	s_waitcnt vmcnt(2)
	s_delay_alu instid0(VALU_DEP_2) | instskip(NEXT) | instid1(VALU_DEP_2)
	v_cndmask_b32_e64 v11, v11, v6, s2
	v_cndmask_b32_e64 v12, v12, v5, s2
	s_waitcnt vmcnt(1)
	s_delay_alu instid0(VALU_DEP_2) | instskip(NEXT) | instid1(VALU_DEP_2)
	;; [unrolled: 4-line block ×3, first 2 shown]
	v_cndmask_b32_e64 v12, v11, v10, s4
	v_cndmask_b32_e64 v11, v13, v9, s4
	s_delay_alu instid0(VALU_DEP_1) | instskip(SKIP_1) | instid1(VALU_DEP_2)
	v_div_scale_f64 v[13:14], null, v[11:12], v[11:12], 1.0
	v_div_scale_f64 v[20:21], vcc_lo, 1.0, v[11:12], 1.0
	v_rcp_f64_e32 v[15:16], v[13:14]
	s_waitcnt_depctr 0xfff
	v_fma_f64 v[17:18], -v[13:14], v[15:16], 1.0
	s_delay_alu instid0(VALU_DEP_1) | instskip(NEXT) | instid1(VALU_DEP_1)
	v_fma_f64 v[15:16], v[15:16], v[17:18], v[15:16]
	v_fma_f64 v[17:18], -v[13:14], v[15:16], 1.0
	s_delay_alu instid0(VALU_DEP_1) | instskip(NEXT) | instid1(VALU_DEP_1)
	v_fma_f64 v[15:16], v[15:16], v[17:18], v[15:16]
	v_mul_f64 v[17:18], v[20:21], v[15:16]
	s_delay_alu instid0(VALU_DEP_1) | instskip(NEXT) | instid1(VALU_DEP_1)
	v_fma_f64 v[13:14], -v[13:14], v[17:18], v[20:21]
	v_div_fmas_f64 v[13:14], v[13:14], v[15:16], v[17:18]
	s_delay_alu instid0(VALU_DEP_1) | instskip(NEXT) | instid1(VALU_DEP_1)
	v_div_fixup_f64 v[17:18], v[13:14], v[11:12], 1.0
	v_cndmask_b32_e64 v10, v10, v18, s4
	s_delay_alu instid0(VALU_DEP_2)
	v_cndmask_b32_e64 v9, v9, v17, s4
	v_cndmask_b32_e64 v8, v8, v18, s3
	;; [unrolled: 1-line block ×9, first 2 shown]
	v_xor_b32_e32 v18, 0x80000000, v18
.LBB4_3:
	v_add_nc_u32_e32 v44, 48, v19
	s_cmpk_eq_i32 s16, 0x79
	ds_store_b64 v19, v[17:18]
	s_cbranch_scc1 .LBB4_7
; %bb.4:
	s_waitcnt vmcnt(0)
	v_dual_mov_b32 v32, v16 :: v_dual_mov_b32 v31, v15
	v_dual_mov_b32 v26, v10 :: v_dual_mov_b32 v25, v9
	;; [unrolled: 1-line block ×6, first 2 shown]
	v_cmp_eq_u32_e64 s0, 4, v0
	v_dual_mov_b32 v30, v14 :: v_dual_mov_b32 v29, v13
	v_dual_mov_b32 v28, v12 :: v_dual_mov_b32 v27, v11
	ds_store_b64 v44, v[7:8]
	s_waitcnt lgkmcnt(0)
	s_barrier
	buffer_gl0_inv
	s_and_saveexec_b32 s1, s0
	s_cbranch_execz .LBB4_11
; %bb.5:
	s_and_b32 vcc_lo, exec_lo, s5
	s_cbranch_vccz .LBB4_8
; %bb.6:
	v_cmp_eq_u32_e32 vcc_lo, 1, v0
	ds_load_b64 v[17:18], v44
	v_dual_cndmask_b32 v19, v2, v4 :: v_dual_cndmask_b32 v20, v1, v3
	v_cmp_eq_u32_e32 vcc_lo, 2, v0
	s_delay_alu instid0(VALU_DEP_2) | instskip(SKIP_1) | instid1(VALU_DEP_2)
	v_dual_cndmask_b32 v19, v19, v6 :: v_dual_cndmask_b32 v20, v20, v5
	v_cmp_eq_u32_e32 vcc_lo, 3, v0
	v_cndmask_b32_e32 v19, v19, v8, vcc_lo
	s_delay_alu instid0(VALU_DEP_3) | instskip(SKIP_1) | instid1(VALU_DEP_2)
	v_cndmask_b32_e32 v21, v20, v7, vcc_lo
	v_cmp_eq_u32_e32 vcc_lo, 4, v0
	v_dual_cndmask_b32 v20, v19, v10 :: v_dual_cndmask_b32 v19, v21, v9
	s_waitcnt lgkmcnt(0)
	s_delay_alu instid0(VALU_DEP_1)
	v_mul_f64 v[17:18], v[19:20], v[17:18]
	s_cbranch_execz .LBB4_9
	s_branch .LBB4_10
.LBB4_7:
                                        ; implicit-def: $vgpr17_vgpr18_vgpr19_vgpr20_vgpr21_vgpr22_vgpr23_vgpr24_vgpr25_vgpr26_vgpr27_vgpr28_vgpr29_vgpr30_vgpr31_vgpr32
	s_cbranch_execnz .LBB4_52
	s_branch .LBB4_87
.LBB4_8:
                                        ; implicit-def: $vgpr17_vgpr18
.LBB4_9:
	ds_load_b64 v[17:18], v44
.LBB4_10:
	v_mov_b32_e32 v19, 0
	v_dual_mov_b32 v21, v5 :: v_dual_mov_b32 v26, v10
	v_dual_mov_b32 v25, v9 :: v_dual_mov_b32 v22, v6
	ds_load_b64 v[19:20], v19 offset:24
	s_waitcnt lgkmcnt(0)
	v_mul_f64 v[23:24], v[17:18], v[19:20]
	v_dual_mov_b32 v17, v1 :: v_dual_mov_b32 v20, v4
	v_dual_mov_b32 v18, v2 :: v_dual_mov_b32 v19, v3
.LBB4_11:
	s_or_b32 exec_lo, exec_lo, s1
	v_cmp_lt_u32_e64 s1, 2, v0
	ds_store_b64 v44, v[21:22]
	s_waitcnt lgkmcnt(0)
	s_barrier
	buffer_gl0_inv
	s_and_saveexec_b32 s2, s1
	s_cbranch_execz .LBB4_19
; %bb.12:
	s_and_not1_b32 vcc_lo, exec_lo, s5
	s_cbranch_vccnz .LBB4_14
; %bb.13:
	v_cmp_eq_u32_e32 vcc_lo, 1, v0
	ds_load_b64 v[27:28], v44
	v_dual_cndmask_b32 v29, v18, v20 :: v_dual_cndmask_b32 v30, v17, v19
	v_cmp_eq_u32_e32 vcc_lo, 2, v0
	s_delay_alu instid0(VALU_DEP_2) | instskip(SKIP_1) | instid1(VALU_DEP_2)
	v_dual_cndmask_b32 v22, v29, v22 :: v_dual_cndmask_b32 v21, v30, v21
	v_cmp_eq_u32_e32 vcc_lo, 3, v0
	v_dual_cndmask_b32 v22, v22, v24 :: v_dual_cndmask_b32 v21, v21, v23
	v_cmp_eq_u32_e32 vcc_lo, 4, v0
	s_delay_alu instid0(VALU_DEP_2) | instskip(SKIP_1) | instid1(VALU_DEP_1)
	v_dual_cndmask_b32 v22, v22, v26 :: v_dual_cndmask_b32 v21, v21, v25
	s_waitcnt lgkmcnt(0)
	v_mul_f64 v[21:22], v[21:22], v[27:28]
	s_cbranch_execz .LBB4_15
	s_branch .LBB4_16
.LBB4_14:
                                        ; implicit-def: $vgpr21_vgpr22
.LBB4_15:
	ds_load_b64 v[21:22], v44
.LBB4_16:
	s_and_saveexec_b32 s3, s0
	s_cbranch_execz .LBB4_18
; %bb.17:
	v_mov_b32_e32 v27, 0
	ds_load_b64 v[27:28], v27 offset:72
	s_waitcnt lgkmcnt(0)
	v_fma_f64 v[21:22], v[23:24], v[27:28], v[21:22]
.LBB4_18:
	s_or_b32 exec_lo, exec_lo, s3
	v_mov_b32_e32 v27, 0
	ds_load_b64 v[27:28], v27 offset:16
	s_waitcnt lgkmcnt(0)
	v_mul_f64 v[21:22], v[21:22], v[27:28]
.LBB4_19:
	s_or_b32 exec_lo, exec_lo, s2
	v_cmp_lt_u32_e64 s0, 1, v0
	ds_store_b64 v44, v[19:20]
	s_waitcnt lgkmcnt(0)
	s_barrier
	buffer_gl0_inv
	s_and_saveexec_b32 s4, s0
	s_cbranch_execz .LBB4_35
; %bb.20:
	s_and_not1_b32 vcc_lo, exec_lo, s5
	s_cbranch_vccnz .LBB4_22
; %bb.21:
	v_cmp_eq_u32_e32 vcc_lo, 1, v0
	ds_load_b64 v[27:28], v44
	v_dual_cndmask_b32 v29, v18, v20 :: v_dual_cndmask_b32 v30, v17, v19
	v_cmp_eq_u32_e32 vcc_lo, 2, v0
	s_delay_alu instid0(VALU_DEP_2) | instskip(SKIP_1) | instid1(VALU_DEP_2)
	v_dual_cndmask_b32 v29, v29, v22 :: v_dual_cndmask_b32 v30, v30, v21
	v_cmp_eq_u32_e32 vcc_lo, 3, v0
	v_cndmask_b32_e32 v29, v29, v24, vcc_lo
	s_delay_alu instid0(VALU_DEP_3) | instskip(SKIP_1) | instid1(VALU_DEP_2)
	v_cndmask_b32_e32 v31, v30, v23, vcc_lo
	v_cmp_eq_u32_e32 vcc_lo, 4, v0
	v_dual_cndmask_b32 v30, v29, v26 :: v_dual_cndmask_b32 v29, v31, v25
	s_waitcnt lgkmcnt(0)
	s_delay_alu instid0(VALU_DEP_1)
	v_mul_f64 v[27:28], v[29:30], v[27:28]
	s_cbranch_execz .LBB4_23
	s_branch .LBB4_24
.LBB4_22:
                                        ; implicit-def: $vgpr27_vgpr28
.LBB4_23:
	ds_load_b64 v[27:28], v44
.LBB4_24:
	s_and_saveexec_b32 s6, s1
	s_cbranch_execz .LBB4_34
; %bb.25:
	v_dual_mov_b32 v31, 2 :: v_dual_add_nc_u32 v30, -3, v0
	v_add_nc_u32_e32 v29, -2, v0
	s_mov_b32 s1, exec_lo
	s_delay_alu instid0(VALU_DEP_2)
	v_cmpx_lt_u32_e32 6, v30
	s_cbranch_execz .LBB4_29
; %bb.26:
	s_delay_alu instid0(VALU_DEP_2) | instskip(SKIP_3) | instid1(VALU_DEP_1)
	v_and_b32_e32 v30, -8, v29
	s_mov_b32 s7, 0
	s_mov_b64 s[2:3], 9
	s_mov_b32 s8, 64
	v_sub_nc_u32_e32 v30, 0, v30
.LBB4_27:                               ; =>This Inner Loop Header: Depth=1
	s_add_i32 s9, s2, -7
	s_delay_alu instid0(SALU_CYCLE_1)
	s_cmp_eq_u32 s9, 1
	s_cselect_b32 vcc_lo, -1, 0
	v_dual_mov_b32 v53, s8 :: v_dual_cndmask_b32 v32, v17, v19
	v_cndmask_b32_e32 v31, v18, v20, vcc_lo
	s_cmp_eq_u32 s9, 2
	ds_load_b128 v[45:48], v53
	s_cselect_b32 vcc_lo, -1, 0
	s_cmp_eq_u32 s9, 3
	v_dual_cndmask_b32 v32, v32, v21 :: v_dual_cndmask_b32 v31, v31, v22
	s_cselect_b32 vcc_lo, -1, 0
	s_cmp_eq_u32 s9, 4
	s_delay_alu instid0(VALU_DEP_1) | instskip(NEXT) | instid1(VALU_DEP_2)
	v_cndmask_b32_e32 v31, v31, v24, vcc_lo
	v_cndmask_b32_e32 v49, v32, v23, vcc_lo
	s_cselect_b32 vcc_lo, -1, 0
	s_add_i32 s9, s2, -6
	s_delay_alu instid0(VALU_DEP_1)
	v_dual_cndmask_b32 v32, v31, v26 :: v_dual_cndmask_b32 v31, v49, v25
	ds_load_b128 v[49:52], v53 offset:16
	s_cmp_eq_u32 s9, 1
	s_cselect_b32 vcc_lo, -1, 0
	s_waitcnt lgkmcnt(1)
	v_fma_f64 v[27:28], v[31:32], v[45:46], v[27:28]
	v_dual_cndmask_b32 v31, v18, v20 :: v_dual_cndmask_b32 v32, v17, v19
	s_cmp_eq_u32 s9, 2
	s_cselect_b32 vcc_lo, -1, 0
	s_cmp_eq_u32 s9, 3
	s_delay_alu instid0(VALU_DEP_1) | instskip(SKIP_2) | instid1(VALU_DEP_1)
	v_dual_cndmask_b32 v31, v31, v22 :: v_dual_cndmask_b32 v32, v32, v21
	s_cselect_b32 vcc_lo, -1, 0
	s_cmp_eq_u32 s9, 4
	v_cndmask_b32_e32 v31, v31, v24, vcc_lo
	s_delay_alu instid0(VALU_DEP_2) | instskip(SKIP_2) | instid1(VALU_DEP_1)
	v_cndmask_b32_e32 v45, v32, v23, vcc_lo
	s_cselect_b32 vcc_lo, -1, 0
	s_add_i32 s9, s2, -5
	v_dual_cndmask_b32 v32, v31, v26 :: v_dual_cndmask_b32 v31, v45, v25
	s_cmp_eq_u32 s9, 1
	s_cselect_b32 vcc_lo, -1, 0
	s_cmp_eq_u32 s9, 2
	s_delay_alu instid0(VALU_DEP_1) | instskip(SKIP_3) | instid1(VALU_DEP_1)
	v_fma_f64 v[27:28], v[31:32], v[47:48], v[27:28]
	v_dual_cndmask_b32 v31, v18, v20 :: v_dual_cndmask_b32 v32, v17, v19
	s_cselect_b32 vcc_lo, -1, 0
	s_cmp_eq_u32 s9, 3
	v_dual_cndmask_b32 v31, v31, v22 :: v_dual_cndmask_b32 v32, v32, v21
	s_cselect_b32 vcc_lo, -1, 0
	s_cmp_eq_u32 s9, 4
	s_delay_alu instid0(VALU_DEP_1) | instskip(NEXT) | instid1(VALU_DEP_2)
	v_cndmask_b32_e32 v31, v31, v24, vcc_lo
	v_cndmask_b32_e32 v45, v32, v23, vcc_lo
	s_cselect_b32 vcc_lo, -1, 0
	s_add_i32 s9, s2, -4
	s_delay_alu instid0(VALU_DEP_1)
	v_dual_cndmask_b32 v32, v31, v26 :: v_dual_cndmask_b32 v31, v45, v25
	s_cmp_eq_u32 s9, 1
	s_cselect_b32 vcc_lo, -1, 0
	s_cmp_eq_u32 s9, 2
	s_waitcnt lgkmcnt(0)
	v_fma_f64 v[27:28], v[31:32], v[49:50], v[27:28]
	v_dual_cndmask_b32 v31, v18, v20 :: v_dual_cndmask_b32 v32, v17, v19
	s_cselect_b32 vcc_lo, -1, 0
	s_cmp_eq_u32 s9, 3
	s_delay_alu instid0(VALU_DEP_1) | instskip(SKIP_2) | instid1(VALU_DEP_1)
	v_dual_cndmask_b32 v31, v31, v22 :: v_dual_cndmask_b32 v32, v32, v21
	s_cselect_b32 vcc_lo, -1, 0
	s_cmp_eq_u32 s9, 4
	v_cndmask_b32_e32 v31, v31, v24, vcc_lo
	s_delay_alu instid0(VALU_DEP_2) | instskip(SKIP_2) | instid1(VALU_DEP_1)
	v_cndmask_b32_e32 v45, v32, v23, vcc_lo
	s_cselect_b32 vcc_lo, -1, 0
	s_add_i32 s9, s2, -3
	v_dual_cndmask_b32 v32, v31, v26 :: v_dual_cndmask_b32 v31, v45, v25
	s_cmp_eq_u32 s9, 1
	ds_load_b128 v[45:48], v53 offset:32
	s_cselect_b32 vcc_lo, -1, 0
	s_cmp_eq_u32 s9, 2
	v_fma_f64 v[27:28], v[31:32], v[51:52], v[27:28]
	v_dual_cndmask_b32 v31, v18, v20 :: v_dual_cndmask_b32 v32, v17, v19
	s_cselect_b32 vcc_lo, -1, 0
	s_cmp_eq_u32 s9, 3
	s_delay_alu instid0(VALU_DEP_1) | instskip(SKIP_2) | instid1(VALU_DEP_1)
	v_dual_cndmask_b32 v31, v31, v22 :: v_dual_cndmask_b32 v32, v32, v21
	s_cselect_b32 vcc_lo, -1, 0
	s_cmp_eq_u32 s9, 4
	v_cndmask_b32_e32 v31, v31, v24, vcc_lo
	s_delay_alu instid0(VALU_DEP_2) | instskip(SKIP_2) | instid1(VALU_DEP_1)
	v_cndmask_b32_e32 v49, v32, v23, vcc_lo
	s_cselect_b32 vcc_lo, -1, 0
	s_add_i32 s9, s2, -2
	v_dual_cndmask_b32 v32, v31, v26 :: v_dual_cndmask_b32 v31, v49, v25
	ds_load_b128 v[49:52], v53 offset:48
	s_cmp_eq_u32 s9, 1
	s_cselect_b32 vcc_lo, -1, 0
	s_cmp_eq_u32 s9, 2
	s_waitcnt lgkmcnt(1)
	v_fma_f64 v[27:28], v[31:32], v[45:46], v[27:28]
	v_dual_cndmask_b32 v31, v18, v20 :: v_dual_cndmask_b32 v32, v17, v19
	s_cselect_b32 vcc_lo, -1, 0
	s_cmp_eq_u32 s9, 3
	s_delay_alu instid0(VALU_DEP_1) | instskip(SKIP_2) | instid1(VALU_DEP_1)
	v_dual_cndmask_b32 v31, v31, v22 :: v_dual_cndmask_b32 v32, v32, v21
	s_cselect_b32 vcc_lo, -1, 0
	s_cmp_eq_u32 s9, 4
	v_cndmask_b32_e32 v31, v31, v24, vcc_lo
	s_delay_alu instid0(VALU_DEP_2) | instskip(SKIP_2) | instid1(VALU_DEP_1)
	v_cndmask_b32_e32 v45, v32, v23, vcc_lo
	s_cselect_b32 vcc_lo, -1, 0
	s_add_i32 s9, s2, -1
	v_dual_cndmask_b32 v32, v31, v26 :: v_dual_cndmask_b32 v31, v45, v25
	s_cmp_eq_u32 s9, 1
	s_cselect_b32 vcc_lo, -1, 0
	s_cmp_eq_u32 s9, 2
	s_delay_alu instid0(VALU_DEP_1) | instskip(SKIP_3) | instid1(VALU_DEP_1)
	v_fma_f64 v[27:28], v[31:32], v[47:48], v[27:28]
	v_dual_cndmask_b32 v31, v18, v20 :: v_dual_cndmask_b32 v32, v17, v19
	s_cselect_b32 vcc_lo, -1, 0
	s_cmp_eq_u32 s9, 3
	v_dual_cndmask_b32 v31, v31, v22 :: v_dual_cndmask_b32 v32, v32, v21
	s_cselect_b32 vcc_lo, -1, 0
	s_cmp_eq_u32 s9, 4
	s_delay_alu instid0(VALU_DEP_1) | instskip(NEXT) | instid1(VALU_DEP_2)
	v_cndmask_b32_e32 v31, v31, v24, vcc_lo
	v_cndmask_b32_e32 v45, v32, v23, vcc_lo
	s_cselect_b32 vcc_lo, -1, 0
	s_cmp_eq_u32 s2, 1
	s_delay_alu instid0(VALU_DEP_1) | instskip(SKIP_3) | instid1(VALU_DEP_1)
	v_dual_cndmask_b32 v32, v31, v26 :: v_dual_cndmask_b32 v31, v45, v25
	s_cselect_b32 vcc_lo, -1, 0
	s_cmp_eq_u32 s2, 2
	s_waitcnt lgkmcnt(0)
	v_fma_f64 v[27:28], v[31:32], v[49:50], v[27:28]
	v_dual_cndmask_b32 v31, v18, v20 :: v_dual_cndmask_b32 v32, v17, v19
	s_cselect_b32 vcc_lo, -1, 0
	s_cmp_eq_u32 s2, 3
	s_delay_alu instid0(VALU_DEP_1) | instskip(SKIP_2) | instid1(VALU_DEP_1)
	v_dual_cndmask_b32 v31, v31, v22 :: v_dual_cndmask_b32 v32, v32, v21
	s_cselect_b32 vcc_lo, -1, 0
	s_cmp_eq_u32 s2, 4
	v_cndmask_b32_e32 v31, v31, v24, vcc_lo
	s_delay_alu instid0(VALU_DEP_2) | instskip(SKIP_3) | instid1(VALU_DEP_1)
	v_cndmask_b32_e32 v45, v32, v23, vcc_lo
	s_cselect_b32 vcc_lo, -1, 0
	s_add_u32 s2, s2, 8
	s_addc_u32 s3, s3, 0
	v_dual_cndmask_b32 v32, v31, v26 :: v_dual_cndmask_b32 v31, v45, v25
	s_add_i32 s9, s2, -7
	s_add_i32 s8, s8, 64
	s_delay_alu instid0(VALU_DEP_1) | instskip(SKIP_1) | instid1(VALU_DEP_1)
	v_fma_f64 v[27:28], v[31:32], v[51:52], v[27:28]
	v_add_nc_u32_e32 v31, s2, v30
	v_cmp_eq_u32_e32 vcc_lo, 9, v31
	v_mov_b32_e32 v31, s9
	s_or_b32 s7, vcc_lo, s7
	s_delay_alu instid0(SALU_CYCLE_1)
	s_and_not1_b32 exec_lo, exec_lo, s7
	s_cbranch_execnz .LBB4_27
; %bb.28:
	s_or_b32 exec_lo, exec_lo, s7
.LBB4_29:
	s_delay_alu instid0(SALU_CYCLE_1) | instskip(SKIP_3) | instid1(VALU_DEP_1)
	s_or_b32 exec_lo, exec_lo, s1
	v_and_b32_e32 v29, 7, v29
	s_mov_b32 s3, 0
	s_mov_b32 s2, exec_lo
	v_cmpx_ne_u32_e32 0, v29
	s_cbranch_execz .LBB4_33
; %bb.30:
	v_lshl_add_u32 v30, v31, 3, 48
	v_mov_b32_e32 v32, 0
	.p2align	6
.LBB4_31:                               ; =>This Inner Loop Header: Depth=1
	v_cmp_eq_u32_e32 vcc_lo, 1, v31
	ds_load_b64 v[45:46], v30
	v_cmp_eq_u32_e64 s1, 2, v31
	v_add_nc_u32_e32 v29, -1, v29
	v_dual_cndmask_b32 v47, v18, v20 :: v_dual_add_nc_u32 v30, 8, v30
	v_cndmask_b32_e32 v48, v17, v19, vcc_lo
	v_cmp_eq_u32_e32 vcc_lo, 3, v31
	s_delay_alu instid0(VALU_DEP_3) | instskip(NEXT) | instid1(VALU_DEP_3)
	v_cndmask_b32_e64 v47, v47, v22, s1
	v_cndmask_b32_e64 v48, v48, v21, s1
	v_cmp_eq_u32_e64 s1, 4, v31
	s_delay_alu instid0(VALU_DEP_3) | instskip(NEXT) | instid1(VALU_DEP_3)
	v_cndmask_b32_e32 v47, v47, v24, vcc_lo
	v_cndmask_b32_e32 v49, v48, v23, vcc_lo
	v_cmp_eq_u32_e32 vcc_lo, 0, v29
	s_delay_alu instid0(VALU_DEP_3) | instskip(NEXT) | instid1(VALU_DEP_3)
	v_cndmask_b32_e64 v48, v47, v26, s1
	v_cndmask_b32_e64 v47, v49, v25, s1
	v_add_co_u32 v31, s1, v31, 1
	s_delay_alu instid0(VALU_DEP_1) | instskip(SKIP_1) | instid1(VALU_DEP_3)
	v_add_co_ci_u32_e64 v32, s1, 0, v32, s1
	s_waitcnt lgkmcnt(0)
	v_fma_f64 v[27:28], v[47:48], v[45:46], v[27:28]
	s_or_b32 s3, vcc_lo, s3
	s_delay_alu instid0(SALU_CYCLE_1)
	s_and_not1_b32 exec_lo, exec_lo, s3
	s_cbranch_execnz .LBB4_31
; %bb.32:
	s_or_b32 exec_lo, exec_lo, s3
.LBB4_33:
	s_delay_alu instid0(SALU_CYCLE_1)
	s_or_b32 exec_lo, exec_lo, s2
.LBB4_34:
	s_delay_alu instid0(SALU_CYCLE_1)
	s_or_b32 exec_lo, exec_lo, s6
	v_mov_b32_e32 v19, 0
	ds_load_b64 v[19:20], v19 offset:8
	s_waitcnt lgkmcnt(0)
	v_mul_f64 v[19:20], v[27:28], v[19:20]
.LBB4_35:
	s_or_b32 exec_lo, exec_lo, s4
	s_mov_b32 s2, 0
	s_mov_b32 s3, exec_lo
	ds_store_b64 v44, v[17:18]
	s_waitcnt lgkmcnt(0)
	s_barrier
	buffer_gl0_inv
	v_cmpx_ne_u32_e32 0, v0
	s_cbranch_execz .LBB4_51
; %bb.36:
	s_and_not1_b32 vcc_lo, exec_lo, s5
	s_cbranch_vccnz .LBB4_38
; %bb.37:
	v_cmp_eq_u32_e32 vcc_lo, 1, v0
	ds_load_b64 v[27:28], v44
	v_dual_cndmask_b32 v29, v18, v20 :: v_dual_cndmask_b32 v30, v17, v19
	v_cmp_eq_u32_e32 vcc_lo, 2, v0
	s_delay_alu instid0(VALU_DEP_2) | instskip(SKIP_1) | instid1(VALU_DEP_2)
	v_dual_cndmask_b32 v29, v29, v22 :: v_dual_cndmask_b32 v30, v30, v21
	v_cmp_eq_u32_e32 vcc_lo, 3, v0
	v_cndmask_b32_e32 v29, v29, v24, vcc_lo
	s_delay_alu instid0(VALU_DEP_3) | instskip(SKIP_1) | instid1(VALU_DEP_2)
	v_cndmask_b32_e32 v31, v30, v23, vcc_lo
	v_cmp_eq_u32_e32 vcc_lo, 4, v0
	v_dual_cndmask_b32 v30, v29, v26 :: v_dual_cndmask_b32 v29, v31, v25
	s_waitcnt lgkmcnt(0)
	s_delay_alu instid0(VALU_DEP_1)
	v_mul_f64 v[27:28], v[29:30], v[27:28]
	s_cbranch_execz .LBB4_39
	s_branch .LBB4_40
.LBB4_38:
                                        ; implicit-def: $vgpr27_vgpr28
.LBB4_39:
	ds_load_b64 v[27:28], v44
.LBB4_40:
	s_and_saveexec_b32 s4, s0
	s_cbranch_execz .LBB4_50
; %bb.41:
	v_dual_mov_b32 v31, 1 :: v_dual_add_nc_u32 v30, -2, v0
	v_add_nc_u32_e32 v29, -1, v0
	s_mov_b32 s6, exec_lo
	s_delay_alu instid0(VALU_DEP_2)
	v_cmpx_lt_u32_e32 6, v30
	s_cbranch_execz .LBB4_45
; %bb.42:
	s_delay_alu instid0(VALU_DEP_2) | instskip(SKIP_3) | instid1(VALU_DEP_1)
	v_and_b32_e32 v30, -8, v29
	s_mov_b32 s7, 0
	s_mov_b64 s[0:1], 8
	s_mov_b32 s8, 56
	v_sub_nc_u32_e32 v30, 0, v30
.LBB4_43:                               ; =>This Inner Loop Header: Depth=1
	s_add_i32 s9, s0, -7
	s_delay_alu instid0(SALU_CYCLE_1)
	s_cmp_eq_u32 s9, 1
	s_cselect_b32 vcc_lo, -1, 0
	v_dual_mov_b32 v53, s8 :: v_dual_cndmask_b32 v32, v17, v19
	v_cndmask_b32_e32 v31, v18, v20, vcc_lo
	s_cmp_eq_u32 s9, 2
	ds_load_2addr_b64 v[45:48], v53 offset1:1
	s_cselect_b32 vcc_lo, -1, 0
	s_cmp_eq_u32 s9, 3
	v_dual_cndmask_b32 v32, v32, v21 :: v_dual_cndmask_b32 v31, v31, v22
	s_cselect_b32 vcc_lo, -1, 0
	s_cmp_eq_u32 s9, 4
	s_delay_alu instid0(VALU_DEP_1) | instskip(NEXT) | instid1(VALU_DEP_2)
	v_cndmask_b32_e32 v31, v31, v24, vcc_lo
	v_cndmask_b32_e32 v49, v32, v23, vcc_lo
	s_cselect_b32 vcc_lo, -1, 0
	s_add_i32 s9, s0, -6
	s_delay_alu instid0(VALU_DEP_1)
	v_dual_cndmask_b32 v32, v31, v26 :: v_dual_cndmask_b32 v31, v49, v25
	ds_load_2addr_b64 v[49:52], v53 offset0:2 offset1:3
	s_cmp_eq_u32 s9, 1
	s_cselect_b32 vcc_lo, -1, 0
	s_waitcnt lgkmcnt(1)
	v_fma_f64 v[27:28], v[31:32], v[45:46], v[27:28]
	v_dual_cndmask_b32 v31, v18, v20 :: v_dual_cndmask_b32 v32, v17, v19
	s_cmp_eq_u32 s9, 2
	s_cselect_b32 vcc_lo, -1, 0
	s_cmp_eq_u32 s9, 3
	s_delay_alu instid0(VALU_DEP_1) | instskip(SKIP_2) | instid1(VALU_DEP_1)
	v_dual_cndmask_b32 v31, v31, v22 :: v_dual_cndmask_b32 v32, v32, v21
	s_cselect_b32 vcc_lo, -1, 0
	s_cmp_eq_u32 s9, 4
	v_cndmask_b32_e32 v31, v31, v24, vcc_lo
	s_delay_alu instid0(VALU_DEP_2) | instskip(SKIP_2) | instid1(VALU_DEP_1)
	v_cndmask_b32_e32 v45, v32, v23, vcc_lo
	s_cselect_b32 vcc_lo, -1, 0
	s_add_i32 s9, s0, -5
	v_dual_cndmask_b32 v32, v31, v26 :: v_dual_cndmask_b32 v31, v45, v25
	s_cmp_eq_u32 s9, 1
	s_cselect_b32 vcc_lo, -1, 0
	s_cmp_eq_u32 s9, 2
	s_delay_alu instid0(VALU_DEP_1) | instskip(SKIP_3) | instid1(VALU_DEP_1)
	v_fma_f64 v[27:28], v[31:32], v[47:48], v[27:28]
	v_dual_cndmask_b32 v31, v18, v20 :: v_dual_cndmask_b32 v32, v17, v19
	s_cselect_b32 vcc_lo, -1, 0
	s_cmp_eq_u32 s9, 3
	v_dual_cndmask_b32 v31, v31, v22 :: v_dual_cndmask_b32 v32, v32, v21
	s_cselect_b32 vcc_lo, -1, 0
	s_cmp_eq_u32 s9, 4
	s_delay_alu instid0(VALU_DEP_1) | instskip(NEXT) | instid1(VALU_DEP_2)
	v_cndmask_b32_e32 v31, v31, v24, vcc_lo
	v_cndmask_b32_e32 v45, v32, v23, vcc_lo
	s_cselect_b32 vcc_lo, -1, 0
	s_add_i32 s9, s0, -4
	s_delay_alu instid0(VALU_DEP_1)
	v_dual_cndmask_b32 v32, v31, v26 :: v_dual_cndmask_b32 v31, v45, v25
	s_cmp_eq_u32 s9, 1
	s_cselect_b32 vcc_lo, -1, 0
	s_cmp_eq_u32 s9, 2
	s_waitcnt lgkmcnt(0)
	v_fma_f64 v[27:28], v[31:32], v[49:50], v[27:28]
	v_dual_cndmask_b32 v31, v18, v20 :: v_dual_cndmask_b32 v32, v17, v19
	s_cselect_b32 vcc_lo, -1, 0
	s_cmp_eq_u32 s9, 3
	s_delay_alu instid0(VALU_DEP_1) | instskip(SKIP_2) | instid1(VALU_DEP_1)
	v_dual_cndmask_b32 v31, v31, v22 :: v_dual_cndmask_b32 v32, v32, v21
	s_cselect_b32 vcc_lo, -1, 0
	s_cmp_eq_u32 s9, 4
	v_cndmask_b32_e32 v31, v31, v24, vcc_lo
	s_delay_alu instid0(VALU_DEP_2) | instskip(SKIP_2) | instid1(VALU_DEP_1)
	v_cndmask_b32_e32 v45, v32, v23, vcc_lo
	s_cselect_b32 vcc_lo, -1, 0
	s_add_i32 s9, s0, -3
	v_dual_cndmask_b32 v32, v31, v26 :: v_dual_cndmask_b32 v31, v45, v25
	s_cmp_eq_u32 s9, 1
	ds_load_2addr_b64 v[45:48], v53 offset0:4 offset1:5
	s_cselect_b32 vcc_lo, -1, 0
	s_cmp_eq_u32 s9, 2
	v_fma_f64 v[27:28], v[31:32], v[51:52], v[27:28]
	v_dual_cndmask_b32 v31, v18, v20 :: v_dual_cndmask_b32 v32, v17, v19
	s_cselect_b32 vcc_lo, -1, 0
	s_cmp_eq_u32 s9, 3
	s_delay_alu instid0(VALU_DEP_1) | instskip(SKIP_2) | instid1(VALU_DEP_1)
	v_dual_cndmask_b32 v31, v31, v22 :: v_dual_cndmask_b32 v32, v32, v21
	s_cselect_b32 vcc_lo, -1, 0
	s_cmp_eq_u32 s9, 4
	v_cndmask_b32_e32 v31, v31, v24, vcc_lo
	s_delay_alu instid0(VALU_DEP_2) | instskip(SKIP_2) | instid1(VALU_DEP_1)
	v_cndmask_b32_e32 v49, v32, v23, vcc_lo
	s_cselect_b32 vcc_lo, -1, 0
	s_add_i32 s9, s0, -2
	v_dual_cndmask_b32 v32, v31, v26 :: v_dual_cndmask_b32 v31, v49, v25
	ds_load_2addr_b64 v[49:52], v53 offset0:6 offset1:7
	s_cmp_eq_u32 s9, 1
	s_cselect_b32 vcc_lo, -1, 0
	s_cmp_eq_u32 s9, 2
	s_waitcnt lgkmcnt(1)
	v_fma_f64 v[27:28], v[31:32], v[45:46], v[27:28]
	v_dual_cndmask_b32 v31, v18, v20 :: v_dual_cndmask_b32 v32, v17, v19
	s_cselect_b32 vcc_lo, -1, 0
	s_cmp_eq_u32 s9, 3
	s_delay_alu instid0(VALU_DEP_1) | instskip(SKIP_2) | instid1(VALU_DEP_1)
	v_dual_cndmask_b32 v31, v31, v22 :: v_dual_cndmask_b32 v32, v32, v21
	s_cselect_b32 vcc_lo, -1, 0
	s_cmp_eq_u32 s9, 4
	v_cndmask_b32_e32 v31, v31, v24, vcc_lo
	s_delay_alu instid0(VALU_DEP_2) | instskip(SKIP_2) | instid1(VALU_DEP_1)
	v_cndmask_b32_e32 v45, v32, v23, vcc_lo
	s_cselect_b32 vcc_lo, -1, 0
	s_add_i32 s9, s0, -1
	v_dual_cndmask_b32 v32, v31, v26 :: v_dual_cndmask_b32 v31, v45, v25
	s_cmp_eq_u32 s9, 1
	s_cselect_b32 vcc_lo, -1, 0
	s_cmp_eq_u32 s9, 2
	s_delay_alu instid0(VALU_DEP_1) | instskip(SKIP_3) | instid1(VALU_DEP_1)
	v_fma_f64 v[27:28], v[31:32], v[47:48], v[27:28]
	v_dual_cndmask_b32 v31, v18, v20 :: v_dual_cndmask_b32 v32, v17, v19
	s_cselect_b32 vcc_lo, -1, 0
	s_cmp_eq_u32 s9, 3
	v_dual_cndmask_b32 v31, v31, v22 :: v_dual_cndmask_b32 v32, v32, v21
	s_cselect_b32 vcc_lo, -1, 0
	s_cmp_eq_u32 s9, 4
	s_delay_alu instid0(VALU_DEP_1) | instskip(NEXT) | instid1(VALU_DEP_2)
	v_cndmask_b32_e32 v31, v31, v24, vcc_lo
	v_cndmask_b32_e32 v45, v32, v23, vcc_lo
	s_cselect_b32 vcc_lo, -1, 0
	s_cmp_eq_u32 s0, 1
	s_delay_alu instid0(VALU_DEP_1) | instskip(SKIP_3) | instid1(VALU_DEP_1)
	v_dual_cndmask_b32 v32, v31, v26 :: v_dual_cndmask_b32 v31, v45, v25
	s_cselect_b32 vcc_lo, -1, 0
	s_cmp_eq_u32 s0, 2
	s_waitcnt lgkmcnt(0)
	v_fma_f64 v[27:28], v[31:32], v[49:50], v[27:28]
	v_dual_cndmask_b32 v31, v18, v20 :: v_dual_cndmask_b32 v32, v17, v19
	s_cselect_b32 vcc_lo, -1, 0
	s_cmp_eq_u32 s0, 3
	s_delay_alu instid0(VALU_DEP_1) | instskip(SKIP_2) | instid1(VALU_DEP_1)
	v_dual_cndmask_b32 v31, v31, v22 :: v_dual_cndmask_b32 v32, v32, v21
	s_cselect_b32 vcc_lo, -1, 0
	s_cmp_eq_u32 s0, 4
	v_cndmask_b32_e32 v31, v31, v24, vcc_lo
	s_delay_alu instid0(VALU_DEP_2) | instskip(SKIP_3) | instid1(VALU_DEP_1)
	v_cndmask_b32_e32 v45, v32, v23, vcc_lo
	s_cselect_b32 vcc_lo, -1, 0
	s_add_u32 s0, s0, 8
	s_addc_u32 s1, s1, 0
	v_dual_cndmask_b32 v32, v31, v26 :: v_dual_cndmask_b32 v31, v45, v25
	s_add_i32 s9, s0, -7
	s_add_i32 s8, s8, 64
	s_delay_alu instid0(VALU_DEP_1) | instskip(SKIP_1) | instid1(VALU_DEP_1)
	v_fma_f64 v[27:28], v[31:32], v[51:52], v[27:28]
	v_add_nc_u32_e32 v31, s0, v30
	v_cmp_eq_u32_e32 vcc_lo, 8, v31
	v_mov_b32_e32 v31, s9
	s_or_b32 s7, vcc_lo, s7
	s_delay_alu instid0(SALU_CYCLE_1)
	s_and_not1_b32 exec_lo, exec_lo, s7
	s_cbranch_execnz .LBB4_43
; %bb.44:
	s_or_b32 exec_lo, exec_lo, s7
.LBB4_45:
	s_delay_alu instid0(SALU_CYCLE_1) | instskip(SKIP_3) | instid1(VALU_DEP_1)
	s_or_b32 exec_lo, exec_lo, s6
	v_and_b32_e32 v29, 7, v29
	s_mov_b32 s6, 0
	s_mov_b32 s1, exec_lo
	v_cmpx_ne_u32_e32 0, v29
	s_cbranch_execz .LBB4_49
; %bb.46:
	v_lshl_add_u32 v30, v31, 3, 48
	v_mov_b32_e32 v32, 0
	.p2align	6
.LBB4_47:                               ; =>This Inner Loop Header: Depth=1
	v_cmp_eq_u32_e32 vcc_lo, 1, v31
	ds_load_b64 v[45:46], v30
	v_cmp_eq_u32_e64 s0, 2, v31
	v_add_nc_u32_e32 v29, -1, v29
	v_dual_cndmask_b32 v47, v18, v20 :: v_dual_add_nc_u32 v30, 8, v30
	v_cndmask_b32_e32 v48, v17, v19, vcc_lo
	v_cmp_eq_u32_e32 vcc_lo, 3, v31
	s_delay_alu instid0(VALU_DEP_3) | instskip(NEXT) | instid1(VALU_DEP_3)
	v_cndmask_b32_e64 v47, v47, v22, s0
	v_cndmask_b32_e64 v48, v48, v21, s0
	v_cmp_eq_u32_e64 s0, 4, v31
	s_delay_alu instid0(VALU_DEP_3) | instskip(NEXT) | instid1(VALU_DEP_3)
	v_cndmask_b32_e32 v47, v47, v24, vcc_lo
	v_cndmask_b32_e32 v49, v48, v23, vcc_lo
	v_cmp_eq_u32_e32 vcc_lo, 0, v29
	s_delay_alu instid0(VALU_DEP_3) | instskip(NEXT) | instid1(VALU_DEP_3)
	v_cndmask_b32_e64 v48, v47, v26, s0
	v_cndmask_b32_e64 v47, v49, v25, s0
	v_add_co_u32 v31, s0, v31, 1
	s_delay_alu instid0(VALU_DEP_1) | instskip(SKIP_1) | instid1(VALU_DEP_3)
	v_add_co_ci_u32_e64 v32, s0, 0, v32, s0
	s_waitcnt lgkmcnt(0)
	v_fma_f64 v[27:28], v[47:48], v[45:46], v[27:28]
	s_or_b32 s6, vcc_lo, s6
	s_delay_alu instid0(SALU_CYCLE_1)
	s_and_not1_b32 exec_lo, exec_lo, s6
	s_cbranch_execnz .LBB4_47
; %bb.48:
	s_or_b32 exec_lo, exec_lo, s6
.LBB4_49:
	s_delay_alu instid0(SALU_CYCLE_1)
	s_or_b32 exec_lo, exec_lo, s1
.LBB4_50:
	s_delay_alu instid0(SALU_CYCLE_1)
	s_or_b32 exec_lo, exec_lo, s4
	v_mov_b32_e32 v17, 0
	ds_load_b64 v[17:18], v17
	s_waitcnt lgkmcnt(0)
	v_mul_f64 v[17:18], v[27:28], v[17:18]
.LBB4_51:
	s_or_b32 exec_lo, exec_lo, s3
	s_delay_alu instid0(SALU_CYCLE_1)
	s_and_b32 vcc_lo, exec_lo, s2
	s_cbranch_vccz .LBB4_87
.LBB4_52:
	v_cmp_eq_u32_e64 s0, 0, v0
	s_waitcnt vmcnt(3)
	ds_store_b64 v44, v[3:4]
	s_waitcnt vmcnt(0) lgkmcnt(0)
	s_barrier
	buffer_gl0_inv
	s_and_saveexec_b32 s1, s0
	s_cbranch_execz .LBB4_58
; %bb.53:
	s_and_b32 vcc_lo, exec_lo, s5
	s_cbranch_vccz .LBB4_55
; %bb.54:
	v_cmp_eq_u32_e32 vcc_lo, 1, v0
	v_dual_cndmask_b32 v11, v2, v4 :: v_dual_cndmask_b32 v12, v1, v3
	v_cmp_eq_u32_e32 vcc_lo, 2, v0
	ds_load_b64 v[3:4], v44
	v_dual_cndmask_b32 v11, v11, v6 :: v_dual_cndmask_b32 v12, v12, v5
	v_cmp_eq_u32_e32 vcc_lo, 3, v0
	s_delay_alu instid0(VALU_DEP_2) | instskip(NEXT) | instid1(VALU_DEP_3)
	v_cndmask_b32_e32 v11, v11, v8, vcc_lo
	v_cndmask_b32_e32 v13, v12, v7, vcc_lo
	v_cmp_eq_u32_e32 vcc_lo, 4, v0
	s_delay_alu instid0(VALU_DEP_2) | instskip(SKIP_1) | instid1(VALU_DEP_1)
	v_dual_cndmask_b32 v12, v11, v10 :: v_dual_cndmask_b32 v11, v13, v9
	s_waitcnt lgkmcnt(0)
	v_mul_f64 v[3:4], v[11:12], v[3:4]
	s_cbranch_execz .LBB4_56
	s_branch .LBB4_57
.LBB4_55:
                                        ; implicit-def: $vgpr3_vgpr4
.LBB4_56:
	ds_load_b64 v[3:4], v44
.LBB4_57:
	v_mov_b32_e32 v11, 0
	ds_load_b64 v[11:12], v11 offset:8
	s_waitcnt lgkmcnt(0)
	v_mul_f64 v[3:4], v[3:4], v[11:12]
.LBB4_58:
	s_or_b32 exec_lo, exec_lo, s1
	v_add_nc_u32_e32 v18, 1, v0
	v_cndmask_b32_e64 v17, 0, 1, s5
	s_mov_b32 s1, exec_lo
	ds_store_b64 v44, v[5:6]
	s_waitcnt lgkmcnt(0)
	s_barrier
	buffer_gl0_inv
	v_cmpx_gt_u32_e32 2, v0
	s_cbranch_execz .LBB4_66
; %bb.59:
	s_and_not1_b32 vcc_lo, exec_lo, s5
	s_cbranch_vccnz .LBB4_61
; %bb.60:
	v_cmp_eq_u32_e32 vcc_lo, 1, v0
	ds_load_b64 v[11:12], v44
	v_dual_cndmask_b32 v13, v2, v4 :: v_dual_cndmask_b32 v14, v1, v3
	v_cmp_eq_u32_e32 vcc_lo, 2, v0
	s_delay_alu instid0(VALU_DEP_2) | instskip(SKIP_1) | instid1(VALU_DEP_2)
	v_dual_cndmask_b32 v13, v13, v6 :: v_dual_cndmask_b32 v14, v14, v5
	v_cmp_eq_u32_e32 vcc_lo, 3, v0
	v_cndmask_b32_e32 v13, v13, v8, vcc_lo
	s_delay_alu instid0(VALU_DEP_3) | instskip(SKIP_1) | instid1(VALU_DEP_2)
	v_cndmask_b32_e32 v15, v14, v7, vcc_lo
	v_cmp_eq_u32_e32 vcc_lo, 4, v0
	v_dual_cndmask_b32 v14, v13, v10 :: v_dual_cndmask_b32 v13, v15, v9
	s_waitcnt lgkmcnt(0)
	s_delay_alu instid0(VALU_DEP_1)
	v_mul_f64 v[11:12], v[13:14], v[11:12]
	s_cbranch_execz .LBB4_62
	s_branch .LBB4_63
.LBB4_61:
                                        ; implicit-def: $vgpr11_vgpr12
.LBB4_62:
	ds_load_b64 v[11:12], v44
.LBB4_63:
	s_and_saveexec_b32 s2, s0
	s_cbranch_execz .LBB4_65
; %bb.64:
	v_cmp_eq_u32_e32 vcc_lo, 1, v18
	ds_load_b64 v[13:14], v44 offset:8
	v_dual_cndmask_b32 v15, v2, v4 :: v_dual_cndmask_b32 v16, v1, v3
	v_cmp_eq_u32_e32 vcc_lo, 2, v18
	s_delay_alu instid0(VALU_DEP_2) | instskip(SKIP_1) | instid1(VALU_DEP_2)
	v_dual_cndmask_b32 v6, v15, v6 :: v_dual_cndmask_b32 v5, v16, v5
	v_cmp_eq_u32_e32 vcc_lo, 3, v18
	v_dual_cndmask_b32 v6, v6, v8 :: v_dual_cndmask_b32 v5, v5, v7
	v_cmp_eq_u32_e32 vcc_lo, 4, v18
	s_delay_alu instid0(VALU_DEP_2) | instskip(SKIP_1) | instid1(VALU_DEP_1)
	v_dual_cndmask_b32 v6, v6, v10 :: v_dual_cndmask_b32 v5, v5, v9
	s_waitcnt lgkmcnt(0)
	v_fma_f64 v[11:12], v[5:6], v[13:14], v[11:12]
.LBB4_65:
	s_or_b32 exec_lo, exec_lo, s2
	v_mov_b32_e32 v5, 0
	ds_load_b64 v[5:6], v5 offset:16
	s_waitcnt lgkmcnt(0)
	v_mul_f64 v[5:6], v[11:12], v[5:6]
.LBB4_66:
	s_or_b32 exec_lo, exec_lo, s1
	v_cmp_gt_u32_e64 s1, 3, v0
	ds_store_b64 v44, v[7:8]
	s_waitcnt lgkmcnt(0)
	s_barrier
	buffer_gl0_inv
	s_and_saveexec_b32 s2, s1
	s_cbranch_execz .LBB4_76
; %bb.67:
	v_cmp_ne_u32_e32 vcc_lo, 1, v17
	s_cbranch_vccnz .LBB4_69
; %bb.68:
	v_cmp_eq_u32_e32 vcc_lo, 1, v0
	ds_load_b64 v[11:12], v44
	v_dual_cndmask_b32 v13, v2, v4 :: v_dual_cndmask_b32 v14, v1, v3
	v_cmp_eq_u32_e32 vcc_lo, 2, v0
	s_delay_alu instid0(VALU_DEP_2) | instskip(SKIP_1) | instid1(VALU_DEP_2)
	v_dual_cndmask_b32 v13, v13, v6 :: v_dual_cndmask_b32 v14, v14, v5
	v_cmp_eq_u32_e32 vcc_lo, 3, v0
	v_cndmask_b32_e32 v13, v13, v8, vcc_lo
	s_delay_alu instid0(VALU_DEP_3) | instskip(SKIP_1) | instid1(VALU_DEP_2)
	v_cndmask_b32_e32 v15, v14, v7, vcc_lo
	v_cmp_eq_u32_e32 vcc_lo, 4, v0
	v_dual_cndmask_b32 v14, v13, v10 :: v_dual_cndmask_b32 v13, v15, v9
	s_waitcnt lgkmcnt(0)
	s_delay_alu instid0(VALU_DEP_1)
	v_mul_f64 v[11:12], v[13:14], v[11:12]
	s_cbranch_execz .LBB4_70
	s_branch .LBB4_71
.LBB4_69:
                                        ; implicit-def: $vgpr11_vgpr12
.LBB4_70:
	ds_load_b64 v[11:12], v44
.LBB4_71:
	s_mov_b32 s3, exec_lo
	v_cmpx_ne_u32_e32 2, v0
	s_cbranch_execz .LBB4_75
; %bb.72:
	v_cmp_eq_u32_e32 vcc_lo, 1, v18
	ds_load_b64 v[13:14], v44 offset:8
	v_dual_cndmask_b32 v15, v2, v4 :: v_dual_cndmask_b32 v16, v1, v3
	v_cmp_eq_u32_e32 vcc_lo, 2, v18
	s_delay_alu instid0(VALU_DEP_2) | instskip(SKIP_1) | instid1(VALU_DEP_2)
	v_dual_cndmask_b32 v15, v15, v6 :: v_dual_cndmask_b32 v16, v16, v5
	v_cmp_eq_u32_e32 vcc_lo, 3, v18
	v_dual_cndmask_b32 v8, v15, v8 :: v_dual_cndmask_b32 v7, v16, v7
	v_cmp_eq_u32_e32 vcc_lo, 4, v18
	s_delay_alu instid0(VALU_DEP_2) | instskip(SKIP_1) | instid1(VALU_DEP_1)
	v_dual_cndmask_b32 v8, v8, v10 :: v_dual_cndmask_b32 v7, v7, v9
	s_waitcnt lgkmcnt(0)
	v_fma_f64 v[11:12], v[7:8], v[13:14], v[11:12]
	s_and_saveexec_b32 s4, s0
	s_cbranch_execz .LBB4_74
; %bb.73:
	v_mov_b32_e32 v7, 0
	ds_load_b64 v[7:8], v7 offset:64
	s_waitcnt lgkmcnt(0)
	v_fma_f64 v[11:12], v[5:6], v[7:8], v[11:12]
.LBB4_74:
	s_or_b32 exec_lo, exec_lo, s4
.LBB4_75:
	s_delay_alu instid0(SALU_CYCLE_1)
	s_or_b32 exec_lo, exec_lo, s3
	v_mov_b32_e32 v7, 0
	ds_load_b64 v[7:8], v7 offset:24
	s_waitcnt lgkmcnt(0)
	v_mul_f64 v[7:8], v[11:12], v[7:8]
.LBB4_76:
	s_or_b32 exec_lo, exec_lo, s2
	s_delay_alu instid0(SALU_CYCLE_1)
	s_mov_b32 s2, exec_lo
	ds_store_b64 v44, v[9:10]
	s_waitcnt lgkmcnt(0)
	s_barrier
	buffer_gl0_inv
	v_cmpx_ne_u32_e32 4, v0
	s_cbranch_execz .LBB4_86
; %bb.77:
	v_cmp_ne_u32_e32 vcc_lo, 1, v17
	s_cbranch_vccnz .LBB4_79
; %bb.78:
	v_cmp_eq_u32_e32 vcc_lo, 1, v0
	ds_load_b64 v[11:12], v44
	v_dual_cndmask_b32 v13, v2, v4 :: v_dual_cndmask_b32 v14, v1, v3
	v_cmp_eq_u32_e32 vcc_lo, 2, v0
	s_delay_alu instid0(VALU_DEP_2) | instskip(SKIP_1) | instid1(VALU_DEP_2)
	v_dual_cndmask_b32 v13, v13, v6 :: v_dual_cndmask_b32 v14, v14, v5
	v_cmp_eq_u32_e32 vcc_lo, 3, v0
	v_cndmask_b32_e32 v13, v13, v8, vcc_lo
	s_delay_alu instid0(VALU_DEP_3) | instskip(SKIP_1) | instid1(VALU_DEP_2)
	v_cndmask_b32_e32 v15, v14, v7, vcc_lo
	v_cmp_eq_u32_e32 vcc_lo, 4, v0
	v_dual_cndmask_b32 v14, v13, v10 :: v_dual_cndmask_b32 v13, v15, v9
	s_waitcnt lgkmcnt(0)
	s_delay_alu instid0(VALU_DEP_1)
	v_mul_f64 v[11:12], v[13:14], v[11:12]
	s_cbranch_execz .LBB4_80
	s_branch .LBB4_81
.LBB4_79:
                                        ; implicit-def: $vgpr11_vgpr12
.LBB4_80:
	ds_load_b64 v[11:12], v44
.LBB4_81:
	s_and_saveexec_b32 s3, s1
	s_cbranch_execz .LBB4_85
; %bb.82:
	v_lshl_add_u32 v13, v0, 3, 56
	s_mov_b32 s1, 0
	.p2align	6
.LBB4_83:                               ; =>This Inner Loop Header: Depth=1
	v_add_co_u32 v0, vcc_lo, v0, 1
	v_add_co_ci_u32_e32 v43, vcc_lo, 0, v43, vcc_lo
	ds_load_b64 v[14:15], v13
	v_cmp_eq_u32_e32 vcc_lo, 1, v0
	v_cmp_eq_u32_e64 s0, 2, v0
	v_dual_cndmask_b32 v16, v2, v4 :: v_dual_add_nc_u32 v13, 8, v13
	v_cndmask_b32_e32 v17, v1, v3, vcc_lo
	v_cmp_eq_u32_e32 vcc_lo, 3, v0
	s_delay_alu instid0(VALU_DEP_3) | instskip(NEXT) | instid1(VALU_DEP_3)
	v_cndmask_b32_e64 v16, v16, v6, s0
	v_cndmask_b32_e64 v17, v17, v5, s0
	v_cmp_eq_u32_e64 s0, 4, v0
	s_delay_alu instid0(VALU_DEP_3) | instskip(NEXT) | instid1(VALU_DEP_3)
	v_cndmask_b32_e32 v16, v16, v8, vcc_lo
	v_cndmask_b32_e32 v18, v17, v7, vcc_lo
	v_cmp_lt_u32_e32 vcc_lo, 2, v0
	s_delay_alu instid0(VALU_DEP_3) | instskip(NEXT) | instid1(VALU_DEP_3)
	v_cndmask_b32_e64 v17, v16, v10, s0
	v_cndmask_b32_e64 v16, v18, v9, s0
	s_or_b32 s1, vcc_lo, s1
	s_waitcnt lgkmcnt(0)
	s_delay_alu instid0(VALU_DEP_1)
	v_fma_f64 v[11:12], v[16:17], v[14:15], v[11:12]
	s_and_not1_b32 exec_lo, exec_lo, s1
	s_cbranch_execnz .LBB4_83
; %bb.84:
	s_or_b32 exec_lo, exec_lo, s1
.LBB4_85:
	s_delay_alu instid0(SALU_CYCLE_1)
	s_or_b32 exec_lo, exec_lo, s3
	v_mov_b32_e32 v0, 0
	ds_load_b64 v[9:10], v0 offset:32
	s_waitcnt lgkmcnt(0)
	v_mul_f64 v[9:10], v[11:12], v[9:10]
.LBB4_86:
	s_or_b32 exec_lo, exec_lo, s2
	v_dual_mov_b32 v32, v16 :: v_dual_mov_b32 v31, v15
	v_dual_mov_b32 v30, v14 :: v_dual_mov_b32 v29, v13
	;; [unrolled: 1-line block ×3, first 2 shown]
	s_delay_alu instid0(VALU_DEP_4)
	v_dual_mov_b32 v26, v10 :: v_dual_mov_b32 v25, v9
	v_dual_mov_b32 v24, v8 :: v_dual_mov_b32 v23, v7
	;; [unrolled: 1-line block ×5, first 2 shown]
.LBB4_87:
	s_clause 0x4
	global_store_b64 v[39:40], v[17:18], off
	global_store_b64 v[41:42], v[19:20], off
	global_store_b64 v[35:36], v[21:22], off
	global_store_b64 v[37:38], v[23:24], off
	global_store_b64 v[33:34], v[25:26], off
.LBB4_88:
	s_nop 0
	s_sendmsg sendmsg(MSG_DEALLOC_VGPRS)
	s_endpgm
	.section	.rodata,"a",@progbits
	.p2align	6, 0x0
	.amdhsa_kernel _ZN9rocsolver6v33100L18trti2_kernel_smallILi5EdPdEEv13rocblas_fill_17rocblas_diagonal_T1_iil
		.amdhsa_group_segment_fixed_size 88
		.amdhsa_private_segment_fixed_size 0
		.amdhsa_kernarg_size 32
		.amdhsa_user_sgpr_count 15
		.amdhsa_user_sgpr_dispatch_ptr 0
		.amdhsa_user_sgpr_queue_ptr 0
		.amdhsa_user_sgpr_kernarg_segment_ptr 1
		.amdhsa_user_sgpr_dispatch_id 0
		.amdhsa_user_sgpr_private_segment_size 0
		.amdhsa_wavefront_size32 1
		.amdhsa_uses_dynamic_stack 0
		.amdhsa_enable_private_segment 0
		.amdhsa_system_sgpr_workgroup_id_x 1
		.amdhsa_system_sgpr_workgroup_id_y 0
		.amdhsa_system_sgpr_workgroup_id_z 0
		.amdhsa_system_sgpr_workgroup_info 0
		.amdhsa_system_vgpr_workitem_id 0
		.amdhsa_next_free_vgpr 54
		.amdhsa_next_free_sgpr 24
		.amdhsa_reserve_vcc 1
		.amdhsa_float_round_mode_32 0
		.amdhsa_float_round_mode_16_64 0
		.amdhsa_float_denorm_mode_32 3
		.amdhsa_float_denorm_mode_16_64 3
		.amdhsa_dx10_clamp 1
		.amdhsa_ieee_mode 1
		.amdhsa_fp16_overflow 0
		.amdhsa_workgroup_processor_mode 1
		.amdhsa_memory_ordered 1
		.amdhsa_forward_progress 0
		.amdhsa_shared_vgpr_count 0
		.amdhsa_exception_fp_ieee_invalid_op 0
		.amdhsa_exception_fp_denorm_src 0
		.amdhsa_exception_fp_ieee_div_zero 0
		.amdhsa_exception_fp_ieee_overflow 0
		.amdhsa_exception_fp_ieee_underflow 0
		.amdhsa_exception_fp_ieee_inexact 0
		.amdhsa_exception_int_div_zero 0
	.end_amdhsa_kernel
	.section	.text._ZN9rocsolver6v33100L18trti2_kernel_smallILi5EdPdEEv13rocblas_fill_17rocblas_diagonal_T1_iil,"axG",@progbits,_ZN9rocsolver6v33100L18trti2_kernel_smallILi5EdPdEEv13rocblas_fill_17rocblas_diagonal_T1_iil,comdat
.Lfunc_end4:
	.size	_ZN9rocsolver6v33100L18trti2_kernel_smallILi5EdPdEEv13rocblas_fill_17rocblas_diagonal_T1_iil, .Lfunc_end4-_ZN9rocsolver6v33100L18trti2_kernel_smallILi5EdPdEEv13rocblas_fill_17rocblas_diagonal_T1_iil
                                        ; -- End function
	.section	.AMDGPU.csdata,"",@progbits
; Kernel info:
; codeLenInByte = 4812
; NumSgprs: 26
; NumVgprs: 54
; ScratchSize: 0
; MemoryBound: 0
; FloatMode: 240
; IeeeMode: 1
; LDSByteSize: 88 bytes/workgroup (compile time only)
; SGPRBlocks: 3
; VGPRBlocks: 6
; NumSGPRsForWavesPerEU: 26
; NumVGPRsForWavesPerEU: 54
; Occupancy: 16
; WaveLimiterHint : 0
; COMPUTE_PGM_RSRC2:SCRATCH_EN: 0
; COMPUTE_PGM_RSRC2:USER_SGPR: 15
; COMPUTE_PGM_RSRC2:TRAP_HANDLER: 0
; COMPUTE_PGM_RSRC2:TGID_X_EN: 1
; COMPUTE_PGM_RSRC2:TGID_Y_EN: 0
; COMPUTE_PGM_RSRC2:TGID_Z_EN: 0
; COMPUTE_PGM_RSRC2:TIDIG_COMP_CNT: 0
	.section	.text._ZN9rocsolver6v33100L18trti2_kernel_smallILi6EdPdEEv13rocblas_fill_17rocblas_diagonal_T1_iil,"axG",@progbits,_ZN9rocsolver6v33100L18trti2_kernel_smallILi6EdPdEEv13rocblas_fill_17rocblas_diagonal_T1_iil,comdat
	.globl	_ZN9rocsolver6v33100L18trti2_kernel_smallILi6EdPdEEv13rocblas_fill_17rocblas_diagonal_T1_iil ; -- Begin function _ZN9rocsolver6v33100L18trti2_kernel_smallILi6EdPdEEv13rocblas_fill_17rocblas_diagonal_T1_iil
	.p2align	8
	.type	_ZN9rocsolver6v33100L18trti2_kernel_smallILi6EdPdEEv13rocblas_fill_17rocblas_diagonal_T1_iil,@function
_ZN9rocsolver6v33100L18trti2_kernel_smallILi6EdPdEEv13rocblas_fill_17rocblas_diagonal_T1_iil: ; @_ZN9rocsolver6v33100L18trti2_kernel_smallILi6EdPdEEv13rocblas_fill_17rocblas_diagonal_T1_iil
; %bb.0:
	s_mov_b32 s2, exec_lo
	v_cmpx_gt_u32_e32 6, v0
	s_cbranch_execz .LBB5_114
; %bb.1:
	s_load_b256 s[16:23], s[0:1], 0x0
	s_ashr_i32 s2, s15, 31
	v_lshlrev_b32_e32 v20, 3, v0
	v_mov_b32_e32 v18, 0
	v_mov_b32_e32 v19, 0xbff00000
	s_waitcnt lgkmcnt(0)
	s_mul_i32 s3, s15, s23
	s_mul_hi_u32 s4, s15, s22
	v_add3_u32 v1, s21, s21, v0
	s_mul_i32 s5, s2, s22
	s_add_i32 s3, s4, s3
	s_mul_i32 s2, s15, s22
	s_add_i32 s3, s3, s5
	v_add_nc_u32_e32 v3, s21, v1
	s_lshl_b64 s[2:3], s[2:3], 3
	s_ashr_i32 s1, s20, 31
	s_mov_b32 s0, s20
	s_add_u32 s2, s18, s2
	s_addc_u32 s3, s19, s3
	s_lshl_b64 s[0:1], s[0:1], 3
	v_ashrrev_i32_e32 v2, 31, v1
	v_add_nc_u32_e32 v5, s21, v3
	s_add_u32 s0, s2, s0
	v_ashrrev_i32_e32 v4, 31, v3
	s_addc_u32 s1, s3, s1
	v_add_co_u32 v34, s2, s0, v20
	s_mov_b32 s4, s21
	s_ashr_i32 s5, s21, 31
	v_lshlrev_b64 v[1:2], 3, v[1:2]
	v_add_co_ci_u32_e64 v35, null, s1, 0, s2
	s_lshl_b64 s[2:3], s[4:5], 3
	v_add_nc_u32_e32 v7, s21, v5
	v_lshlrev_b64 v[3:4], 3, v[3:4]
	v_ashrrev_i32_e32 v6, 31, v5
	v_add_co_u32 v44, vcc_lo, v34, s2
	v_add_co_ci_u32_e32 v45, vcc_lo, s3, v35, vcc_lo
	v_add_co_u32 v42, vcc_lo, s0, v1
	v_ashrrev_i32_e32 v8, 31, v7
	v_add_co_ci_u32_e32 v43, vcc_lo, s1, v2, vcc_lo
	v_lshlrev_b64 v[1:2], 3, v[5:6]
	v_add_co_u32 v38, vcc_lo, s0, v3
	v_add_co_ci_u32_e32 v39, vcc_lo, s1, v4, vcc_lo
	v_lshlrev_b64 v[3:4], 3, v[7:8]
	s_delay_alu instid0(VALU_DEP_4) | instskip(SKIP_2) | instid1(VALU_DEP_4)
	v_add_co_u32 v40, vcc_lo, s0, v1
	v_add_co_ci_u32_e32 v41, vcc_lo, s1, v2, vcc_lo
	v_mov_b32_e32 v1, 0
	v_add_co_u32 v36, vcc_lo, s0, v3
	v_add_co_ci_u32_e32 v37, vcc_lo, s1, v4, vcc_lo
	s_clause 0x5
	global_load_b64 v[4:5], v[44:45], off
	global_load_b64 v[6:7], v[42:43], off
	;; [unrolled: 1-line block ×4, first 2 shown]
	global_load_b64 v[2:3], v20, s[0:1]
	global_load_b64 v[12:13], v[36:37], off
	v_cmp_eq_u32_e64 s0, 0, v0
	s_cmpk_lg_i32 s17, 0x84
	s_cselect_b32 s6, -1, 0
	s_cmpk_eq_i32 s17, 0x84
	s_cbranch_scc1 .LBB5_3
; %bb.2:
	v_cmp_eq_u32_e64 s1, 1, v0
	v_cmp_eq_u32_e64 s2, 2, v0
	;; [unrolled: 1-line block ×5, first 2 shown]
	s_waitcnt vmcnt(1)
	v_cndmask_b32_e64 v14, v3, v5, s1
	v_cndmask_b32_e64 v15, v2, v4, s1
	s_delay_alu instid0(VALU_DEP_2) | instskip(NEXT) | instid1(VALU_DEP_2)
	v_cndmask_b32_e64 v14, v14, v7, s2
	v_cndmask_b32_e64 v15, v15, v6, s2
	s_delay_alu instid0(VALU_DEP_2) | instskip(NEXT) | instid1(VALU_DEP_2)
	;; [unrolled: 3-line block ×3, first 2 shown]
	v_cndmask_b32_e64 v14, v14, v11, s4
	v_cndmask_b32_e64 v16, v15, v10, s4
	s_waitcnt vmcnt(0)
	s_delay_alu instid0(VALU_DEP_2) | instskip(NEXT) | instid1(VALU_DEP_2)
	v_cndmask_b32_e64 v15, v14, v13, s5
	v_cndmask_b32_e64 v14, v16, v12, s5
	s_delay_alu instid0(VALU_DEP_1) | instskip(SKIP_1) | instid1(VALU_DEP_2)
	v_div_scale_f64 v[16:17], null, v[14:15], v[14:15], 1.0
	v_div_scale_f64 v[23:24], vcc_lo, 1.0, v[14:15], 1.0
	v_rcp_f64_e32 v[18:19], v[16:17]
	s_waitcnt_depctr 0xfff
	v_fma_f64 v[21:22], -v[16:17], v[18:19], 1.0
	s_delay_alu instid0(VALU_DEP_1) | instskip(NEXT) | instid1(VALU_DEP_1)
	v_fma_f64 v[18:19], v[18:19], v[21:22], v[18:19]
	v_fma_f64 v[21:22], -v[16:17], v[18:19], 1.0
	s_delay_alu instid0(VALU_DEP_1) | instskip(NEXT) | instid1(VALU_DEP_1)
	v_fma_f64 v[18:19], v[18:19], v[21:22], v[18:19]
	v_mul_f64 v[21:22], v[23:24], v[18:19]
	s_delay_alu instid0(VALU_DEP_1) | instskip(NEXT) | instid1(VALU_DEP_1)
	v_fma_f64 v[16:17], -v[16:17], v[21:22], v[23:24]
	v_div_fmas_f64 v[16:17], v[16:17], v[18:19], v[21:22]
	s_delay_alu instid0(VALU_DEP_1) | instskip(NEXT) | instid1(VALU_DEP_1)
	v_div_fixup_f64 v[18:19], v[16:17], v[14:15], 1.0
	v_cndmask_b32_e64 v13, v13, v19, s5
	s_delay_alu instid0(VALU_DEP_2)
	v_cndmask_b32_e64 v12, v12, v18, s5
	v_cndmask_b32_e64 v11, v11, v19, s4
	;; [unrolled: 1-line block ×11, first 2 shown]
	v_xor_b32_e32 v19, 0x80000000, v19
.LBB5_3:
	v_add_nc_u32_e32 v48, 48, v20
	s_cmpk_eq_i32 s16, 0x79
	ds_store_b64 v20, v[18:19]
	s_cbranch_scc1 .LBB5_7
; %bb.4:
	s_waitcnt vmcnt(0)
	v_dual_mov_b32 v33, v17 :: v_dual_mov_b32 v32, v16
	v_dual_mov_b32 v31, v15 :: v_dual_mov_b32 v30, v14
	;; [unrolled: 1-line block ×8, first 2 shown]
	v_cmp_eq_u32_e64 s0, 5, v0
	ds_store_b64 v48, v[10:11]
	s_waitcnt lgkmcnt(0)
	s_barrier
	buffer_gl0_inv
	s_and_saveexec_b32 s1, s0
	s_cbranch_execz .LBB5_11
; %bb.5:
	s_and_b32 vcc_lo, exec_lo, s6
	s_cbranch_vccz .LBB5_8
; %bb.6:
	v_cmp_eq_u32_e32 vcc_lo, 1, v0
	v_dual_cndmask_b32 v18, v3, v5 :: v_dual_cndmask_b32 v19, v2, v4
	v_cmp_eq_u32_e32 vcc_lo, 2, v0
	s_delay_alu instid0(VALU_DEP_2) | instskip(SKIP_4) | instid1(VALU_DEP_2)
	v_dual_cndmask_b32 v20, v18, v7 :: v_dual_cndmask_b32 v21, v19, v6
	v_cmp_eq_u32_e32 vcc_lo, 3, v0
	ds_load_b64 v[18:19], v48
	v_dual_cndmask_b32 v20, v20, v9 :: v_dual_cndmask_b32 v21, v21, v8
	v_cmp_eq_u32_e32 vcc_lo, 4, v0
	v_cndmask_b32_e32 v20, v20, v11, vcc_lo
	s_delay_alu instid0(VALU_DEP_3) | instskip(SKIP_1) | instid1(VALU_DEP_2)
	v_cndmask_b32_e32 v22, v21, v10, vcc_lo
	v_cmp_eq_u32_e32 vcc_lo, 5, v0
	v_dual_cndmask_b32 v21, v20, v13 :: v_dual_cndmask_b32 v20, v22, v12
	s_waitcnt lgkmcnt(0)
	s_delay_alu instid0(VALU_DEP_1)
	v_mul_f64 v[18:19], v[20:21], v[18:19]
	s_cbranch_execz .LBB5_9
	s_branch .LBB5_10
.LBB5_7:
                                        ; implicit-def: $vgpr18_vgpr19_vgpr20_vgpr21_vgpr22_vgpr23_vgpr24_vgpr25_vgpr26_vgpr27_vgpr28_vgpr29_vgpr30_vgpr31_vgpr32_vgpr33
	s_cbranch_execnz .LBB5_68
	s_branch .LBB5_113
.LBB5_8:
                                        ; implicit-def: $vgpr18_vgpr19
.LBB5_9:
	ds_load_b64 v[18:19], v48
.LBB5_10:
	v_mov_b32_e32 v20, 0
	v_dual_mov_b32 v22, v6 :: v_dual_mov_b32 v25, v9
	v_dual_mov_b32 v24, v8 :: v_dual_mov_b32 v29, v13
	ds_load_b64 v[20:21], v20 offset:32
	v_dual_mov_b32 v28, v12 :: v_dual_mov_b32 v23, v7
	s_waitcnt lgkmcnt(0)
	v_mul_f64 v[26:27], v[18:19], v[20:21]
	v_dual_mov_b32 v18, v2 :: v_dual_mov_b32 v21, v5
	v_dual_mov_b32 v19, v3 :: v_dual_mov_b32 v20, v4
.LBB5_11:
	s_or_b32 exec_lo, exec_lo, s1
	v_cmp_lt_u32_e64 s1, 3, v0
	ds_store_b64 v48, v[24:25]
	s_waitcnt lgkmcnt(0)
	s_barrier
	buffer_gl0_inv
	s_and_saveexec_b32 s2, s1
	s_cbranch_execz .LBB5_19
; %bb.12:
	s_and_not1_b32 vcc_lo, exec_lo, s6
	s_cbranch_vccnz .LBB5_14
; %bb.13:
	v_cmp_eq_u32_e32 vcc_lo, 1, v0
	v_dual_cndmask_b32 v30, v19, v21 :: v_dual_cndmask_b32 v31, v18, v20
	v_cmp_eq_u32_e32 vcc_lo, 2, v0
	s_delay_alu instid0(VALU_DEP_2) | instskip(SKIP_4) | instid1(VALU_DEP_2)
	v_dual_cndmask_b32 v32, v30, v23 :: v_dual_cndmask_b32 v33, v31, v22
	v_cmp_eq_u32_e32 vcc_lo, 3, v0
	ds_load_b64 v[30:31], v48
	v_dual_cndmask_b32 v25, v32, v25 :: v_dual_cndmask_b32 v24, v33, v24
	v_cmp_eq_u32_e32 vcc_lo, 4, v0
	v_dual_cndmask_b32 v25, v25, v27 :: v_dual_cndmask_b32 v24, v24, v26
	v_cmp_eq_u32_e32 vcc_lo, 5, v0
	s_delay_alu instid0(VALU_DEP_2) | instskip(SKIP_1) | instid1(VALU_DEP_1)
	v_dual_cndmask_b32 v25, v25, v29 :: v_dual_cndmask_b32 v24, v24, v28
	s_waitcnt lgkmcnt(0)
	v_mul_f64 v[24:25], v[24:25], v[30:31]
	s_cbranch_execz .LBB5_15
	s_branch .LBB5_16
.LBB5_14:
                                        ; implicit-def: $vgpr24_vgpr25
.LBB5_15:
	ds_load_b64 v[24:25], v48
.LBB5_16:
	s_and_saveexec_b32 s3, s0
	s_cbranch_execz .LBB5_18
; %bb.17:
	v_mov_b32_e32 v30, 0
	ds_load_b64 v[30:31], v30 offset:80
	s_waitcnt lgkmcnt(0)
	v_fma_f64 v[24:25], v[26:27], v[30:31], v[24:25]
.LBB5_18:
	s_or_b32 exec_lo, exec_lo, s3
	v_mov_b32_e32 v30, 0
	ds_load_b64 v[30:31], v30 offset:24
	s_waitcnt lgkmcnt(0)
	v_mul_f64 v[24:25], v[24:25], v[30:31]
.LBB5_19:
	s_or_b32 exec_lo, exec_lo, s2
	v_cmp_lt_u32_e64 s0, 2, v0
	ds_store_b64 v48, v[22:23]
	s_waitcnt lgkmcnt(0)
	s_barrier
	buffer_gl0_inv
	s_and_saveexec_b32 s4, s0
	s_cbranch_execz .LBB5_35
; %bb.20:
	s_and_not1_b32 vcc_lo, exec_lo, s6
	s_cbranch_vccnz .LBB5_22
; %bb.21:
	v_cmp_eq_u32_e32 vcc_lo, 1, v0
	v_dual_cndmask_b32 v46, v19, v21 :: v_dual_cndmask_b32 v47, v18, v20
	v_cmp_eq_u32_e32 vcc_lo, 2, v0
	s_delay_alu instid0(VALU_DEP_2) | instskip(SKIP_4) | instid1(VALU_DEP_2)
	v_dual_cndmask_b32 v49, v46, v23 :: v_dual_cndmask_b32 v50, v47, v22
	v_cmp_eq_u32_e32 vcc_lo, 3, v0
	ds_load_b64 v[46:47], v48
	v_dual_cndmask_b32 v49, v49, v25 :: v_dual_cndmask_b32 v50, v50, v24
	v_cmp_eq_u32_e32 vcc_lo, 4, v0
	v_cndmask_b32_e32 v49, v49, v27, vcc_lo
	s_delay_alu instid0(VALU_DEP_3) | instskip(SKIP_1) | instid1(VALU_DEP_2)
	v_cndmask_b32_e32 v51, v50, v26, vcc_lo
	v_cmp_eq_u32_e32 vcc_lo, 5, v0
	v_dual_cndmask_b32 v50, v49, v29 :: v_dual_cndmask_b32 v49, v51, v28
	s_waitcnt lgkmcnt(0)
	s_delay_alu instid0(VALU_DEP_1)
	v_mul_f64 v[46:47], v[49:50], v[46:47]
	s_cbranch_execz .LBB5_23
	s_branch .LBB5_24
.LBB5_22:
                                        ; implicit-def: $vgpr46_vgpr47
.LBB5_23:
	ds_load_b64 v[46:47], v48
.LBB5_24:
	s_and_saveexec_b32 s5, s1
	s_cbranch_execz .LBB5_34
; %bb.25:
	v_dual_mov_b32 v51, 3 :: v_dual_add_nc_u32 v50, -4, v0
	v_add_nc_u32_e32 v49, -3, v0
	s_mov_b32 s1, exec_lo
	s_delay_alu instid0(VALU_DEP_2)
	v_cmpx_lt_u32_e32 6, v50
	s_cbranch_execz .LBB5_29
; %bb.26:
	s_delay_alu instid0(VALU_DEP_2) | instskip(SKIP_3) | instid1(VALU_DEP_1)
	v_and_b32_e32 v50, -8, v49
	s_mov_b32 s7, 0
	s_mov_b64 s[2:3], 10
	s_movk_i32 s8, 0x48
	v_sub_nc_u32_e32 v50, 0, v50
.LBB5_27:                               ; =>This Inner Loop Header: Depth=1
	v_mov_b32_e32 v61, s8
	s_lshl_b32 s9, s2, 1
	s_delay_alu instid0(SALU_CYCLE_1)
	s_add_i32 m0, s9, -13
	v_movrels_b32_e32 v60, v18
	ds_load_2addr_b64 v[51:54], v61 offset1:1
	ds_load_2addr_b64 v[55:58], v61 offset0:2 offset1:3
	s_add_i32 m0, s9, -14
	v_movrels_b32_e32 v59, v18
	s_add_i32 m0, s9, -11
	s_waitcnt lgkmcnt(1)
	s_delay_alu instid0(VALU_DEP_1) | instskip(SKIP_4) | instid1(VALU_DEP_1)
	v_fma_f64 v[46:47], v[59:60], v[51:52], v[46:47]
	v_movrels_b32_e32 v52, v18
	s_add_i32 m0, s9, -12
	v_movrels_b32_e32 v51, v18
	s_add_i32 m0, s9, -9
	v_fma_f64 v[46:47], v[51:52], v[53:54], v[46:47]
	v_movrels_b32_e32 v52, v18
	s_add_i32 m0, s9, -10
	v_movrels_b32_e32 v51, v18
	s_add_i32 m0, s9, -7
	s_waitcnt lgkmcnt(0)
	s_delay_alu instid0(VALU_DEP_1)
	v_fma_f64 v[46:47], v[51:52], v[55:56], v[46:47]
	v_movrels_b32_e32 v52, v18
	s_add_i32 m0, s9, -8
	v_movrels_b32_e32 v51, v18
	s_add_i32 m0, s9, -5
	;; [unrolled: 2-line block ×4, first 2 shown]
	v_fma_f64 v[46:47], v[51:52], v[57:58], v[46:47]
	ds_load_2addr_b64 v[51:54], v61 offset0:4 offset1:5
	ds_load_2addr_b64 v[55:58], v61 offset0:6 offset1:7
	s_waitcnt lgkmcnt(1)
	v_fma_f64 v[46:47], v[59:60], v[51:52], v[46:47]
	v_movrels_b32_e32 v52, v18
	s_add_i32 m0, s9, -4
	v_movrels_b32_e32 v51, v18
	s_add_i32 m0, s9, -1
	s_delay_alu instid0(VALU_DEP_1)
	v_fma_f64 v[46:47], v[51:52], v[53:54], v[46:47]
	v_movrels_b32_e32 v52, v18
	s_add_i32 m0, s9, -2
	s_add_u32 s2, s2, 8
	v_movrels_b32_e32 v51, v18
	s_mov_b32 m0, s9
	s_addc_u32 s3, s3, 0
	s_add_i32 s9, s2, -7
	s_add_i32 s8, s8, 64
	s_waitcnt lgkmcnt(0)
	s_delay_alu instid0(VALU_DEP_3) | instskip(SKIP_2) | instid1(VALU_DEP_1)
	v_fma_f64 v[46:47], v[51:52], v[55:56], v[46:47]
	v_movrels_b32_e32 v52, v19
	v_movrels_b32_e32 v51, v18
	v_fma_f64 v[46:47], v[51:52], v[57:58], v[46:47]
	v_add_nc_u32_e32 v51, s2, v50
	s_delay_alu instid0(VALU_DEP_1) | instskip(SKIP_2) | instid1(SALU_CYCLE_1)
	v_cmp_eq_u32_e32 vcc_lo, 10, v51
	v_mov_b32_e32 v51, s9
	s_or_b32 s7, vcc_lo, s7
	s_and_not1_b32 exec_lo, exec_lo, s7
	s_cbranch_execnz .LBB5_27
; %bb.28:
	s_or_b32 exec_lo, exec_lo, s7
.LBB5_29:
	s_delay_alu instid0(SALU_CYCLE_1) | instskip(SKIP_3) | instid1(VALU_DEP_1)
	s_or_b32 exec_lo, exec_lo, s1
	v_and_b32_e32 v30, 7, v49
	s_mov_b32 s3, 0
	s_mov_b32 s2, exec_lo
	v_cmpx_ne_u32_e32 0, v30
	s_cbranch_execz .LBB5_33
; %bb.30:
	v_lshl_add_u32 v31, v51, 3, 48
	v_mov_b32_e32 v32, 0
	s_set_inst_prefetch_distance 0x1
	.p2align	6
.LBB5_31:                               ; =>This Inner Loop Header: Depth=1
	v_cmp_eq_u32_e32 vcc_lo, 1, v51
	v_cmp_eq_u32_e64 s1, 2, v51
	ds_load_b64 v[49:50], v31
	v_add_nc_u32_e32 v30, -1, v30
	v_add_nc_u32_e32 v31, 8, v31
	v_dual_cndmask_b32 v33, v19, v21 :: v_dual_cndmask_b32 v52, v18, v20
	v_cmp_eq_u32_e32 vcc_lo, 3, v51
	s_delay_alu instid0(VALU_DEP_2) | instskip(NEXT) | instid1(VALU_DEP_3)
	v_cndmask_b32_e64 v33, v33, v23, s1
	v_cndmask_b32_e64 v52, v52, v22, s1
	v_cmp_eq_u32_e64 s1, 4, v51
	s_delay_alu instid0(VALU_DEP_2) | instskip(SKIP_1) | instid1(VALU_DEP_2)
	v_dual_cndmask_b32 v33, v33, v25 :: v_dual_cndmask_b32 v52, v52, v24
	v_cmp_eq_u32_e32 vcc_lo, 5, v51
	v_cndmask_b32_e64 v33, v33, v27, s1
	s_delay_alu instid0(VALU_DEP_3) | instskip(SKIP_1) | instid1(VALU_DEP_1)
	v_cndmask_b32_e64 v52, v52, v26, s1
	v_add_co_u32 v51, s1, v51, 1
	v_add_co_ci_u32_e64 v32, s1, 0, v32, s1
	s_delay_alu instid0(VALU_DEP_3) | instskip(SKIP_2) | instid1(VALU_DEP_2)
	v_dual_cndmask_b32 v53, v33, v29 :: v_dual_cndmask_b32 v52, v52, v28
	v_cmp_eq_u32_e32 vcc_lo, 0, v30
	s_waitcnt lgkmcnt(0)
	v_fma_f64 v[46:47], v[52:53], v[49:50], v[46:47]
	s_or_b32 s3, vcc_lo, s3
	s_delay_alu instid0(SALU_CYCLE_1)
	s_and_not1_b32 exec_lo, exec_lo, s3
	s_cbranch_execnz .LBB5_31
; %bb.32:
	s_set_inst_prefetch_distance 0x2
	s_or_b32 exec_lo, exec_lo, s3
.LBB5_33:
	s_delay_alu instid0(SALU_CYCLE_1)
	s_or_b32 exec_lo, exec_lo, s2
.LBB5_34:
	s_delay_alu instid0(SALU_CYCLE_1)
	s_or_b32 exec_lo, exec_lo, s5
	v_mov_b32_e32 v22, 0
	ds_load_b64 v[22:23], v22 offset:16
	s_waitcnt lgkmcnt(0)
	v_mul_f64 v[22:23], v[46:47], v[22:23]
.LBB5_35:
	s_or_b32 exec_lo, exec_lo, s4
	v_cmp_lt_u32_e64 s1, 1, v0
	ds_store_b64 v48, v[20:21]
	s_waitcnt lgkmcnt(0)
	s_barrier
	buffer_gl0_inv
	s_and_saveexec_b32 s4, s1
	s_cbranch_execz .LBB5_51
; %bb.36:
	s_and_not1_b32 vcc_lo, exec_lo, s6
	s_cbranch_vccnz .LBB5_38
; %bb.37:
	v_cmp_eq_u32_e32 vcc_lo, 1, v0
	v_dual_cndmask_b32 v46, v19, v21 :: v_dual_cndmask_b32 v47, v18, v20
	v_cmp_eq_u32_e32 vcc_lo, 2, v0
	s_delay_alu instid0(VALU_DEP_2) | instskip(SKIP_4) | instid1(VALU_DEP_2)
	v_dual_cndmask_b32 v49, v46, v23 :: v_dual_cndmask_b32 v50, v47, v22
	v_cmp_eq_u32_e32 vcc_lo, 3, v0
	ds_load_b64 v[46:47], v48
	v_dual_cndmask_b32 v49, v49, v25 :: v_dual_cndmask_b32 v50, v50, v24
	v_cmp_eq_u32_e32 vcc_lo, 4, v0
	v_cndmask_b32_e32 v49, v49, v27, vcc_lo
	s_delay_alu instid0(VALU_DEP_3) | instskip(SKIP_1) | instid1(VALU_DEP_2)
	v_cndmask_b32_e32 v51, v50, v26, vcc_lo
	v_cmp_eq_u32_e32 vcc_lo, 5, v0
	v_dual_cndmask_b32 v50, v49, v29 :: v_dual_cndmask_b32 v49, v51, v28
	s_waitcnt lgkmcnt(0)
	s_delay_alu instid0(VALU_DEP_1)
	v_mul_f64 v[46:47], v[49:50], v[46:47]
	s_cbranch_execz .LBB5_39
	s_branch .LBB5_40
.LBB5_38:
                                        ; implicit-def: $vgpr46_vgpr47
.LBB5_39:
	ds_load_b64 v[46:47], v48
.LBB5_40:
	s_and_saveexec_b32 s5, s0
	s_cbranch_execz .LBB5_50
; %bb.41:
	v_dual_mov_b32 v51, 2 :: v_dual_add_nc_u32 v50, -3, v0
	v_add_nc_u32_e32 v49, -2, v0
	s_mov_b32 s0, exec_lo
	s_delay_alu instid0(VALU_DEP_2)
	v_cmpx_lt_u32_e32 6, v50
	s_cbranch_execz .LBB5_45
; %bb.42:
	s_delay_alu instid0(VALU_DEP_2) | instskip(SKIP_3) | instid1(VALU_DEP_1)
	v_and_b32_e32 v50, -8, v49
	s_mov_b32 s7, 0
	s_mov_b64 s[2:3], 9
	s_mov_b32 s8, 64
	v_sub_nc_u32_e32 v50, 0, v50
.LBB5_43:                               ; =>This Inner Loop Header: Depth=1
	v_mov_b32_e32 v61, s8
	s_lshl_b32 s9, s2, 1
	s_delay_alu instid0(SALU_CYCLE_1)
	s_add_i32 m0, s9, -13
	v_movrels_b32_e32 v60, v18
	ds_load_b128 v[51:54], v61
	ds_load_b128 v[55:58], v61 offset:16
	s_add_i32 m0, s9, -14
	v_movrels_b32_e32 v59, v18
	s_add_i32 m0, s9, -11
	s_waitcnt lgkmcnt(1)
	s_delay_alu instid0(VALU_DEP_1) | instskip(SKIP_4) | instid1(VALU_DEP_1)
	v_fma_f64 v[46:47], v[59:60], v[51:52], v[46:47]
	v_movrels_b32_e32 v52, v18
	s_add_i32 m0, s9, -12
	v_movrels_b32_e32 v51, v18
	s_add_i32 m0, s9, -9
	v_fma_f64 v[46:47], v[51:52], v[53:54], v[46:47]
	v_movrels_b32_e32 v52, v18
	s_add_i32 m0, s9, -10
	v_movrels_b32_e32 v51, v18
	s_add_i32 m0, s9, -7
	s_waitcnt lgkmcnt(0)
	s_delay_alu instid0(VALU_DEP_1)
	v_fma_f64 v[46:47], v[51:52], v[55:56], v[46:47]
	v_movrels_b32_e32 v52, v18
	s_add_i32 m0, s9, -8
	v_movrels_b32_e32 v51, v18
	s_add_i32 m0, s9, -5
	v_movrels_b32_e32 v60, v18
	s_add_i32 m0, s9, -6
	v_movrels_b32_e32 v59, v18
	s_add_i32 m0, s9, -3
	v_fma_f64 v[46:47], v[51:52], v[57:58], v[46:47]
	ds_load_b128 v[51:54], v61 offset:32
	ds_load_b128 v[55:58], v61 offset:48
	s_waitcnt lgkmcnt(1)
	v_fma_f64 v[46:47], v[59:60], v[51:52], v[46:47]
	v_movrels_b32_e32 v52, v18
	s_add_i32 m0, s9, -4
	v_movrels_b32_e32 v51, v18
	s_add_i32 m0, s9, -1
	s_delay_alu instid0(VALU_DEP_1)
	v_fma_f64 v[46:47], v[51:52], v[53:54], v[46:47]
	v_movrels_b32_e32 v52, v18
	s_add_i32 m0, s9, -2
	s_add_u32 s2, s2, 8
	v_movrels_b32_e32 v51, v18
	s_mov_b32 m0, s9
	s_addc_u32 s3, s3, 0
	s_add_i32 s9, s2, -7
	s_add_i32 s8, s8, 64
	s_waitcnt lgkmcnt(0)
	s_delay_alu instid0(VALU_DEP_3) | instskip(SKIP_2) | instid1(VALU_DEP_1)
	v_fma_f64 v[46:47], v[51:52], v[55:56], v[46:47]
	v_movrels_b32_e32 v52, v19
	v_movrels_b32_e32 v51, v18
	v_fma_f64 v[46:47], v[51:52], v[57:58], v[46:47]
	v_add_nc_u32_e32 v51, s2, v50
	s_delay_alu instid0(VALU_DEP_1) | instskip(SKIP_2) | instid1(SALU_CYCLE_1)
	v_cmp_eq_u32_e32 vcc_lo, 9, v51
	v_mov_b32_e32 v51, s9
	s_or_b32 s7, vcc_lo, s7
	s_and_not1_b32 exec_lo, exec_lo, s7
	s_cbranch_execnz .LBB5_43
; %bb.44:
	s_or_b32 exec_lo, exec_lo, s7
.LBB5_45:
	s_delay_alu instid0(SALU_CYCLE_1) | instskip(SKIP_3) | instid1(VALU_DEP_1)
	s_or_b32 exec_lo, exec_lo, s0
	v_and_b32_e32 v30, 7, v49
	s_mov_b32 s3, 0
	s_mov_b32 s2, exec_lo
	v_cmpx_ne_u32_e32 0, v30
	s_cbranch_execz .LBB5_49
; %bb.46:
	v_lshl_add_u32 v31, v51, 3, 48
	v_mov_b32_e32 v32, 0
	s_set_inst_prefetch_distance 0x1
	.p2align	6
.LBB5_47:                               ; =>This Inner Loop Header: Depth=1
	v_cmp_eq_u32_e32 vcc_lo, 1, v51
	v_cmp_eq_u32_e64 s0, 2, v51
	ds_load_b64 v[49:50], v31
	v_add_nc_u32_e32 v30, -1, v30
	v_add_nc_u32_e32 v31, 8, v31
	v_dual_cndmask_b32 v33, v19, v21 :: v_dual_cndmask_b32 v52, v18, v20
	v_cmp_eq_u32_e32 vcc_lo, 3, v51
	s_delay_alu instid0(VALU_DEP_2) | instskip(NEXT) | instid1(VALU_DEP_3)
	v_cndmask_b32_e64 v33, v33, v23, s0
	v_cndmask_b32_e64 v52, v52, v22, s0
	v_cmp_eq_u32_e64 s0, 4, v51
	s_delay_alu instid0(VALU_DEP_2) | instskip(SKIP_1) | instid1(VALU_DEP_2)
	v_dual_cndmask_b32 v33, v33, v25 :: v_dual_cndmask_b32 v52, v52, v24
	v_cmp_eq_u32_e32 vcc_lo, 5, v51
	v_cndmask_b32_e64 v33, v33, v27, s0
	s_delay_alu instid0(VALU_DEP_3) | instskip(SKIP_1) | instid1(VALU_DEP_1)
	v_cndmask_b32_e64 v52, v52, v26, s0
	v_add_co_u32 v51, s0, v51, 1
	v_add_co_ci_u32_e64 v32, s0, 0, v32, s0
	s_delay_alu instid0(VALU_DEP_3) | instskip(SKIP_2) | instid1(VALU_DEP_2)
	v_dual_cndmask_b32 v53, v33, v29 :: v_dual_cndmask_b32 v52, v52, v28
	v_cmp_eq_u32_e32 vcc_lo, 0, v30
	s_waitcnt lgkmcnt(0)
	v_fma_f64 v[46:47], v[52:53], v[49:50], v[46:47]
	s_or_b32 s3, vcc_lo, s3
	s_delay_alu instid0(SALU_CYCLE_1)
	s_and_not1_b32 exec_lo, exec_lo, s3
	s_cbranch_execnz .LBB5_47
; %bb.48:
	s_set_inst_prefetch_distance 0x2
	s_or_b32 exec_lo, exec_lo, s3
.LBB5_49:
	s_delay_alu instid0(SALU_CYCLE_1)
	s_or_b32 exec_lo, exec_lo, s2
.LBB5_50:
	s_delay_alu instid0(SALU_CYCLE_1)
	s_or_b32 exec_lo, exec_lo, s5
	v_mov_b32_e32 v20, 0
	ds_load_b64 v[20:21], v20 offset:8
	s_waitcnt lgkmcnt(0)
	v_mul_f64 v[20:21], v[46:47], v[20:21]
.LBB5_51:
	s_or_b32 exec_lo, exec_lo, s4
	s_mov_b32 s2, 0
	s_mov_b32 s3, exec_lo
	ds_store_b64 v48, v[18:19]
	s_waitcnt lgkmcnt(0)
	s_barrier
	buffer_gl0_inv
	v_cmpx_ne_u32_e32 0, v0
	s_cbranch_execz .LBB5_67
; %bb.52:
	s_and_not1_b32 vcc_lo, exec_lo, s6
	s_cbranch_vccnz .LBB5_54
; %bb.53:
	v_cmp_eq_u32_e32 vcc_lo, 1, v0
	v_dual_cndmask_b32 v46, v19, v21 :: v_dual_cndmask_b32 v47, v18, v20
	v_cmp_eq_u32_e32 vcc_lo, 2, v0
	s_delay_alu instid0(VALU_DEP_2) | instskip(SKIP_4) | instid1(VALU_DEP_2)
	v_dual_cndmask_b32 v49, v46, v23 :: v_dual_cndmask_b32 v50, v47, v22
	v_cmp_eq_u32_e32 vcc_lo, 3, v0
	ds_load_b64 v[46:47], v48
	v_dual_cndmask_b32 v49, v49, v25 :: v_dual_cndmask_b32 v50, v50, v24
	v_cmp_eq_u32_e32 vcc_lo, 4, v0
	v_cndmask_b32_e32 v49, v49, v27, vcc_lo
	s_delay_alu instid0(VALU_DEP_3) | instskip(SKIP_1) | instid1(VALU_DEP_2)
	v_cndmask_b32_e32 v51, v50, v26, vcc_lo
	v_cmp_eq_u32_e32 vcc_lo, 5, v0
	v_dual_cndmask_b32 v50, v49, v29 :: v_dual_cndmask_b32 v49, v51, v28
	s_waitcnt lgkmcnt(0)
	s_delay_alu instid0(VALU_DEP_1)
	v_mul_f64 v[46:47], v[49:50], v[46:47]
	s_cbranch_execz .LBB5_55
	s_branch .LBB5_56
.LBB5_54:
                                        ; implicit-def: $vgpr46_vgpr47
.LBB5_55:
	ds_load_b64 v[46:47], v48
.LBB5_56:
	s_and_saveexec_b32 s4, s1
	s_cbranch_execz .LBB5_66
; %bb.57:
	v_dual_mov_b32 v51, 1 :: v_dual_add_nc_u32 v50, -2, v0
	v_add_nc_u32_e32 v49, -1, v0
	s_mov_b32 s5, exec_lo
	s_delay_alu instid0(VALU_DEP_2)
	v_cmpx_lt_u32_e32 6, v50
	s_cbranch_execz .LBB5_61
; %bb.58:
	s_delay_alu instid0(VALU_DEP_2) | instskip(SKIP_3) | instid1(VALU_DEP_1)
	v_and_b32_e32 v50, -8, v49
	s_mov_b32 s7, 0
	s_mov_b64 s[0:1], 8
	s_mov_b32 s8, 56
	v_sub_nc_u32_e32 v50, 0, v50
.LBB5_59:                               ; =>This Inner Loop Header: Depth=1
	v_mov_b32_e32 v61, s8
	s_lshl_b32 s9, s0, 1
	s_delay_alu instid0(SALU_CYCLE_1)
	s_add_i32 m0, s9, -13
	v_movrels_b32_e32 v60, v18
	ds_load_2addr_b64 v[51:54], v61 offset1:1
	ds_load_2addr_b64 v[55:58], v61 offset0:2 offset1:3
	s_add_i32 m0, s9, -14
	v_movrels_b32_e32 v59, v18
	s_add_i32 m0, s9, -11
	s_waitcnt lgkmcnt(1)
	s_delay_alu instid0(VALU_DEP_1) | instskip(SKIP_4) | instid1(VALU_DEP_1)
	v_fma_f64 v[46:47], v[59:60], v[51:52], v[46:47]
	v_movrels_b32_e32 v52, v18
	s_add_i32 m0, s9, -12
	v_movrels_b32_e32 v51, v18
	s_add_i32 m0, s9, -9
	v_fma_f64 v[46:47], v[51:52], v[53:54], v[46:47]
	v_movrels_b32_e32 v52, v18
	s_add_i32 m0, s9, -10
	v_movrels_b32_e32 v51, v18
	s_add_i32 m0, s9, -7
	s_waitcnt lgkmcnt(0)
	s_delay_alu instid0(VALU_DEP_1)
	v_fma_f64 v[46:47], v[51:52], v[55:56], v[46:47]
	v_movrels_b32_e32 v52, v18
	s_add_i32 m0, s9, -8
	v_movrels_b32_e32 v51, v18
	s_add_i32 m0, s9, -5
	v_movrels_b32_e32 v60, v18
	s_add_i32 m0, s9, -6
	v_movrels_b32_e32 v59, v18
	s_add_i32 m0, s9, -3
	v_fma_f64 v[46:47], v[51:52], v[57:58], v[46:47]
	ds_load_2addr_b64 v[51:54], v61 offset0:4 offset1:5
	ds_load_2addr_b64 v[55:58], v61 offset0:6 offset1:7
	s_waitcnt lgkmcnt(1)
	v_fma_f64 v[46:47], v[59:60], v[51:52], v[46:47]
	v_movrels_b32_e32 v52, v18
	s_add_i32 m0, s9, -4
	v_movrels_b32_e32 v51, v18
	s_add_i32 m0, s9, -1
	s_delay_alu instid0(VALU_DEP_1)
	v_fma_f64 v[46:47], v[51:52], v[53:54], v[46:47]
	v_movrels_b32_e32 v52, v18
	s_add_i32 m0, s9, -2
	s_add_u32 s0, s0, 8
	v_movrels_b32_e32 v51, v18
	s_mov_b32 m0, s9
	s_addc_u32 s1, s1, 0
	s_add_i32 s9, s0, -7
	s_add_i32 s8, s8, 64
	s_waitcnt lgkmcnt(0)
	s_delay_alu instid0(VALU_DEP_3) | instskip(SKIP_2) | instid1(VALU_DEP_1)
	v_fma_f64 v[46:47], v[51:52], v[55:56], v[46:47]
	v_movrels_b32_e32 v52, v19
	v_movrels_b32_e32 v51, v18
	v_fma_f64 v[46:47], v[51:52], v[57:58], v[46:47]
	v_add_nc_u32_e32 v51, s0, v50
	s_delay_alu instid0(VALU_DEP_1) | instskip(SKIP_2) | instid1(SALU_CYCLE_1)
	v_cmp_eq_u32_e32 vcc_lo, 8, v51
	v_mov_b32_e32 v51, s9
	s_or_b32 s7, vcc_lo, s7
	s_and_not1_b32 exec_lo, exec_lo, s7
	s_cbranch_execnz .LBB5_59
; %bb.60:
	s_or_b32 exec_lo, exec_lo, s7
.LBB5_61:
	s_delay_alu instid0(SALU_CYCLE_1) | instskip(SKIP_3) | instid1(VALU_DEP_1)
	s_or_b32 exec_lo, exec_lo, s5
	v_and_b32_e32 v30, 7, v49
	s_mov_b32 s5, 0
	s_mov_b32 s1, exec_lo
	v_cmpx_ne_u32_e32 0, v30
	s_cbranch_execz .LBB5_65
; %bb.62:
	v_lshl_add_u32 v31, v51, 3, 48
	v_mov_b32_e32 v32, 0
	s_set_inst_prefetch_distance 0x1
	.p2align	6
.LBB5_63:                               ; =>This Inner Loop Header: Depth=1
	v_cmp_eq_u32_e32 vcc_lo, 1, v51
	v_cmp_eq_u32_e64 s0, 2, v51
	ds_load_b64 v[49:50], v31
	v_add_nc_u32_e32 v30, -1, v30
	v_add_nc_u32_e32 v31, 8, v31
	v_dual_cndmask_b32 v33, v19, v21 :: v_dual_cndmask_b32 v52, v18, v20
	v_cmp_eq_u32_e32 vcc_lo, 3, v51
	s_delay_alu instid0(VALU_DEP_2) | instskip(NEXT) | instid1(VALU_DEP_3)
	v_cndmask_b32_e64 v33, v33, v23, s0
	v_cndmask_b32_e64 v52, v52, v22, s0
	v_cmp_eq_u32_e64 s0, 4, v51
	s_delay_alu instid0(VALU_DEP_2) | instskip(SKIP_1) | instid1(VALU_DEP_2)
	v_dual_cndmask_b32 v33, v33, v25 :: v_dual_cndmask_b32 v52, v52, v24
	v_cmp_eq_u32_e32 vcc_lo, 5, v51
	v_cndmask_b32_e64 v33, v33, v27, s0
	s_delay_alu instid0(VALU_DEP_3) | instskip(SKIP_1) | instid1(VALU_DEP_1)
	v_cndmask_b32_e64 v52, v52, v26, s0
	v_add_co_u32 v51, s0, v51, 1
	v_add_co_ci_u32_e64 v32, s0, 0, v32, s0
	s_delay_alu instid0(VALU_DEP_3) | instskip(SKIP_2) | instid1(VALU_DEP_2)
	v_dual_cndmask_b32 v53, v33, v29 :: v_dual_cndmask_b32 v52, v52, v28
	v_cmp_eq_u32_e32 vcc_lo, 0, v30
	s_waitcnt lgkmcnt(0)
	v_fma_f64 v[46:47], v[52:53], v[49:50], v[46:47]
	s_or_b32 s5, vcc_lo, s5
	s_delay_alu instid0(SALU_CYCLE_1)
	s_and_not1_b32 exec_lo, exec_lo, s5
	s_cbranch_execnz .LBB5_63
; %bb.64:
	s_set_inst_prefetch_distance 0x2
	s_or_b32 exec_lo, exec_lo, s5
.LBB5_65:
	s_delay_alu instid0(SALU_CYCLE_1)
	s_or_b32 exec_lo, exec_lo, s1
.LBB5_66:
	s_delay_alu instid0(SALU_CYCLE_1)
	s_or_b32 exec_lo, exec_lo, s4
	v_mov_b32_e32 v18, 0
	ds_load_b64 v[18:19], v18
	s_waitcnt lgkmcnt(0)
	v_mul_f64 v[18:19], v[46:47], v[18:19]
.LBB5_67:
	s_or_b32 exec_lo, exec_lo, s3
	s_delay_alu instid0(SALU_CYCLE_1)
	s_and_b32 vcc_lo, exec_lo, s2
	s_cbranch_vccz .LBB5_113
.LBB5_68:
	v_cmp_eq_u32_e64 s0, 0, v0
	s_waitcnt vmcnt(5)
	ds_store_b64 v48, v[4:5]
	s_waitcnt vmcnt(0) lgkmcnt(0)
	s_barrier
	buffer_gl0_inv
	s_and_saveexec_b32 s1, s0
	s_cbranch_execz .LBB5_74
; %bb.69:
	s_and_b32 vcc_lo, exec_lo, s6
	s_cbranch_vccz .LBB5_71
; %bb.70:
	v_cmp_eq_u32_e32 vcc_lo, 1, v0
	v_dual_cndmask_b32 v5, v3, v5 :: v_dual_cndmask_b32 v4, v2, v4
	v_cmp_eq_u32_e32 vcc_lo, 2, v0
	s_delay_alu instid0(VALU_DEP_2) | instskip(SKIP_4) | instid1(VALU_DEP_2)
	v_dual_cndmask_b32 v14, v5, v7 :: v_dual_cndmask_b32 v15, v4, v6
	v_cmp_eq_u32_e32 vcc_lo, 3, v0
	ds_load_b64 v[4:5], v48
	v_dual_cndmask_b32 v14, v14, v9 :: v_dual_cndmask_b32 v15, v15, v8
	v_cmp_eq_u32_e32 vcc_lo, 4, v0
	v_cndmask_b32_e32 v14, v14, v11, vcc_lo
	s_delay_alu instid0(VALU_DEP_3) | instskip(SKIP_1) | instid1(VALU_DEP_2)
	v_cndmask_b32_e32 v16, v15, v10, vcc_lo
	v_cmp_eq_u32_e32 vcc_lo, 5, v0
	v_dual_cndmask_b32 v15, v14, v13 :: v_dual_cndmask_b32 v14, v16, v12
	s_waitcnt lgkmcnt(0)
	s_delay_alu instid0(VALU_DEP_1)
	v_mul_f64 v[4:5], v[14:15], v[4:5]
	s_cbranch_execz .LBB5_72
	s_branch .LBB5_73
.LBB5_71:
                                        ; implicit-def: $vgpr4_vgpr5
.LBB5_72:
	ds_load_b64 v[4:5], v48
.LBB5_73:
	v_mov_b32_e32 v14, 0
	ds_load_b64 v[14:15], v14 offset:8
	s_waitcnt lgkmcnt(0)
	v_mul_f64 v[4:5], v[4:5], v[14:15]
.LBB5_74:
	s_or_b32 exec_lo, exec_lo, s1
	v_add_nc_u32_e32 v19, 1, v0
	v_cndmask_b32_e64 v18, 0, 1, s6
	s_mov_b32 s1, exec_lo
	ds_store_b64 v48, v[6:7]
	s_waitcnt lgkmcnt(0)
	s_barrier
	buffer_gl0_inv
	v_cmpx_gt_u32_e32 2, v0
	s_cbranch_execz .LBB5_82
; %bb.75:
	s_and_not1_b32 vcc_lo, exec_lo, s6
	s_cbranch_vccnz .LBB5_77
; %bb.76:
	v_cmp_eq_u32_e32 vcc_lo, 1, v0
	v_dual_cndmask_b32 v14, v3, v5 :: v_dual_cndmask_b32 v15, v2, v4
	v_cmp_eq_u32_e32 vcc_lo, 2, v0
	s_delay_alu instid0(VALU_DEP_2) | instskip(SKIP_4) | instid1(VALU_DEP_2)
	v_dual_cndmask_b32 v16, v14, v7 :: v_dual_cndmask_b32 v17, v15, v6
	v_cmp_eq_u32_e32 vcc_lo, 3, v0
	ds_load_b64 v[14:15], v48
	v_dual_cndmask_b32 v16, v16, v9 :: v_dual_cndmask_b32 v17, v17, v8
	v_cmp_eq_u32_e32 vcc_lo, 4, v0
	v_cndmask_b32_e32 v16, v16, v11, vcc_lo
	s_delay_alu instid0(VALU_DEP_3) | instskip(SKIP_1) | instid1(VALU_DEP_3)
	v_cndmask_b32_e32 v20, v17, v10, vcc_lo
	v_cmp_eq_u32_e32 vcc_lo, 5, v0
	v_cndmask_b32_e32 v17, v16, v13, vcc_lo
	s_delay_alu instid0(VALU_DEP_3) | instskip(SKIP_1) | instid1(VALU_DEP_1)
	v_cndmask_b32_e32 v16, v20, v12, vcc_lo
	s_waitcnt lgkmcnt(0)
	v_mul_f64 v[14:15], v[16:17], v[14:15]
	s_cbranch_execz .LBB5_78
	s_branch .LBB5_79
.LBB5_77:
                                        ; implicit-def: $vgpr14_vgpr15
.LBB5_78:
	ds_load_b64 v[14:15], v48
.LBB5_79:
	s_and_saveexec_b32 s2, s0
	s_cbranch_execz .LBB5_81
; %bb.80:
	v_cmp_eq_u32_e32 vcc_lo, 1, v19
	v_dual_cndmask_b32 v16, v3, v5 :: v_dual_cndmask_b32 v17, v2, v4
	v_cmp_eq_u32_e32 vcc_lo, 2, v19
	s_delay_alu instid0(VALU_DEP_2) | instskip(SKIP_4) | instid1(VALU_DEP_2)
	v_dual_cndmask_b32 v16, v16, v7 :: v_dual_cndmask_b32 v17, v17, v6
	v_cmp_eq_u32_e32 vcc_lo, 3, v19
	ds_load_b64 v[6:7], v48 offset:8
	v_dual_cndmask_b32 v16, v16, v9 :: v_dual_cndmask_b32 v17, v17, v8
	v_cmp_eq_u32_e32 vcc_lo, 4, v19
	v_cndmask_b32_e32 v16, v16, v11, vcc_lo
	s_delay_alu instid0(VALU_DEP_3) | instskip(SKIP_1) | instid1(VALU_DEP_3)
	v_cndmask_b32_e32 v20, v17, v10, vcc_lo
	v_cmp_eq_u32_e32 vcc_lo, 5, v19
	v_cndmask_b32_e32 v17, v16, v13, vcc_lo
	s_delay_alu instid0(VALU_DEP_3) | instskip(SKIP_1) | instid1(VALU_DEP_1)
	v_cndmask_b32_e32 v16, v20, v12, vcc_lo
	s_waitcnt lgkmcnt(0)
	v_fma_f64 v[14:15], v[16:17], v[6:7], v[14:15]
.LBB5_81:
	s_or_b32 exec_lo, exec_lo, s2
	v_mov_b32_e32 v6, 0
	ds_load_b64 v[6:7], v6 offset:16
	s_waitcnt lgkmcnt(0)
	v_mul_f64 v[6:7], v[14:15], v[6:7]
.LBB5_82:
	s_or_b32 exec_lo, exec_lo, s1
	s_delay_alu instid0(SALU_CYCLE_1)
	s_mov_b32 s1, exec_lo
	ds_store_b64 v48, v[8:9]
	s_waitcnt lgkmcnt(0)
	s_barrier
	buffer_gl0_inv
	v_cmpx_gt_u32_e32 3, v0
	s_cbranch_execz .LBB5_92
; %bb.83:
	v_cmp_ne_u32_e32 vcc_lo, 1, v18
	s_cbranch_vccnz .LBB5_85
; %bb.84:
	v_cmp_eq_u32_e32 vcc_lo, 1, v0
	v_dual_cndmask_b32 v14, v3, v5 :: v_dual_cndmask_b32 v15, v2, v4
	v_cmp_eq_u32_e32 vcc_lo, 2, v0
	s_delay_alu instid0(VALU_DEP_2) | instskip(SKIP_4) | instid1(VALU_DEP_2)
	v_dual_cndmask_b32 v16, v14, v7 :: v_dual_cndmask_b32 v17, v15, v6
	v_cmp_eq_u32_e32 vcc_lo, 3, v0
	ds_load_b64 v[14:15], v48
	v_dual_cndmask_b32 v16, v16, v9 :: v_dual_cndmask_b32 v17, v17, v8
	v_cmp_eq_u32_e32 vcc_lo, 4, v0
	v_cndmask_b32_e32 v16, v16, v11, vcc_lo
	s_delay_alu instid0(VALU_DEP_3) | instskip(SKIP_1) | instid1(VALU_DEP_3)
	v_cndmask_b32_e32 v20, v17, v10, vcc_lo
	v_cmp_eq_u32_e32 vcc_lo, 5, v0
	v_cndmask_b32_e32 v17, v16, v13, vcc_lo
	s_delay_alu instid0(VALU_DEP_3) | instskip(SKIP_1) | instid1(VALU_DEP_1)
	v_cndmask_b32_e32 v16, v20, v12, vcc_lo
	s_waitcnt lgkmcnt(0)
	v_mul_f64 v[14:15], v[16:17], v[14:15]
	s_cbranch_execz .LBB5_86
	s_branch .LBB5_87
.LBB5_85:
                                        ; implicit-def: $vgpr14_vgpr15
.LBB5_86:
	ds_load_b64 v[14:15], v48
.LBB5_87:
	s_mov_b32 s2, exec_lo
	v_cmpx_ne_u32_e32 2, v0
	s_cbranch_execz .LBB5_91
; %bb.88:
	v_cmp_eq_u32_e32 vcc_lo, 1, v19
	v_dual_cndmask_b32 v16, v3, v5 :: v_dual_cndmask_b32 v17, v2, v4
	v_cmp_eq_u32_e32 vcc_lo, 2, v19
	s_delay_alu instid0(VALU_DEP_2) | instskip(SKIP_4) | instid1(VALU_DEP_2)
	v_dual_cndmask_b32 v20, v16, v7 :: v_dual_cndmask_b32 v21, v17, v6
	v_cmp_eq_u32_e32 vcc_lo, 3, v19
	ds_load_b64 v[16:17], v48 offset:8
	v_dual_cndmask_b32 v9, v20, v9 :: v_dual_cndmask_b32 v8, v21, v8
	v_cmp_eq_u32_e32 vcc_lo, 4, v19
	v_dual_cndmask_b32 v9, v9, v11 :: v_dual_cndmask_b32 v8, v8, v10
	v_cmp_eq_u32_e32 vcc_lo, 5, v19
	s_delay_alu instid0(VALU_DEP_2) | instskip(SKIP_1) | instid1(VALU_DEP_1)
	v_dual_cndmask_b32 v9, v9, v13 :: v_dual_cndmask_b32 v8, v8, v12
	s_waitcnt lgkmcnt(0)
	v_fma_f64 v[14:15], v[8:9], v[16:17], v[14:15]
	s_and_saveexec_b32 s3, s0
	s_cbranch_execz .LBB5_90
; %bb.89:
	v_mov_b32_e32 v8, 0
	ds_load_b64 v[8:9], v8 offset:64
	s_waitcnt lgkmcnt(0)
	v_fma_f64 v[14:15], v[6:7], v[8:9], v[14:15]
.LBB5_90:
	s_or_b32 exec_lo, exec_lo, s3
.LBB5_91:
	s_delay_alu instid0(SALU_CYCLE_1)
	s_or_b32 exec_lo, exec_lo, s2
	v_mov_b32_e32 v8, 0
	ds_load_b64 v[8:9], v8 offset:24
	s_waitcnt lgkmcnt(0)
	v_mul_f64 v[8:9], v[14:15], v[8:9]
.LBB5_92:
	s_or_b32 exec_lo, exec_lo, s1
	v_cmp_gt_u32_e64 s0, 4, v0
	ds_store_b64 v48, v[10:11]
	s_waitcnt lgkmcnt(0)
	s_barrier
	buffer_gl0_inv
	s_and_saveexec_b32 s2, s0
	s_cbranch_execz .LBB5_102
; %bb.93:
	v_cmp_ne_u32_e32 vcc_lo, 1, v18
	s_cbranch_vccnz .LBB5_95
; %bb.94:
	v_cmp_eq_u32_e32 vcc_lo, 1, v0
	v_dual_cndmask_b32 v14, v3, v5 :: v_dual_cndmask_b32 v15, v2, v4
	v_cmp_eq_u32_e32 vcc_lo, 2, v0
	s_delay_alu instid0(VALU_DEP_2) | instskip(SKIP_4) | instid1(VALU_DEP_2)
	v_dual_cndmask_b32 v16, v14, v7 :: v_dual_cndmask_b32 v17, v15, v6
	v_cmp_eq_u32_e32 vcc_lo, 3, v0
	ds_load_b64 v[14:15], v48
	v_dual_cndmask_b32 v16, v16, v9 :: v_dual_cndmask_b32 v17, v17, v8
	v_cmp_eq_u32_e32 vcc_lo, 4, v0
	v_dual_cndmask_b32 v16, v16, v11 :: v_dual_cndmask_b32 v19, v17, v10
	v_cmp_eq_u32_e32 vcc_lo, 5, v0
	s_delay_alu instid0(VALU_DEP_2) | instskip(SKIP_1) | instid1(VALU_DEP_1)
	v_dual_cndmask_b32 v17, v16, v13 :: v_dual_cndmask_b32 v16, v19, v12
	s_waitcnt lgkmcnt(0)
	v_mul_f64 v[14:15], v[16:17], v[14:15]
	s_cbranch_execz .LBB5_96
	s_branch .LBB5_97
.LBB5_95:
                                        ; implicit-def: $vgpr14_vgpr15
.LBB5_96:
	ds_load_b64 v[14:15], v48
.LBB5_97:
	s_mov_b32 s3, exec_lo
	v_cmpx_ne_u32_e32 3, v0
	s_cbranch_execz .LBB5_101
; %bb.98:
	v_lshl_add_u32 v19, v0, 3, 56
	v_dual_mov_b32 v17, v1 :: v_dual_mov_b32 v16, v0
	s_mov_b32 s4, 0
	s_set_inst_prefetch_distance 0x1
	.p2align	6
.LBB5_99:                               ; =>This Inner Loop Header: Depth=1
	s_delay_alu instid0(VALU_DEP_1) | instskip(NEXT) | instid1(VALU_DEP_2)
	v_add_co_u32 v16, vcc_lo, v16, 1
	v_add_co_ci_u32_e32 v17, vcc_lo, 0, v17, vcc_lo
	ds_load_b64 v[20:21], v19
	v_cmp_eq_u32_e32 vcc_lo, 1, v16
	v_cmp_eq_u32_e64 s1, 2, v16
	v_dual_cndmask_b32 v22, v3, v5 :: v_dual_add_nc_u32 v19, 8, v19
	v_cndmask_b32_e32 v23, v2, v4, vcc_lo
	v_cmp_eq_u32_e32 vcc_lo, 3, v16
	s_delay_alu instid0(VALU_DEP_3) | instskip(NEXT) | instid1(VALU_DEP_3)
	v_cndmask_b32_e64 v22, v22, v7, s1
	v_cndmask_b32_e64 v23, v23, v6, s1
	v_cmp_eq_u32_e64 s1, 4, v16
	s_delay_alu instid0(VALU_DEP_2) | instskip(SKIP_1) | instid1(VALU_DEP_2)
	v_dual_cndmask_b32 v22, v22, v9 :: v_dual_cndmask_b32 v23, v23, v8
	v_cmp_eq_u32_e32 vcc_lo, 5, v16
	v_cndmask_b32_e64 v22, v22, v11, s1
	s_delay_alu instid0(VALU_DEP_3) | instskip(NEXT) | instid1(VALU_DEP_1)
	v_cndmask_b32_e64 v24, v23, v10, s1
	v_dual_cndmask_b32 v23, v22, v13 :: v_dual_cndmask_b32 v22, v24, v12
	v_cmp_lt_u32_e32 vcc_lo, 2, v16
	s_waitcnt lgkmcnt(0)
	s_delay_alu instid0(VALU_DEP_2) | instskip(SKIP_1) | instid1(SALU_CYCLE_1)
	v_fma_f64 v[14:15], v[22:23], v[20:21], v[14:15]
	s_or_b32 s4, vcc_lo, s4
	s_and_not1_b32 exec_lo, exec_lo, s4
	s_cbranch_execnz .LBB5_99
; %bb.100:
	s_set_inst_prefetch_distance 0x2
	s_or_b32 exec_lo, exec_lo, s4
.LBB5_101:
	s_delay_alu instid0(SALU_CYCLE_1)
	s_or_b32 exec_lo, exec_lo, s3
	v_mov_b32_e32 v10, 0
	ds_load_b64 v[10:11], v10 offset:32
	s_waitcnt lgkmcnt(0)
	v_mul_f64 v[10:11], v[14:15], v[10:11]
.LBB5_102:
	s_or_b32 exec_lo, exec_lo, s2
	s_delay_alu instid0(SALU_CYCLE_1)
	s_mov_b32 s1, exec_lo
	ds_store_b64 v48, v[12:13]
	s_waitcnt lgkmcnt(0)
	s_barrier
	buffer_gl0_inv
	v_cmpx_ne_u32_e32 5, v0
	s_cbranch_execz .LBB5_112
; %bb.103:
	v_cmp_ne_u32_e32 vcc_lo, 1, v18
	s_cbranch_vccnz .LBB5_105
; %bb.104:
	v_cmp_eq_u32_e32 vcc_lo, 1, v0
	v_dual_cndmask_b32 v14, v3, v5 :: v_dual_cndmask_b32 v15, v2, v4
	v_cmp_eq_u32_e32 vcc_lo, 2, v0
	s_delay_alu instid0(VALU_DEP_2) | instskip(SKIP_4) | instid1(VALU_DEP_2)
	v_dual_cndmask_b32 v16, v14, v7 :: v_dual_cndmask_b32 v17, v15, v6
	v_cmp_eq_u32_e32 vcc_lo, 3, v0
	ds_load_b64 v[14:15], v48
	v_dual_cndmask_b32 v16, v16, v9 :: v_dual_cndmask_b32 v17, v17, v8
	v_cmp_eq_u32_e32 vcc_lo, 4, v0
	v_cndmask_b32_e32 v16, v16, v11, vcc_lo
	s_delay_alu instid0(VALU_DEP_3) | instskip(SKIP_1) | instid1(VALU_DEP_2)
	v_cndmask_b32_e32 v18, v17, v10, vcc_lo
	v_cmp_eq_u32_e32 vcc_lo, 5, v0
	v_dual_cndmask_b32 v17, v16, v13 :: v_dual_cndmask_b32 v16, v18, v12
	s_waitcnt lgkmcnt(0)
	s_delay_alu instid0(VALU_DEP_1)
	v_mul_f64 v[14:15], v[16:17], v[14:15]
	s_cbranch_execz .LBB5_106
	s_branch .LBB5_107
.LBB5_105:
                                        ; implicit-def: $vgpr14_vgpr15
.LBB5_106:
	ds_load_b64 v[14:15], v48
.LBB5_107:
	s_and_saveexec_b32 s2, s0
	s_cbranch_execz .LBB5_111
; %bb.108:
	v_lshl_add_u32 v16, v0, 3, 56
	s_mov_b32 s3, 0
	s_set_inst_prefetch_distance 0x1
	.p2align	6
.LBB5_109:                              ; =>This Inner Loop Header: Depth=1
	v_add_co_u32 v0, vcc_lo, v0, 1
	v_add_co_ci_u32_e32 v1, vcc_lo, 0, v1, vcc_lo
	ds_load_b64 v[17:18], v16
	v_cmp_eq_u32_e32 vcc_lo, 1, v0
	v_cmp_eq_u32_e64 s0, 2, v0
	v_dual_cndmask_b32 v19, v3, v5 :: v_dual_add_nc_u32 v16, 8, v16
	v_cndmask_b32_e32 v20, v2, v4, vcc_lo
	v_cmp_eq_u32_e32 vcc_lo, 3, v0
	s_delay_alu instid0(VALU_DEP_3) | instskip(NEXT) | instid1(VALU_DEP_3)
	v_cndmask_b32_e64 v19, v19, v7, s0
	v_cndmask_b32_e64 v20, v20, v6, s0
	v_cmp_eq_u32_e64 s0, 4, v0
	s_delay_alu instid0(VALU_DEP_2) | instskip(SKIP_1) | instid1(VALU_DEP_2)
	v_dual_cndmask_b32 v19, v19, v9 :: v_dual_cndmask_b32 v20, v20, v8
	v_cmp_eq_u32_e32 vcc_lo, 5, v0
	v_cndmask_b32_e64 v19, v19, v11, s0
	s_delay_alu instid0(VALU_DEP_3) | instskip(NEXT) | instid1(VALU_DEP_1)
	v_cndmask_b32_e64 v21, v20, v10, s0
	v_dual_cndmask_b32 v20, v19, v13 :: v_dual_cndmask_b32 v19, v21, v12
	v_cmp_lt_u32_e32 vcc_lo, 3, v0
	s_waitcnt lgkmcnt(0)
	s_delay_alu instid0(VALU_DEP_2) | instskip(SKIP_1) | instid1(SALU_CYCLE_1)
	v_fma_f64 v[14:15], v[19:20], v[17:18], v[14:15]
	s_or_b32 s3, vcc_lo, s3
	s_and_not1_b32 exec_lo, exec_lo, s3
	s_cbranch_execnz .LBB5_109
; %bb.110:
	s_set_inst_prefetch_distance 0x2
	s_or_b32 exec_lo, exec_lo, s3
.LBB5_111:
	s_delay_alu instid0(SALU_CYCLE_1)
	s_or_b32 exec_lo, exec_lo, s2
	v_mov_b32_e32 v0, 0
	ds_load_b64 v[0:1], v0 offset:40
	s_waitcnt lgkmcnt(0)
	v_mul_f64 v[12:13], v[14:15], v[0:1]
.LBB5_112:
	s_or_b32 exec_lo, exec_lo, s1
	v_dual_mov_b32 v33, v17 :: v_dual_mov_b32 v32, v16
	v_dual_mov_b32 v31, v15 :: v_dual_mov_b32 v30, v14
	s_delay_alu instid0(VALU_DEP_3)
	v_dual_mov_b32 v29, v13 :: v_dual_mov_b32 v28, v12
	v_dual_mov_b32 v27, v11 :: v_dual_mov_b32 v26, v10
	;; [unrolled: 1-line block ×6, first 2 shown]
.LBB5_113:
	s_clause 0x5
	global_store_b64 v[34:35], v[18:19], off
	global_store_b64 v[44:45], v[20:21], off
	global_store_b64 v[42:43], v[22:23], off
	global_store_b64 v[38:39], v[24:25], off
	global_store_b64 v[40:41], v[26:27], off
	global_store_b64 v[36:37], v[28:29], off
.LBB5_114:
	s_nop 0
	s_sendmsg sendmsg(MSG_DEALLOC_VGPRS)
	s_endpgm
	.section	.rodata,"a",@progbits
	.p2align	6, 0x0
	.amdhsa_kernel _ZN9rocsolver6v33100L18trti2_kernel_smallILi6EdPdEEv13rocblas_fill_17rocblas_diagonal_T1_iil
		.amdhsa_group_segment_fixed_size 96
		.amdhsa_private_segment_fixed_size 0
		.amdhsa_kernarg_size 32
		.amdhsa_user_sgpr_count 15
		.amdhsa_user_sgpr_dispatch_ptr 0
		.amdhsa_user_sgpr_queue_ptr 0
		.amdhsa_user_sgpr_kernarg_segment_ptr 1
		.amdhsa_user_sgpr_dispatch_id 0
		.amdhsa_user_sgpr_private_segment_size 0
		.amdhsa_wavefront_size32 1
		.amdhsa_uses_dynamic_stack 0
		.amdhsa_enable_private_segment 0
		.amdhsa_system_sgpr_workgroup_id_x 1
		.amdhsa_system_sgpr_workgroup_id_y 0
		.amdhsa_system_sgpr_workgroup_id_z 0
		.amdhsa_system_sgpr_workgroup_info 0
		.amdhsa_system_vgpr_workitem_id 0
		.amdhsa_next_free_vgpr 62
		.amdhsa_next_free_sgpr 24
		.amdhsa_reserve_vcc 1
		.amdhsa_float_round_mode_32 0
		.amdhsa_float_round_mode_16_64 0
		.amdhsa_float_denorm_mode_32 3
		.amdhsa_float_denorm_mode_16_64 3
		.amdhsa_dx10_clamp 1
		.amdhsa_ieee_mode 1
		.amdhsa_fp16_overflow 0
		.amdhsa_workgroup_processor_mode 1
		.amdhsa_memory_ordered 1
		.amdhsa_forward_progress 0
		.amdhsa_shared_vgpr_count 0
		.amdhsa_exception_fp_ieee_invalid_op 0
		.amdhsa_exception_fp_denorm_src 0
		.amdhsa_exception_fp_ieee_div_zero 0
		.amdhsa_exception_fp_ieee_overflow 0
		.amdhsa_exception_fp_ieee_underflow 0
		.amdhsa_exception_fp_ieee_inexact 0
		.amdhsa_exception_int_div_zero 0
	.end_amdhsa_kernel
	.section	.text._ZN9rocsolver6v33100L18trti2_kernel_smallILi6EdPdEEv13rocblas_fill_17rocblas_diagonal_T1_iil,"axG",@progbits,_ZN9rocsolver6v33100L18trti2_kernel_smallILi6EdPdEEv13rocblas_fill_17rocblas_diagonal_T1_iil,comdat
.Lfunc_end5:
	.size	_ZN9rocsolver6v33100L18trti2_kernel_smallILi6EdPdEEv13rocblas_fill_17rocblas_diagonal_T1_iil, .Lfunc_end5-_ZN9rocsolver6v33100L18trti2_kernel_smallILi6EdPdEEv13rocblas_fill_17rocblas_diagonal_T1_iil
                                        ; -- End function
	.section	.AMDGPU.csdata,"",@progbits
; Kernel info:
; codeLenInByte = 5320
; NumSgprs: 26
; NumVgprs: 62
; ScratchSize: 0
; MemoryBound: 0
; FloatMode: 240
; IeeeMode: 1
; LDSByteSize: 96 bytes/workgroup (compile time only)
; SGPRBlocks: 3
; VGPRBlocks: 7
; NumSGPRsForWavesPerEU: 26
; NumVGPRsForWavesPerEU: 62
; Occupancy: 16
; WaveLimiterHint : 0
; COMPUTE_PGM_RSRC2:SCRATCH_EN: 0
; COMPUTE_PGM_RSRC2:USER_SGPR: 15
; COMPUTE_PGM_RSRC2:TRAP_HANDLER: 0
; COMPUTE_PGM_RSRC2:TGID_X_EN: 1
; COMPUTE_PGM_RSRC2:TGID_Y_EN: 0
; COMPUTE_PGM_RSRC2:TGID_Z_EN: 0
; COMPUTE_PGM_RSRC2:TIDIG_COMP_CNT: 0
	.section	.text._ZN9rocsolver6v33100L18trti2_kernel_smallILi7EdPdEEv13rocblas_fill_17rocblas_diagonal_T1_iil,"axG",@progbits,_ZN9rocsolver6v33100L18trti2_kernel_smallILi7EdPdEEv13rocblas_fill_17rocblas_diagonal_T1_iil,comdat
	.globl	_ZN9rocsolver6v33100L18trti2_kernel_smallILi7EdPdEEv13rocblas_fill_17rocblas_diagonal_T1_iil ; -- Begin function _ZN9rocsolver6v33100L18trti2_kernel_smallILi7EdPdEEv13rocblas_fill_17rocblas_diagonal_T1_iil
	.p2align	8
	.type	_ZN9rocsolver6v33100L18trti2_kernel_smallILi7EdPdEEv13rocblas_fill_17rocblas_diagonal_T1_iil,@function
_ZN9rocsolver6v33100L18trti2_kernel_smallILi7EdPdEEv13rocblas_fill_17rocblas_diagonal_T1_iil: ; @_ZN9rocsolver6v33100L18trti2_kernel_smallILi7EdPdEEv13rocblas_fill_17rocblas_diagonal_T1_iil
; %bb.0:
	s_mov_b32 s2, exec_lo
	v_cmpx_gt_u32_e32 7, v0
	s_cbranch_execz .LBB6_140
; %bb.1:
	s_load_b256 s[16:23], s[0:1], 0x0
	s_ashr_i32 s2, s15, 31
	v_lshlrev_b32_e32 v20, 3, v0
	v_mov_b32_e32 v18, 0
	v_mov_b32_e32 v19, 0xbff00000
	s_waitcnt lgkmcnt(0)
	s_mul_i32 s3, s15, s23
	s_mul_hi_u32 s4, s15, s22
	s_mul_i32 s5, s2, s22
	s_add_i32 s3, s4, s3
	v_add3_u32 v1, s21, s21, v0
	s_mul_i32 s2, s15, s22
	s_add_i32 s3, s3, s5
	s_ashr_i32 s1, s20, 31
	s_lshl_b64 s[2:3], s[2:3], 3
	s_mov_b32 s0, s20
	v_add_nc_u32_e32 v3, s21, v1
	s_add_u32 s2, s18, s2
	s_addc_u32 s3, s19, s3
	s_lshl_b64 s[0:1], s[0:1], 3
	v_ashrrev_i32_e32 v2, 31, v1
	s_add_u32 s0, s2, s0
	v_add_nc_u32_e32 v5, s21, v3
	s_addc_u32 s1, s3, s1
	v_add_co_u32 v34, s2, s0, v20
	s_mov_b32 s4, s21
	s_ashr_i32 s5, s21, 31
	v_lshlrev_b64 v[1:2], 3, v[1:2]
	v_add_co_ci_u32_e64 v35, null, s1, 0, s2
	s_lshl_b64 s[2:3], s[4:5], 3
	v_ashrrev_i32_e32 v4, 31, v3
	v_ashrrev_i32_e32 v6, 31, v5
	v_add_nc_u32_e32 v7, s21, v5
	v_add_co_u32 v38, vcc_lo, v34, s2
	v_add_co_ci_u32_e32 v39, vcc_lo, s3, v35, vcc_lo
	v_add_co_u32 v36, vcc_lo, s0, v1
	v_lshlrev_b64 v[3:4], 3, v[3:4]
	v_add_co_ci_u32_e32 v37, vcc_lo, s1, v2, vcc_lo
	v_lshlrev_b64 v[1:2], 3, v[5:6]
	v_add_nc_u32_e32 v5, s21, v7
	v_ashrrev_i32_e32 v8, 31, v7
	v_add_co_u32 v46, vcc_lo, s0, v3
	v_add_co_ci_u32_e32 v47, vcc_lo, s1, v4, vcc_lo
	s_delay_alu instid0(VALU_DEP_4) | instskip(NEXT) | instid1(VALU_DEP_4)
	v_ashrrev_i32_e32 v6, 31, v5
	v_lshlrev_b64 v[3:4], 3, v[7:8]
	v_add_co_u32 v42, vcc_lo, s0, v1
	v_add_co_ci_u32_e32 v43, vcc_lo, s1, v2, vcc_lo
	s_delay_alu instid0(VALU_DEP_4) | instskip(NEXT) | instid1(VALU_DEP_4)
	v_lshlrev_b64 v[1:2], 3, v[5:6]
	v_add_co_u32 v44, vcc_lo, s0, v3
	v_add_co_ci_u32_e32 v45, vcc_lo, s1, v4, vcc_lo
	s_cmpk_lg_i32 s17, 0x84
	s_delay_alu instid0(VALU_DEP_3) | instskip(NEXT) | instid1(VALU_DEP_4)
	v_add_co_u32 v40, vcc_lo, s0, v1
	v_add_co_ci_u32_e32 v41, vcc_lo, s1, v2, vcc_lo
	v_mov_b32_e32 v1, 0
	s_clause 0x6
	global_load_b64 v[4:5], v[38:39], off
	global_load_b64 v[6:7], v[36:37], off
	;; [unrolled: 1-line block ×5, first 2 shown]
	global_load_b64 v[2:3], v20, s[0:1]
	global_load_b64 v[14:15], v[40:41], off
	v_cmp_eq_u32_e64 s0, 0, v0
	s_cselect_b32 s7, -1, 0
	s_cmpk_eq_i32 s17, 0x84
	s_cbranch_scc1 .LBB6_3
; %bb.2:
	v_cmp_eq_u32_e64 s1, 1, v0
	v_cmp_eq_u32_e64 s2, 2, v0
	;; [unrolled: 1-line block ×5, first 2 shown]
	s_waitcnt vmcnt(1)
	v_cndmask_b32_e64 v16, v3, v5, s1
	v_cndmask_b32_e64 v17, v2, v4, s1
	v_cmp_eq_u32_e64 s6, 6, v0
	s_delay_alu instid0(VALU_DEP_3) | instskip(NEXT) | instid1(VALU_DEP_3)
	v_cndmask_b32_e64 v16, v16, v7, s2
	v_cndmask_b32_e64 v17, v17, v6, s2
	s_delay_alu instid0(VALU_DEP_2) | instskip(NEXT) | instid1(VALU_DEP_2)
	v_cndmask_b32_e64 v16, v16, v9, s3
	v_cndmask_b32_e64 v17, v17, v8, s3
	s_delay_alu instid0(VALU_DEP_2) | instskip(NEXT) | instid1(VALU_DEP_2)
	;; [unrolled: 3-line block ×3, first 2 shown]
	v_cndmask_b32_e64 v16, v16, v13, s5
	v_cndmask_b32_e64 v18, v17, v12, s5
	s_waitcnt vmcnt(0)
	s_delay_alu instid0(VALU_DEP_2) | instskip(NEXT) | instid1(VALU_DEP_2)
	v_cndmask_b32_e64 v17, v16, v15, s6
	v_cndmask_b32_e64 v16, v18, v14, s6
	s_delay_alu instid0(VALU_DEP_1) | instskip(SKIP_1) | instid1(VALU_DEP_2)
	v_div_scale_f64 v[18:19], null, v[16:17], v[16:17], 1.0
	v_div_scale_f64 v[25:26], vcc_lo, 1.0, v[16:17], 1.0
	v_rcp_f64_e32 v[21:22], v[18:19]
	s_waitcnt_depctr 0xfff
	v_fma_f64 v[23:24], -v[18:19], v[21:22], 1.0
	s_delay_alu instid0(VALU_DEP_1) | instskip(NEXT) | instid1(VALU_DEP_1)
	v_fma_f64 v[21:22], v[21:22], v[23:24], v[21:22]
	v_fma_f64 v[23:24], -v[18:19], v[21:22], 1.0
	s_delay_alu instid0(VALU_DEP_1) | instskip(NEXT) | instid1(VALU_DEP_1)
	v_fma_f64 v[21:22], v[21:22], v[23:24], v[21:22]
	v_mul_f64 v[23:24], v[25:26], v[21:22]
	s_delay_alu instid0(VALU_DEP_1) | instskip(NEXT) | instid1(VALU_DEP_1)
	v_fma_f64 v[18:19], -v[18:19], v[23:24], v[25:26]
	v_div_fmas_f64 v[18:19], v[18:19], v[21:22], v[23:24]
	s_delay_alu instid0(VALU_DEP_1) | instskip(NEXT) | instid1(VALU_DEP_1)
	v_div_fixup_f64 v[18:19], v[18:19], v[16:17], 1.0
	v_cndmask_b32_e64 v15, v15, v19, s6
	s_delay_alu instid0(VALU_DEP_2)
	v_cndmask_b32_e64 v14, v14, v18, s6
	v_cndmask_b32_e64 v13, v13, v19, s5
	;; [unrolled: 1-line block ×13, first 2 shown]
	v_xor_b32_e32 v19, 0x80000000, v19
.LBB6_3:
	v_add_nc_u32_e32 v50, 64, v20
	s_cmpk_eq_i32 s16, 0x79
	ds_store_b64 v20, v[18:19]
	s_cbranch_scc1 .LBB6_7
; %bb.4:
	s_waitcnt vmcnt(0)
	v_dual_mov_b32 v33, v17 :: v_dual_mov_b32 v32, v16
	v_dual_mov_b32 v31, v15 :: v_dual_mov_b32 v30, v14
	;; [unrolled: 1-line block ×8, first 2 shown]
	v_cmp_eq_u32_e64 s0, 6, v0
	ds_store_b64 v50, v[12:13]
	s_waitcnt lgkmcnt(0)
	s_barrier
	buffer_gl0_inv
	s_and_saveexec_b32 s1, s0
	s_cbranch_execz .LBB6_11
; %bb.5:
	s_and_b32 vcc_lo, exec_lo, s7
	s_cbranch_vccz .LBB6_8
; %bb.6:
	v_cmp_eq_u32_e32 vcc_lo, 1, v0
	v_dual_cndmask_b32 v18, v3, v5 :: v_dual_cndmask_b32 v19, v2, v4
	v_cmp_eq_u32_e32 vcc_lo, 2, v0
	s_delay_alu instid0(VALU_DEP_2) | instskip(SKIP_1) | instid1(VALU_DEP_2)
	v_dual_cndmask_b32 v18, v18, v7 :: v_dual_cndmask_b32 v19, v19, v6
	v_cmp_eq_u32_e32 vcc_lo, 3, v0
	v_dual_cndmask_b32 v20, v18, v9 :: v_dual_cndmask_b32 v21, v19, v8
	v_cmp_eq_u32_e32 vcc_lo, 4, v0
	ds_load_b64 v[18:19], v50
	v_dual_cndmask_b32 v20, v20, v11 :: v_dual_cndmask_b32 v21, v21, v10
	v_cmp_eq_u32_e32 vcc_lo, 5, v0
	s_delay_alu instid0(VALU_DEP_2) | instskip(NEXT) | instid1(VALU_DEP_3)
	v_cndmask_b32_e32 v20, v20, v13, vcc_lo
	v_cndmask_b32_e32 v22, v21, v12, vcc_lo
	v_cmp_eq_u32_e32 vcc_lo, 6, v0
	s_delay_alu instid0(VALU_DEP_2) | instskip(SKIP_1) | instid1(VALU_DEP_1)
	v_dual_cndmask_b32 v21, v20, v15 :: v_dual_cndmask_b32 v20, v22, v14
	s_waitcnt lgkmcnt(0)
	v_mul_f64 v[18:19], v[20:21], v[18:19]
	s_cbranch_execz .LBB6_9
	s_branch .LBB6_10
.LBB6_7:
                                        ; implicit-def: $vgpr18_vgpr19_vgpr20_vgpr21_vgpr22_vgpr23_vgpr24_vgpr25_vgpr26_vgpr27_vgpr28_vgpr29_vgpr30_vgpr31_vgpr32_vgpr33
	s_cbranch_execnz .LBB6_84
	s_branch .LBB6_139
.LBB6_8:
                                        ; implicit-def: $vgpr18_vgpr19
.LBB6_9:
	ds_load_b64 v[18:19], v50
.LBB6_10:
	v_mov_b32_e32 v20, 0
	v_dual_mov_b32 v22, v6 :: v_dual_mov_b32 v25, v9
	v_dual_mov_b32 v24, v8 :: v_dual_mov_b32 v27, v11
	ds_load_b64 v[20:21], v20 offset:40
	v_dual_mov_b32 v26, v10 :: v_dual_mov_b32 v31, v15
	v_dual_mov_b32 v30, v14 :: v_dual_mov_b32 v23, v7
	s_waitcnt lgkmcnt(0)
	v_mul_f64 v[28:29], v[18:19], v[20:21]
	v_dual_mov_b32 v18, v2 :: v_dual_mov_b32 v21, v5
	v_dual_mov_b32 v19, v3 :: v_dual_mov_b32 v20, v4
.LBB6_11:
	s_or_b32 exec_lo, exec_lo, s1
	v_cmp_lt_u32_e64 s1, 4, v0
	ds_store_b64 v50, v[26:27]
	s_waitcnt lgkmcnt(0)
	s_barrier
	buffer_gl0_inv
	s_and_saveexec_b32 s2, s1
	s_cbranch_execz .LBB6_19
; %bb.12:
	s_and_not1_b32 vcc_lo, exec_lo, s7
	s_cbranch_vccnz .LBB6_14
; %bb.13:
	v_cmp_eq_u32_e32 vcc_lo, 1, v0
	v_dual_cndmask_b32 v32, v19, v21 :: v_dual_cndmask_b32 v33, v18, v20
	v_cmp_eq_u32_e32 vcc_lo, 2, v0
	s_delay_alu instid0(VALU_DEP_2) | instskip(SKIP_1) | instid1(VALU_DEP_2)
	v_dual_cndmask_b32 v32, v32, v23 :: v_dual_cndmask_b32 v33, v33, v22
	v_cmp_eq_u32_e32 vcc_lo, 3, v0
	v_dual_cndmask_b32 v48, v32, v25 :: v_dual_cndmask_b32 v49, v33, v24
	v_cmp_eq_u32_e32 vcc_lo, 4, v0
	ds_load_b64 v[32:33], v50
	v_dual_cndmask_b32 v27, v48, v27 :: v_dual_cndmask_b32 v26, v49, v26
	v_cmp_eq_u32_e32 vcc_lo, 5, v0
	s_delay_alu instid0(VALU_DEP_2) | instskip(SKIP_1) | instid1(VALU_DEP_2)
	v_dual_cndmask_b32 v27, v27, v29 :: v_dual_cndmask_b32 v26, v26, v28
	v_cmp_eq_u32_e32 vcc_lo, 6, v0
	v_dual_cndmask_b32 v27, v27, v31 :: v_dual_cndmask_b32 v26, v26, v30
	s_waitcnt lgkmcnt(0)
	s_delay_alu instid0(VALU_DEP_1)
	v_mul_f64 v[26:27], v[26:27], v[32:33]
	s_cbranch_execz .LBB6_15
	s_branch .LBB6_16
.LBB6_14:
                                        ; implicit-def: $vgpr26_vgpr27
.LBB6_15:
	ds_load_b64 v[26:27], v50
.LBB6_16:
	s_and_saveexec_b32 s3, s0
	s_cbranch_execz .LBB6_18
; %bb.17:
	v_mov_b32_e32 v32, 0
	ds_load_b64 v[32:33], v32 offset:104
	s_waitcnt lgkmcnt(0)
	v_fma_f64 v[26:27], v[28:29], v[32:33], v[26:27]
.LBB6_18:
	s_or_b32 exec_lo, exec_lo, s3
	v_mov_b32_e32 v32, 0
	ds_load_b64 v[32:33], v32 offset:32
	s_waitcnt lgkmcnt(0)
	v_mul_f64 v[26:27], v[26:27], v[32:33]
.LBB6_19:
	s_or_b32 exec_lo, exec_lo, s2
	v_cmp_lt_u32_e64 s0, 3, v0
	ds_store_b64 v50, v[24:25]
	s_waitcnt lgkmcnt(0)
	s_barrier
	buffer_gl0_inv
	s_and_saveexec_b32 s4, s0
	s_cbranch_execz .LBB6_35
; %bb.20:
	s_and_not1_b32 vcc_lo, exec_lo, s7
	s_cbranch_vccnz .LBB6_22
; %bb.21:
	v_cmp_eq_u32_e32 vcc_lo, 1, v0
	v_dual_cndmask_b32 v48, v19, v21 :: v_dual_cndmask_b32 v49, v18, v20
	v_cmp_eq_u32_e32 vcc_lo, 2, v0
	s_delay_alu instid0(VALU_DEP_2) | instskip(SKIP_1) | instid1(VALU_DEP_2)
	v_dual_cndmask_b32 v48, v48, v23 :: v_dual_cndmask_b32 v49, v49, v22
	v_cmp_eq_u32_e32 vcc_lo, 3, v0
	v_dual_cndmask_b32 v51, v48, v25 :: v_dual_cndmask_b32 v52, v49, v24
	v_cmp_eq_u32_e32 vcc_lo, 4, v0
	ds_load_b64 v[48:49], v50
	v_dual_cndmask_b32 v51, v51, v27 :: v_dual_cndmask_b32 v52, v52, v26
	v_cmp_eq_u32_e32 vcc_lo, 5, v0
	s_delay_alu instid0(VALU_DEP_2) | instskip(NEXT) | instid1(VALU_DEP_3)
	v_cndmask_b32_e32 v51, v51, v29, vcc_lo
	v_cndmask_b32_e32 v53, v52, v28, vcc_lo
	v_cmp_eq_u32_e32 vcc_lo, 6, v0
	s_delay_alu instid0(VALU_DEP_2) | instskip(SKIP_1) | instid1(VALU_DEP_1)
	v_dual_cndmask_b32 v52, v51, v31 :: v_dual_cndmask_b32 v51, v53, v30
	s_waitcnt lgkmcnt(0)
	v_mul_f64 v[48:49], v[51:52], v[48:49]
	s_cbranch_execz .LBB6_23
	s_branch .LBB6_24
.LBB6_22:
                                        ; implicit-def: $vgpr48_vgpr49
.LBB6_23:
	ds_load_b64 v[48:49], v50
.LBB6_24:
	s_and_saveexec_b32 s5, s1
	s_cbranch_execz .LBB6_34
; %bb.25:
	v_dual_mov_b32 v53, 4 :: v_dual_add_nc_u32 v52, -5, v0
	v_add_nc_u32_e32 v51, -4, v0
	s_mov_b32 s1, exec_lo
	s_delay_alu instid0(VALU_DEP_2)
	v_cmpx_lt_u32_e32 6, v52
	s_cbranch_execz .LBB6_29
; %bb.26:
	s_delay_alu instid0(VALU_DEP_2) | instskip(SKIP_3) | instid1(VALU_DEP_1)
	v_and_b32_e32 v52, -8, v51
	s_mov_b32 s6, 0
	s_mov_b64 s[2:3], 5
	s_movk_i32 s8, 0x60
	v_sub_nc_u32_e32 v52, 0, v52
.LBB6_27:                               ; =>This Inner Loop Header: Depth=1
	v_mov_b32_e32 v63, s8
	s_lshl_b32 s9, s2, 1
	s_delay_alu instid0(SALU_CYCLE_1)
	s_add_i32 m0, s9, -1
	s_add_i32 s10, s9, 3
	ds_load_b128 v[53:56], v63
	ds_load_b128 v[57:60], v63 offset:16
	v_movrels_b32_e32 v62, v18
	s_add_i32 m0, s9, -2
	s_add_i32 s11, s9, 2
	v_movrels_b32_e32 v61, v18
	s_mov_b32 m0, s9
	s_waitcnt lgkmcnt(1)
	s_delay_alu instid0(VALU_DEP_1) | instskip(SKIP_4) | instid1(VALU_DEP_1)
	v_fma_f64 v[48:49], v[61:62], v[53:54], v[48:49]
	v_movrels_b32_e32 v54, v19
	v_movrels_b32_e32 v53, v18
	s_mov_b32 m0, s10
	s_add_i32 s10, s9, 5
	v_fma_f64 v[48:49], v[53:54], v[55:56], v[48:49]
	v_movrels_b32_e32 v54, v18
	s_mov_b32 m0, s11
	s_add_i32 s11, s9, 4
	v_movrels_b32_e32 v53, v18
	s_mov_b32 m0, s10
	s_add_i32 s10, s9, 7
	s_waitcnt lgkmcnt(0)
	s_delay_alu instid0(VALU_DEP_1)
	v_fma_f64 v[48:49], v[53:54], v[57:58], v[48:49]
	v_movrels_b32_e32 v54, v18
	s_mov_b32 m0, s11
	s_add_i32 s11, s9, 6
	v_movrels_b32_e32 v53, v18
	s_mov_b32 m0, s10
	s_add_i32 s10, s9, 9
	;; [unrolled: 3-line block ×4, first 2 shown]
	v_fma_f64 v[48:49], v[53:54], v[59:60], v[48:49]
	ds_load_b128 v[53:56], v63 offset:32
	ds_load_b128 v[57:60], v63 offset:48
	s_waitcnt lgkmcnt(1)
	v_fma_f64 v[48:49], v[61:62], v[53:54], v[48:49]
	v_movrels_b32_e32 v54, v18
	s_mov_b32 m0, s11
	s_add_i32 s11, s9, 10
	v_movrels_b32_e32 v53, v18
	s_mov_b32 m0, s10
	s_add_i32 s10, s9, 13
	s_add_i32 s9, s9, 12
	s_add_u32 s2, s2, 8
	s_addc_u32 s3, s3, 0
	s_add_i32 s8, s8, 64
	s_delay_alu instid0(VALU_DEP_3)
	v_fma_f64 v[48:49], v[53:54], v[55:56], v[48:49]
	v_movrels_b32_e32 v54, v18
	s_mov_b32 m0, s11
	v_movrels_b32_e32 v53, v18
	s_mov_b32 m0, s10
	s_waitcnt lgkmcnt(0)
	s_delay_alu instid0(VALU_DEP_1) | instskip(SKIP_4) | instid1(VALU_DEP_1)
	v_fma_f64 v[48:49], v[53:54], v[57:58], v[48:49]
	v_movrels_b32_e32 v54, v18
	s_mov_b32 m0, s9
	s_add_i32 s9, s2, -1
	v_movrels_b32_e32 v53, v18
	v_fma_f64 v[48:49], v[53:54], v[59:60], v[48:49]
	v_add_nc_u32_e32 v53, s2, v52
	s_delay_alu instid0(VALU_DEP_1) | instskip(SKIP_2) | instid1(SALU_CYCLE_1)
	v_cmp_eq_u32_e32 vcc_lo, 5, v53
	v_mov_b32_e32 v53, s9
	s_or_b32 s6, vcc_lo, s6
	s_and_not1_b32 exec_lo, exec_lo, s6
	s_cbranch_execnz .LBB6_27
; %bb.28:
	s_or_b32 exec_lo, exec_lo, s6
.LBB6_29:
	s_delay_alu instid0(SALU_CYCLE_1) | instskip(SKIP_3) | instid1(VALU_DEP_1)
	s_or_b32 exec_lo, exec_lo, s1
	v_and_b32_e32 v32, 7, v51
	s_mov_b32 s3, 0
	s_mov_b32 s2, exec_lo
	v_cmpx_ne_u32_e32 0, v32
	s_cbranch_execz .LBB6_33
; %bb.30:
	v_lshl_add_u32 v33, v53, 3, 64
	v_mov_b32_e32 v51, 0
	s_set_inst_prefetch_distance 0x1
	.p2align	6
.LBB6_31:                               ; =>This Inner Loop Header: Depth=1
	v_cmp_eq_u32_e32 vcc_lo, 1, v53
	v_cmp_eq_u32_e64 s1, 2, v53
	v_add_nc_u32_e32 v32, -1, v32
	v_cndmask_b32_e32 v52, v19, v21, vcc_lo
	v_cndmask_b32_e32 v54, v18, v20, vcc_lo
	v_cmp_eq_u32_e32 vcc_lo, 3, v53
	s_delay_alu instid0(VALU_DEP_3) | instskip(NEXT) | instid1(VALU_DEP_3)
	v_cndmask_b32_e64 v52, v52, v23, s1
	v_cndmask_b32_e64 v56, v54, v22, s1
	ds_load_b64 v[54:55], v33
	v_add_nc_u32_e32 v33, 8, v33
	v_cmp_eq_u32_e64 s1, 4, v53
	v_cndmask_b32_e32 v52, v52, v25, vcc_lo
	v_cndmask_b32_e32 v56, v56, v24, vcc_lo
	v_cmp_eq_u32_e32 vcc_lo, 5, v53
	s_delay_alu instid0(VALU_DEP_3) | instskip(NEXT) | instid1(VALU_DEP_3)
	v_cndmask_b32_e64 v52, v52, v27, s1
	v_cndmask_b32_e64 v56, v56, v26, s1
	v_cmp_eq_u32_e64 s1, 6, v53
	s_delay_alu instid0(VALU_DEP_3) | instskip(NEXT) | instid1(VALU_DEP_3)
	v_cndmask_b32_e32 v52, v52, v29, vcc_lo
	v_cndmask_b32_e32 v56, v56, v28, vcc_lo
	v_cmp_eq_u32_e32 vcc_lo, 0, v32
	s_delay_alu instid0(VALU_DEP_3) | instskip(NEXT) | instid1(VALU_DEP_3)
	v_cndmask_b32_e64 v57, v52, v31, s1
	v_cndmask_b32_e64 v56, v56, v30, s1
	v_add_co_u32 v53, s1, v53, 1
	s_delay_alu instid0(VALU_DEP_1) | instskip(SKIP_1) | instid1(VALU_DEP_3)
	v_add_co_ci_u32_e64 v51, s1, 0, v51, s1
	s_waitcnt lgkmcnt(0)
	v_fma_f64 v[48:49], v[56:57], v[54:55], v[48:49]
	s_or_b32 s3, vcc_lo, s3
	s_delay_alu instid0(SALU_CYCLE_1)
	s_and_not1_b32 exec_lo, exec_lo, s3
	s_cbranch_execnz .LBB6_31
; %bb.32:
	s_set_inst_prefetch_distance 0x2
	s_or_b32 exec_lo, exec_lo, s3
.LBB6_33:
	s_delay_alu instid0(SALU_CYCLE_1)
	s_or_b32 exec_lo, exec_lo, s2
.LBB6_34:
	s_delay_alu instid0(SALU_CYCLE_1)
	s_or_b32 exec_lo, exec_lo, s5
	v_mov_b32_e32 v24, 0
	ds_load_b64 v[24:25], v24 offset:24
	s_waitcnt lgkmcnt(0)
	v_mul_f64 v[24:25], v[48:49], v[24:25]
.LBB6_35:
	s_or_b32 exec_lo, exec_lo, s4
	v_cmp_lt_u32_e64 s1, 2, v0
	ds_store_b64 v50, v[22:23]
	s_waitcnt lgkmcnt(0)
	s_barrier
	buffer_gl0_inv
	s_and_saveexec_b32 s4, s1
	s_cbranch_execz .LBB6_51
; %bb.36:
	s_and_not1_b32 vcc_lo, exec_lo, s7
	s_cbranch_vccnz .LBB6_38
; %bb.37:
	v_cmp_eq_u32_e32 vcc_lo, 1, v0
	v_dual_cndmask_b32 v48, v19, v21 :: v_dual_cndmask_b32 v49, v18, v20
	v_cmp_eq_u32_e32 vcc_lo, 2, v0
	s_delay_alu instid0(VALU_DEP_2) | instskip(SKIP_1) | instid1(VALU_DEP_2)
	v_dual_cndmask_b32 v48, v48, v23 :: v_dual_cndmask_b32 v49, v49, v22
	v_cmp_eq_u32_e32 vcc_lo, 3, v0
	v_dual_cndmask_b32 v51, v48, v25 :: v_dual_cndmask_b32 v52, v49, v24
	v_cmp_eq_u32_e32 vcc_lo, 4, v0
	ds_load_b64 v[48:49], v50
	v_dual_cndmask_b32 v51, v51, v27 :: v_dual_cndmask_b32 v52, v52, v26
	v_cmp_eq_u32_e32 vcc_lo, 5, v0
	s_delay_alu instid0(VALU_DEP_2) | instskip(NEXT) | instid1(VALU_DEP_3)
	v_cndmask_b32_e32 v51, v51, v29, vcc_lo
	v_cndmask_b32_e32 v53, v52, v28, vcc_lo
	v_cmp_eq_u32_e32 vcc_lo, 6, v0
	s_delay_alu instid0(VALU_DEP_2) | instskip(SKIP_1) | instid1(VALU_DEP_1)
	v_dual_cndmask_b32 v52, v51, v31 :: v_dual_cndmask_b32 v51, v53, v30
	s_waitcnt lgkmcnt(0)
	v_mul_f64 v[48:49], v[51:52], v[48:49]
	s_cbranch_execz .LBB6_39
	s_branch .LBB6_40
.LBB6_38:
                                        ; implicit-def: $vgpr48_vgpr49
.LBB6_39:
	ds_load_b64 v[48:49], v50
.LBB6_40:
	s_and_saveexec_b32 s5, s0
	s_cbranch_execz .LBB6_50
; %bb.41:
	v_dual_mov_b32 v53, 3 :: v_dual_add_nc_u32 v52, -4, v0
	v_add_nc_u32_e32 v51, -3, v0
	s_mov_b32 s0, exec_lo
	s_delay_alu instid0(VALU_DEP_2)
	v_cmpx_lt_u32_e32 6, v52
	s_cbranch_execz .LBB6_45
; %bb.42:
	s_delay_alu instid0(VALU_DEP_2) | instskip(SKIP_3) | instid1(VALU_DEP_1)
	v_and_b32_e32 v52, -8, v51
	s_mov_b32 s6, 0
	s_mov_b64 s[2:3], 10
	s_movk_i32 s8, 0x58
	v_sub_nc_u32_e32 v52, 0, v52
.LBB6_43:                               ; =>This Inner Loop Header: Depth=1
	v_mov_b32_e32 v63, s8
	s_lshl_b32 s9, s2, 1
	s_delay_alu instid0(SALU_CYCLE_1)
	s_add_i32 m0, s9, -13
	v_movrels_b32_e32 v62, v18
	ds_load_2addr_b64 v[53:56], v63 offset1:1
	ds_load_2addr_b64 v[57:60], v63 offset0:2 offset1:3
	s_add_i32 m0, s9, -14
	v_movrels_b32_e32 v61, v18
	s_add_i32 m0, s9, -11
	s_waitcnt lgkmcnt(1)
	s_delay_alu instid0(VALU_DEP_1) | instskip(SKIP_4) | instid1(VALU_DEP_1)
	v_fma_f64 v[48:49], v[61:62], v[53:54], v[48:49]
	v_movrels_b32_e32 v54, v18
	s_add_i32 m0, s9, -12
	v_movrels_b32_e32 v53, v18
	s_add_i32 m0, s9, -9
	v_fma_f64 v[48:49], v[53:54], v[55:56], v[48:49]
	v_movrels_b32_e32 v54, v18
	s_add_i32 m0, s9, -10
	v_movrels_b32_e32 v53, v18
	s_add_i32 m0, s9, -7
	s_waitcnt lgkmcnt(0)
	s_delay_alu instid0(VALU_DEP_1)
	v_fma_f64 v[48:49], v[53:54], v[57:58], v[48:49]
	v_movrels_b32_e32 v54, v18
	s_add_i32 m0, s9, -8
	v_movrels_b32_e32 v53, v18
	s_add_i32 m0, s9, -5
	v_movrels_b32_e32 v62, v18
	s_add_i32 m0, s9, -6
	v_movrels_b32_e32 v61, v18
	s_add_i32 m0, s9, -3
	v_fma_f64 v[48:49], v[53:54], v[59:60], v[48:49]
	ds_load_2addr_b64 v[53:56], v63 offset0:4 offset1:5
	ds_load_2addr_b64 v[57:60], v63 offset0:6 offset1:7
	s_waitcnt lgkmcnt(1)
	v_fma_f64 v[48:49], v[61:62], v[53:54], v[48:49]
	v_movrels_b32_e32 v54, v18
	s_add_i32 m0, s9, -4
	v_movrels_b32_e32 v53, v18
	s_add_i32 m0, s9, -1
	s_delay_alu instid0(VALU_DEP_1)
	v_fma_f64 v[48:49], v[53:54], v[55:56], v[48:49]
	v_movrels_b32_e32 v54, v18
	s_add_i32 m0, s9, -2
	s_add_u32 s2, s2, 8
	v_movrels_b32_e32 v53, v18
	s_mov_b32 m0, s9
	s_addc_u32 s3, s3, 0
	s_add_i32 s9, s2, -7
	s_add_i32 s8, s8, 64
	s_waitcnt lgkmcnt(0)
	s_delay_alu instid0(VALU_DEP_3) | instskip(SKIP_2) | instid1(VALU_DEP_1)
	v_fma_f64 v[48:49], v[53:54], v[57:58], v[48:49]
	v_movrels_b32_e32 v54, v19
	v_movrels_b32_e32 v53, v18
	v_fma_f64 v[48:49], v[53:54], v[59:60], v[48:49]
	v_add_nc_u32_e32 v53, s2, v52
	s_delay_alu instid0(VALU_DEP_1) | instskip(SKIP_2) | instid1(SALU_CYCLE_1)
	v_cmp_eq_u32_e32 vcc_lo, 10, v53
	v_mov_b32_e32 v53, s9
	s_or_b32 s6, vcc_lo, s6
	s_and_not1_b32 exec_lo, exec_lo, s6
	s_cbranch_execnz .LBB6_43
; %bb.44:
	s_or_b32 exec_lo, exec_lo, s6
.LBB6_45:
	s_delay_alu instid0(SALU_CYCLE_1) | instskip(SKIP_3) | instid1(VALU_DEP_1)
	s_or_b32 exec_lo, exec_lo, s0
	v_and_b32_e32 v32, 7, v51
	s_mov_b32 s3, 0
	s_mov_b32 s2, exec_lo
	v_cmpx_ne_u32_e32 0, v32
	s_cbranch_execz .LBB6_49
; %bb.46:
	v_lshl_add_u32 v33, v53, 3, 64
	v_mov_b32_e32 v51, 0
	s_set_inst_prefetch_distance 0x1
	.p2align	6
.LBB6_47:                               ; =>This Inner Loop Header: Depth=1
	v_cmp_eq_u32_e32 vcc_lo, 1, v53
	v_cmp_eq_u32_e64 s0, 2, v53
	v_add_nc_u32_e32 v32, -1, v32
	v_cndmask_b32_e32 v52, v19, v21, vcc_lo
	v_cndmask_b32_e32 v54, v18, v20, vcc_lo
	v_cmp_eq_u32_e32 vcc_lo, 3, v53
	s_delay_alu instid0(VALU_DEP_3) | instskip(NEXT) | instid1(VALU_DEP_3)
	v_cndmask_b32_e64 v52, v52, v23, s0
	v_cndmask_b32_e64 v56, v54, v22, s0
	ds_load_b64 v[54:55], v33
	v_add_nc_u32_e32 v33, 8, v33
	v_cmp_eq_u32_e64 s0, 4, v53
	v_cndmask_b32_e32 v52, v52, v25, vcc_lo
	v_cndmask_b32_e32 v56, v56, v24, vcc_lo
	v_cmp_eq_u32_e32 vcc_lo, 5, v53
	s_delay_alu instid0(VALU_DEP_3) | instskip(NEXT) | instid1(VALU_DEP_3)
	v_cndmask_b32_e64 v52, v52, v27, s0
	v_cndmask_b32_e64 v56, v56, v26, s0
	v_cmp_eq_u32_e64 s0, 6, v53
	s_delay_alu instid0(VALU_DEP_3) | instskip(NEXT) | instid1(VALU_DEP_3)
	v_cndmask_b32_e32 v52, v52, v29, vcc_lo
	v_cndmask_b32_e32 v56, v56, v28, vcc_lo
	v_cmp_eq_u32_e32 vcc_lo, 0, v32
	s_delay_alu instid0(VALU_DEP_3) | instskip(NEXT) | instid1(VALU_DEP_3)
	v_cndmask_b32_e64 v57, v52, v31, s0
	v_cndmask_b32_e64 v56, v56, v30, s0
	v_add_co_u32 v53, s0, v53, 1
	s_delay_alu instid0(VALU_DEP_1) | instskip(SKIP_1) | instid1(VALU_DEP_3)
	v_add_co_ci_u32_e64 v51, s0, 0, v51, s0
	s_waitcnt lgkmcnt(0)
	v_fma_f64 v[48:49], v[56:57], v[54:55], v[48:49]
	s_or_b32 s3, vcc_lo, s3
	s_delay_alu instid0(SALU_CYCLE_1)
	s_and_not1_b32 exec_lo, exec_lo, s3
	s_cbranch_execnz .LBB6_47
; %bb.48:
	s_set_inst_prefetch_distance 0x2
	s_or_b32 exec_lo, exec_lo, s3
.LBB6_49:
	s_delay_alu instid0(SALU_CYCLE_1)
	s_or_b32 exec_lo, exec_lo, s2
.LBB6_50:
	s_delay_alu instid0(SALU_CYCLE_1)
	s_or_b32 exec_lo, exec_lo, s5
	v_mov_b32_e32 v22, 0
	ds_load_b64 v[22:23], v22 offset:16
	s_waitcnt lgkmcnt(0)
	v_mul_f64 v[22:23], v[48:49], v[22:23]
.LBB6_51:
	s_or_b32 exec_lo, exec_lo, s4
	v_cmp_lt_u32_e64 s0, 1, v0
	ds_store_b64 v50, v[20:21]
	s_waitcnt lgkmcnt(0)
	s_barrier
	buffer_gl0_inv
	s_and_saveexec_b32 s4, s0
	s_cbranch_execz .LBB6_67
; %bb.52:
	s_and_not1_b32 vcc_lo, exec_lo, s7
	s_cbranch_vccnz .LBB6_54
; %bb.53:
	v_cmp_eq_u32_e32 vcc_lo, 1, v0
	v_dual_cndmask_b32 v48, v19, v21 :: v_dual_cndmask_b32 v49, v18, v20
	v_cmp_eq_u32_e32 vcc_lo, 2, v0
	s_delay_alu instid0(VALU_DEP_2) | instskip(SKIP_1) | instid1(VALU_DEP_2)
	v_dual_cndmask_b32 v48, v48, v23 :: v_dual_cndmask_b32 v49, v49, v22
	v_cmp_eq_u32_e32 vcc_lo, 3, v0
	v_dual_cndmask_b32 v51, v48, v25 :: v_dual_cndmask_b32 v52, v49, v24
	v_cmp_eq_u32_e32 vcc_lo, 4, v0
	ds_load_b64 v[48:49], v50
	v_dual_cndmask_b32 v51, v51, v27 :: v_dual_cndmask_b32 v52, v52, v26
	v_cmp_eq_u32_e32 vcc_lo, 5, v0
	s_delay_alu instid0(VALU_DEP_2) | instskip(NEXT) | instid1(VALU_DEP_3)
	v_cndmask_b32_e32 v51, v51, v29, vcc_lo
	v_cndmask_b32_e32 v53, v52, v28, vcc_lo
	v_cmp_eq_u32_e32 vcc_lo, 6, v0
	s_delay_alu instid0(VALU_DEP_2) | instskip(SKIP_1) | instid1(VALU_DEP_1)
	v_dual_cndmask_b32 v52, v51, v31 :: v_dual_cndmask_b32 v51, v53, v30
	s_waitcnt lgkmcnt(0)
	v_mul_f64 v[48:49], v[51:52], v[48:49]
	s_cbranch_execz .LBB6_55
	s_branch .LBB6_56
.LBB6_54:
                                        ; implicit-def: $vgpr48_vgpr49
.LBB6_55:
	ds_load_b64 v[48:49], v50
.LBB6_56:
	s_and_saveexec_b32 s5, s1
	s_cbranch_execz .LBB6_66
; %bb.57:
	v_dual_mov_b32 v53, 2 :: v_dual_add_nc_u32 v52, -3, v0
	v_add_nc_u32_e32 v51, -2, v0
	s_mov_b32 s1, exec_lo
	s_delay_alu instid0(VALU_DEP_2)
	v_cmpx_lt_u32_e32 6, v52
	s_cbranch_execz .LBB6_61
; %bb.58:
	s_delay_alu instid0(VALU_DEP_2) | instskip(SKIP_3) | instid1(VALU_DEP_1)
	v_and_b32_e32 v52, -8, v51
	s_mov_b32 s6, 0
	s_mov_b64 s[2:3], 9
	s_movk_i32 s8, 0x50
	v_sub_nc_u32_e32 v52, 0, v52
.LBB6_59:                               ; =>This Inner Loop Header: Depth=1
	v_mov_b32_e32 v63, s8
	s_lshl_b32 s9, s2, 1
	s_delay_alu instid0(SALU_CYCLE_1)
	s_add_i32 m0, s9, -13
	v_movrels_b32_e32 v62, v18
	ds_load_b128 v[53:56], v63
	ds_load_b128 v[57:60], v63 offset:16
	s_add_i32 m0, s9, -14
	v_movrels_b32_e32 v61, v18
	s_add_i32 m0, s9, -11
	s_waitcnt lgkmcnt(1)
	s_delay_alu instid0(VALU_DEP_1) | instskip(SKIP_4) | instid1(VALU_DEP_1)
	v_fma_f64 v[48:49], v[61:62], v[53:54], v[48:49]
	v_movrels_b32_e32 v54, v18
	s_add_i32 m0, s9, -12
	v_movrels_b32_e32 v53, v18
	s_add_i32 m0, s9, -9
	v_fma_f64 v[48:49], v[53:54], v[55:56], v[48:49]
	v_movrels_b32_e32 v54, v18
	s_add_i32 m0, s9, -10
	v_movrels_b32_e32 v53, v18
	s_add_i32 m0, s9, -7
	s_waitcnt lgkmcnt(0)
	s_delay_alu instid0(VALU_DEP_1)
	v_fma_f64 v[48:49], v[53:54], v[57:58], v[48:49]
	v_movrels_b32_e32 v54, v18
	s_add_i32 m0, s9, -8
	v_movrels_b32_e32 v53, v18
	s_add_i32 m0, s9, -5
	;; [unrolled: 2-line block ×4, first 2 shown]
	v_fma_f64 v[48:49], v[53:54], v[59:60], v[48:49]
	ds_load_b128 v[53:56], v63 offset:32
	ds_load_b128 v[57:60], v63 offset:48
	s_waitcnt lgkmcnt(1)
	v_fma_f64 v[48:49], v[61:62], v[53:54], v[48:49]
	v_movrels_b32_e32 v54, v18
	s_add_i32 m0, s9, -4
	v_movrels_b32_e32 v53, v18
	s_add_i32 m0, s9, -1
	s_delay_alu instid0(VALU_DEP_1)
	v_fma_f64 v[48:49], v[53:54], v[55:56], v[48:49]
	v_movrels_b32_e32 v54, v18
	s_add_i32 m0, s9, -2
	s_add_u32 s2, s2, 8
	v_movrels_b32_e32 v53, v18
	s_mov_b32 m0, s9
	s_addc_u32 s3, s3, 0
	s_add_i32 s9, s2, -7
	s_add_i32 s8, s8, 64
	s_waitcnt lgkmcnt(0)
	s_delay_alu instid0(VALU_DEP_3) | instskip(SKIP_2) | instid1(VALU_DEP_1)
	v_fma_f64 v[48:49], v[53:54], v[57:58], v[48:49]
	v_movrels_b32_e32 v54, v19
	v_movrels_b32_e32 v53, v18
	v_fma_f64 v[48:49], v[53:54], v[59:60], v[48:49]
	v_add_nc_u32_e32 v53, s2, v52
	s_delay_alu instid0(VALU_DEP_1) | instskip(SKIP_2) | instid1(SALU_CYCLE_1)
	v_cmp_eq_u32_e32 vcc_lo, 9, v53
	v_mov_b32_e32 v53, s9
	s_or_b32 s6, vcc_lo, s6
	s_and_not1_b32 exec_lo, exec_lo, s6
	s_cbranch_execnz .LBB6_59
; %bb.60:
	s_or_b32 exec_lo, exec_lo, s6
.LBB6_61:
	s_delay_alu instid0(SALU_CYCLE_1) | instskip(SKIP_3) | instid1(VALU_DEP_1)
	s_or_b32 exec_lo, exec_lo, s1
	v_and_b32_e32 v32, 7, v51
	s_mov_b32 s3, 0
	s_mov_b32 s2, exec_lo
	v_cmpx_ne_u32_e32 0, v32
	s_cbranch_execz .LBB6_65
; %bb.62:
	v_lshl_add_u32 v33, v53, 3, 64
	v_mov_b32_e32 v51, 0
	s_set_inst_prefetch_distance 0x1
	.p2align	6
.LBB6_63:                               ; =>This Inner Loop Header: Depth=1
	v_cmp_eq_u32_e32 vcc_lo, 1, v53
	v_cmp_eq_u32_e64 s1, 2, v53
	v_add_nc_u32_e32 v32, -1, v32
	v_cndmask_b32_e32 v52, v19, v21, vcc_lo
	v_cndmask_b32_e32 v54, v18, v20, vcc_lo
	v_cmp_eq_u32_e32 vcc_lo, 3, v53
	s_delay_alu instid0(VALU_DEP_3) | instskip(NEXT) | instid1(VALU_DEP_3)
	v_cndmask_b32_e64 v52, v52, v23, s1
	v_cndmask_b32_e64 v56, v54, v22, s1
	ds_load_b64 v[54:55], v33
	v_add_nc_u32_e32 v33, 8, v33
	v_cmp_eq_u32_e64 s1, 4, v53
	v_cndmask_b32_e32 v52, v52, v25, vcc_lo
	v_cndmask_b32_e32 v56, v56, v24, vcc_lo
	v_cmp_eq_u32_e32 vcc_lo, 5, v53
	s_delay_alu instid0(VALU_DEP_3) | instskip(NEXT) | instid1(VALU_DEP_3)
	v_cndmask_b32_e64 v52, v52, v27, s1
	v_cndmask_b32_e64 v56, v56, v26, s1
	v_cmp_eq_u32_e64 s1, 6, v53
	s_delay_alu instid0(VALU_DEP_3) | instskip(NEXT) | instid1(VALU_DEP_3)
	v_cndmask_b32_e32 v52, v52, v29, vcc_lo
	v_cndmask_b32_e32 v56, v56, v28, vcc_lo
	v_cmp_eq_u32_e32 vcc_lo, 0, v32
	s_delay_alu instid0(VALU_DEP_3) | instskip(NEXT) | instid1(VALU_DEP_3)
	v_cndmask_b32_e64 v57, v52, v31, s1
	v_cndmask_b32_e64 v56, v56, v30, s1
	v_add_co_u32 v53, s1, v53, 1
	s_delay_alu instid0(VALU_DEP_1) | instskip(SKIP_1) | instid1(VALU_DEP_3)
	v_add_co_ci_u32_e64 v51, s1, 0, v51, s1
	s_waitcnt lgkmcnt(0)
	v_fma_f64 v[48:49], v[56:57], v[54:55], v[48:49]
	s_or_b32 s3, vcc_lo, s3
	s_delay_alu instid0(SALU_CYCLE_1)
	s_and_not1_b32 exec_lo, exec_lo, s3
	s_cbranch_execnz .LBB6_63
; %bb.64:
	s_set_inst_prefetch_distance 0x2
	s_or_b32 exec_lo, exec_lo, s3
.LBB6_65:
	s_delay_alu instid0(SALU_CYCLE_1)
	s_or_b32 exec_lo, exec_lo, s2
.LBB6_66:
	s_delay_alu instid0(SALU_CYCLE_1)
	s_or_b32 exec_lo, exec_lo, s5
	v_mov_b32_e32 v20, 0
	ds_load_b64 v[20:21], v20 offset:8
	s_waitcnt lgkmcnt(0)
	v_mul_f64 v[20:21], v[48:49], v[20:21]
.LBB6_67:
	s_or_b32 exec_lo, exec_lo, s4
	s_mov_b32 s2, 0
	s_mov_b32 s3, exec_lo
	ds_store_b64 v50, v[18:19]
	s_waitcnt lgkmcnt(0)
	s_barrier
	buffer_gl0_inv
	v_cmpx_ne_u32_e32 0, v0
	s_cbranch_execz .LBB6_83
; %bb.68:
	s_and_not1_b32 vcc_lo, exec_lo, s7
	s_cbranch_vccnz .LBB6_70
; %bb.69:
	v_cmp_eq_u32_e32 vcc_lo, 1, v0
	v_dual_cndmask_b32 v48, v19, v21 :: v_dual_cndmask_b32 v49, v18, v20
	v_cmp_eq_u32_e32 vcc_lo, 2, v0
	s_delay_alu instid0(VALU_DEP_2) | instskip(SKIP_1) | instid1(VALU_DEP_2)
	v_dual_cndmask_b32 v48, v48, v23 :: v_dual_cndmask_b32 v49, v49, v22
	v_cmp_eq_u32_e32 vcc_lo, 3, v0
	v_dual_cndmask_b32 v51, v48, v25 :: v_dual_cndmask_b32 v52, v49, v24
	v_cmp_eq_u32_e32 vcc_lo, 4, v0
	ds_load_b64 v[48:49], v50
	v_dual_cndmask_b32 v51, v51, v27 :: v_dual_cndmask_b32 v52, v52, v26
	v_cmp_eq_u32_e32 vcc_lo, 5, v0
	s_delay_alu instid0(VALU_DEP_2) | instskip(NEXT) | instid1(VALU_DEP_3)
	v_cndmask_b32_e32 v51, v51, v29, vcc_lo
	v_cndmask_b32_e32 v53, v52, v28, vcc_lo
	v_cmp_eq_u32_e32 vcc_lo, 6, v0
	s_delay_alu instid0(VALU_DEP_2) | instskip(SKIP_1) | instid1(VALU_DEP_1)
	v_dual_cndmask_b32 v52, v51, v31 :: v_dual_cndmask_b32 v51, v53, v30
	s_waitcnt lgkmcnt(0)
	v_mul_f64 v[48:49], v[51:52], v[48:49]
	s_cbranch_execz .LBB6_71
	s_branch .LBB6_72
.LBB6_70:
                                        ; implicit-def: $vgpr48_vgpr49
.LBB6_71:
	ds_load_b64 v[48:49], v50
.LBB6_72:
	s_and_saveexec_b32 s4, s0
	s_cbranch_execz .LBB6_82
; %bb.73:
	v_dual_mov_b32 v53, 1 :: v_dual_add_nc_u32 v52, -2, v0
	v_add_nc_u32_e32 v51, -1, v0
	s_mov_b32 s5, exec_lo
	s_delay_alu instid0(VALU_DEP_2)
	v_cmpx_lt_u32_e32 6, v52
	s_cbranch_execz .LBB6_77
; %bb.74:
	s_delay_alu instid0(VALU_DEP_2) | instskip(SKIP_3) | instid1(VALU_DEP_1)
	v_and_b32_e32 v52, -8, v51
	s_mov_b32 s6, 0
	s_mov_b64 s[0:1], 8
	s_movk_i32 s8, 0x48
	v_sub_nc_u32_e32 v52, 0, v52
.LBB6_75:                               ; =>This Inner Loop Header: Depth=1
	v_mov_b32_e32 v63, s8
	s_lshl_b32 s9, s0, 1
	s_delay_alu instid0(SALU_CYCLE_1)
	s_add_i32 m0, s9, -13
	v_movrels_b32_e32 v62, v18
	ds_load_2addr_b64 v[53:56], v63 offset1:1
	ds_load_2addr_b64 v[57:60], v63 offset0:2 offset1:3
	s_add_i32 m0, s9, -14
	v_movrels_b32_e32 v61, v18
	s_add_i32 m0, s9, -11
	s_waitcnt lgkmcnt(1)
	s_delay_alu instid0(VALU_DEP_1) | instskip(SKIP_4) | instid1(VALU_DEP_1)
	v_fma_f64 v[48:49], v[61:62], v[53:54], v[48:49]
	v_movrels_b32_e32 v54, v18
	s_add_i32 m0, s9, -12
	v_movrels_b32_e32 v53, v18
	s_add_i32 m0, s9, -9
	v_fma_f64 v[48:49], v[53:54], v[55:56], v[48:49]
	v_movrels_b32_e32 v54, v18
	s_add_i32 m0, s9, -10
	v_movrels_b32_e32 v53, v18
	s_add_i32 m0, s9, -7
	s_waitcnt lgkmcnt(0)
	s_delay_alu instid0(VALU_DEP_1)
	v_fma_f64 v[48:49], v[53:54], v[57:58], v[48:49]
	v_movrels_b32_e32 v54, v18
	s_add_i32 m0, s9, -8
	v_movrels_b32_e32 v53, v18
	s_add_i32 m0, s9, -5
	;; [unrolled: 2-line block ×4, first 2 shown]
	v_fma_f64 v[48:49], v[53:54], v[59:60], v[48:49]
	ds_load_2addr_b64 v[53:56], v63 offset0:4 offset1:5
	ds_load_2addr_b64 v[57:60], v63 offset0:6 offset1:7
	s_waitcnt lgkmcnt(1)
	v_fma_f64 v[48:49], v[61:62], v[53:54], v[48:49]
	v_movrels_b32_e32 v54, v18
	s_add_i32 m0, s9, -4
	v_movrels_b32_e32 v53, v18
	s_add_i32 m0, s9, -1
	s_delay_alu instid0(VALU_DEP_1)
	v_fma_f64 v[48:49], v[53:54], v[55:56], v[48:49]
	v_movrels_b32_e32 v54, v18
	s_add_i32 m0, s9, -2
	s_add_u32 s0, s0, 8
	v_movrels_b32_e32 v53, v18
	s_mov_b32 m0, s9
	s_addc_u32 s1, s1, 0
	s_add_i32 s9, s0, -7
	s_add_i32 s8, s8, 64
	s_waitcnt lgkmcnt(0)
	s_delay_alu instid0(VALU_DEP_3) | instskip(SKIP_2) | instid1(VALU_DEP_1)
	v_fma_f64 v[48:49], v[53:54], v[57:58], v[48:49]
	v_movrels_b32_e32 v54, v19
	v_movrels_b32_e32 v53, v18
	v_fma_f64 v[48:49], v[53:54], v[59:60], v[48:49]
	v_add_nc_u32_e32 v53, s0, v52
	s_delay_alu instid0(VALU_DEP_1) | instskip(SKIP_2) | instid1(SALU_CYCLE_1)
	v_cmp_eq_u32_e32 vcc_lo, 8, v53
	v_mov_b32_e32 v53, s9
	s_or_b32 s6, vcc_lo, s6
	s_and_not1_b32 exec_lo, exec_lo, s6
	s_cbranch_execnz .LBB6_75
; %bb.76:
	s_or_b32 exec_lo, exec_lo, s6
.LBB6_77:
	s_delay_alu instid0(SALU_CYCLE_1) | instskip(SKIP_3) | instid1(VALU_DEP_1)
	s_or_b32 exec_lo, exec_lo, s5
	v_and_b32_e32 v32, 7, v51
	s_mov_b32 s5, 0
	s_mov_b32 s1, exec_lo
	v_cmpx_ne_u32_e32 0, v32
	s_cbranch_execz .LBB6_81
; %bb.78:
	v_lshl_add_u32 v33, v53, 3, 64
	v_mov_b32_e32 v51, 0
	s_set_inst_prefetch_distance 0x1
	.p2align	6
.LBB6_79:                               ; =>This Inner Loop Header: Depth=1
	v_cmp_eq_u32_e32 vcc_lo, 1, v53
	v_cmp_eq_u32_e64 s0, 2, v53
	v_add_nc_u32_e32 v32, -1, v32
	v_cndmask_b32_e32 v52, v19, v21, vcc_lo
	v_cndmask_b32_e32 v54, v18, v20, vcc_lo
	v_cmp_eq_u32_e32 vcc_lo, 3, v53
	s_delay_alu instid0(VALU_DEP_3) | instskip(NEXT) | instid1(VALU_DEP_3)
	v_cndmask_b32_e64 v52, v52, v23, s0
	v_cndmask_b32_e64 v56, v54, v22, s0
	ds_load_b64 v[54:55], v33
	v_add_nc_u32_e32 v33, 8, v33
	v_cmp_eq_u32_e64 s0, 4, v53
	v_cndmask_b32_e32 v52, v52, v25, vcc_lo
	v_cndmask_b32_e32 v56, v56, v24, vcc_lo
	v_cmp_eq_u32_e32 vcc_lo, 5, v53
	s_delay_alu instid0(VALU_DEP_3) | instskip(NEXT) | instid1(VALU_DEP_3)
	v_cndmask_b32_e64 v52, v52, v27, s0
	v_cndmask_b32_e64 v56, v56, v26, s0
	v_cmp_eq_u32_e64 s0, 6, v53
	s_delay_alu instid0(VALU_DEP_3) | instskip(NEXT) | instid1(VALU_DEP_3)
	v_cndmask_b32_e32 v52, v52, v29, vcc_lo
	v_cndmask_b32_e32 v56, v56, v28, vcc_lo
	v_cmp_eq_u32_e32 vcc_lo, 0, v32
	s_delay_alu instid0(VALU_DEP_3) | instskip(NEXT) | instid1(VALU_DEP_3)
	v_cndmask_b32_e64 v57, v52, v31, s0
	v_cndmask_b32_e64 v56, v56, v30, s0
	v_add_co_u32 v53, s0, v53, 1
	s_delay_alu instid0(VALU_DEP_1) | instskip(SKIP_1) | instid1(VALU_DEP_3)
	v_add_co_ci_u32_e64 v51, s0, 0, v51, s0
	s_waitcnt lgkmcnt(0)
	v_fma_f64 v[48:49], v[56:57], v[54:55], v[48:49]
	s_or_b32 s5, vcc_lo, s5
	s_delay_alu instid0(SALU_CYCLE_1)
	s_and_not1_b32 exec_lo, exec_lo, s5
	s_cbranch_execnz .LBB6_79
; %bb.80:
	s_set_inst_prefetch_distance 0x2
	s_or_b32 exec_lo, exec_lo, s5
.LBB6_81:
	s_delay_alu instid0(SALU_CYCLE_1)
	s_or_b32 exec_lo, exec_lo, s1
.LBB6_82:
	s_delay_alu instid0(SALU_CYCLE_1)
	s_or_b32 exec_lo, exec_lo, s4
	v_mov_b32_e32 v18, 0
	ds_load_b64 v[18:19], v18
	s_waitcnt lgkmcnt(0)
	v_mul_f64 v[18:19], v[48:49], v[18:19]
.LBB6_83:
	s_or_b32 exec_lo, exec_lo, s3
	s_delay_alu instid0(SALU_CYCLE_1)
	s_and_b32 vcc_lo, exec_lo, s2
	s_cbranch_vccz .LBB6_139
.LBB6_84:
	v_cmp_eq_u32_e64 s0, 0, v0
	s_waitcnt vmcnt(6)
	ds_store_b64 v50, v[4:5]
	s_waitcnt vmcnt(0) lgkmcnt(0)
	s_barrier
	buffer_gl0_inv
	s_and_saveexec_b32 s1, s0
	s_cbranch_execz .LBB6_90
; %bb.85:
	s_and_b32 vcc_lo, exec_lo, s7
	s_cbranch_vccz .LBB6_87
; %bb.86:
	v_cmp_eq_u32_e32 vcc_lo, 1, v0
	v_dual_cndmask_b32 v5, v3, v5 :: v_dual_cndmask_b32 v4, v2, v4
	v_cmp_eq_u32_e32 vcc_lo, 2, v0
	s_delay_alu instid0(VALU_DEP_2) | instskip(SKIP_1) | instid1(VALU_DEP_2)
	v_dual_cndmask_b32 v5, v5, v7 :: v_dual_cndmask_b32 v4, v4, v6
	v_cmp_eq_u32_e32 vcc_lo, 3, v0
	v_dual_cndmask_b32 v16, v5, v9 :: v_dual_cndmask_b32 v17, v4, v8
	v_cmp_eq_u32_e32 vcc_lo, 4, v0
	ds_load_b64 v[4:5], v50
	v_dual_cndmask_b32 v16, v16, v11 :: v_dual_cndmask_b32 v17, v17, v10
	v_cmp_eq_u32_e32 vcc_lo, 5, v0
	s_delay_alu instid0(VALU_DEP_2) | instskip(NEXT) | instid1(VALU_DEP_3)
	v_cndmask_b32_e32 v16, v16, v13, vcc_lo
	v_cndmask_b32_e32 v18, v17, v12, vcc_lo
	v_cmp_eq_u32_e32 vcc_lo, 6, v0
	s_delay_alu instid0(VALU_DEP_2) | instskip(SKIP_1) | instid1(VALU_DEP_1)
	v_dual_cndmask_b32 v17, v16, v15 :: v_dual_cndmask_b32 v16, v18, v14
	s_waitcnt lgkmcnt(0)
	v_mul_f64 v[4:5], v[16:17], v[4:5]
	s_cbranch_execz .LBB6_88
	s_branch .LBB6_89
.LBB6_87:
                                        ; implicit-def: $vgpr4_vgpr5
.LBB6_88:
	ds_load_b64 v[4:5], v50
.LBB6_89:
	v_mov_b32_e32 v16, 0
	ds_load_b64 v[16:17], v16 offset:8
	s_waitcnt lgkmcnt(0)
	v_mul_f64 v[4:5], v[4:5], v[16:17]
.LBB6_90:
	s_or_b32 exec_lo, exec_lo, s1
	v_add_nc_u32_e32 v18, 1, v0
	v_cndmask_b32_e64 v20, 0, 1, s7
	s_mov_b32 s1, exec_lo
	ds_store_b64 v50, v[6:7]
	s_waitcnt lgkmcnt(0)
	s_barrier
	buffer_gl0_inv
	v_cmpx_gt_u32_e32 2, v0
	s_cbranch_execz .LBB6_98
; %bb.91:
	s_and_not1_b32 vcc_lo, exec_lo, s7
	s_cbranch_vccnz .LBB6_93
; %bb.92:
	v_cmp_eq_u32_e32 vcc_lo, 1, v0
	v_dual_cndmask_b32 v16, v3, v5 :: v_dual_cndmask_b32 v17, v2, v4
	v_cmp_eq_u32_e32 vcc_lo, 2, v0
	s_delay_alu instid0(VALU_DEP_2) | instskip(SKIP_1) | instid1(VALU_DEP_2)
	v_dual_cndmask_b32 v16, v16, v7 :: v_dual_cndmask_b32 v17, v17, v6
	v_cmp_eq_u32_e32 vcc_lo, 3, v0
	v_cndmask_b32_e32 v19, v16, v9, vcc_lo
	s_delay_alu instid0(VALU_DEP_3)
	v_cndmask_b32_e32 v21, v17, v8, vcc_lo
	v_cmp_eq_u32_e32 vcc_lo, 4, v0
	ds_load_b64 v[16:17], v50
	v_cndmask_b32_e32 v19, v19, v11, vcc_lo
	v_cndmask_b32_e32 v21, v21, v10, vcc_lo
	v_cmp_eq_u32_e32 vcc_lo, 5, v0
	s_delay_alu instid0(VALU_DEP_3) | instskip(NEXT) | instid1(VALU_DEP_3)
	v_cndmask_b32_e32 v19, v19, v13, vcc_lo
	v_cndmask_b32_e32 v21, v21, v12, vcc_lo
	v_cmp_eq_u32_e32 vcc_lo, 6, v0
	s_delay_alu instid0(VALU_DEP_2) | instskip(SKIP_1) | instid1(VALU_DEP_1)
	v_dual_cndmask_b32 v22, v19, v15 :: v_dual_cndmask_b32 v21, v21, v14
	s_waitcnt lgkmcnt(0)
	v_mul_f64 v[16:17], v[21:22], v[16:17]
	s_cbranch_execz .LBB6_94
	s_branch .LBB6_95
.LBB6_93:
                                        ; implicit-def: $vgpr16_vgpr17
.LBB6_94:
	ds_load_b64 v[16:17], v50
.LBB6_95:
	s_and_saveexec_b32 s2, s0
	s_cbranch_execz .LBB6_97
; %bb.96:
	v_cmp_eq_u32_e32 vcc_lo, 1, v18
	v_cndmask_b32_e32 v21, v2, v4, vcc_lo
	v_cndmask_b32_e32 v19, v3, v5, vcc_lo
	v_cmp_eq_u32_e32 vcc_lo, 2, v18
	s_delay_alu instid0(VALU_DEP_2) | instskip(SKIP_1) | instid1(VALU_DEP_2)
	v_dual_cndmask_b32 v6, v21, v6 :: v_dual_cndmask_b32 v7, v19, v7
	v_cmp_eq_u32_e32 vcc_lo, 3, v18
	v_cndmask_b32_e32 v19, v7, v9, vcc_lo
	s_delay_alu instid0(VALU_DEP_3)
	v_cndmask_b32_e32 v21, v6, v8, vcc_lo
	v_cmp_eq_u32_e32 vcc_lo, 4, v18
	ds_load_b64 v[6:7], v50 offset:8
	v_cndmask_b32_e32 v19, v19, v11, vcc_lo
	v_cndmask_b32_e32 v21, v21, v10, vcc_lo
	v_cmp_eq_u32_e32 vcc_lo, 5, v18
	s_delay_alu instid0(VALU_DEP_3) | instskip(NEXT) | instid1(VALU_DEP_3)
	v_cndmask_b32_e32 v19, v19, v13, vcc_lo
	v_cndmask_b32_e32 v21, v21, v12, vcc_lo
	v_cmp_eq_u32_e32 vcc_lo, 6, v18
	s_delay_alu instid0(VALU_DEP_2) | instskip(SKIP_1) | instid1(VALU_DEP_1)
	v_dual_cndmask_b32 v22, v19, v15 :: v_dual_cndmask_b32 v21, v21, v14
	s_waitcnt lgkmcnt(0)
	v_fma_f64 v[16:17], v[21:22], v[6:7], v[16:17]
.LBB6_97:
	s_or_b32 exec_lo, exec_lo, s2
	v_mov_b32_e32 v6, 0
	ds_load_b64 v[6:7], v6 offset:16
	s_waitcnt lgkmcnt(0)
	v_mul_f64 v[6:7], v[16:17], v[6:7]
.LBB6_98:
	s_or_b32 exec_lo, exec_lo, s1
	s_delay_alu instid0(SALU_CYCLE_1)
	s_mov_b32 s1, exec_lo
	ds_store_b64 v50, v[8:9]
	s_waitcnt lgkmcnt(0)
	s_barrier
	buffer_gl0_inv
	v_cmpx_gt_u32_e32 3, v0
	s_cbranch_execz .LBB6_108
; %bb.99:
	v_cmp_ne_u32_e32 vcc_lo, 1, v20
	s_cbranch_vccnz .LBB6_101
; %bb.100:
	v_cmp_eq_u32_e32 vcc_lo, 1, v0
	v_dual_cndmask_b32 v16, v3, v5 :: v_dual_cndmask_b32 v17, v2, v4
	v_cmp_eq_u32_e32 vcc_lo, 2, v0
	s_delay_alu instid0(VALU_DEP_2) | instskip(SKIP_1) | instid1(VALU_DEP_2)
	v_dual_cndmask_b32 v16, v16, v7 :: v_dual_cndmask_b32 v17, v17, v6
	v_cmp_eq_u32_e32 vcc_lo, 3, v0
	v_cndmask_b32_e32 v19, v16, v9, vcc_lo
	s_delay_alu instid0(VALU_DEP_3)
	v_cndmask_b32_e32 v21, v17, v8, vcc_lo
	v_cmp_eq_u32_e32 vcc_lo, 4, v0
	ds_load_b64 v[16:17], v50
	v_cndmask_b32_e32 v19, v19, v11, vcc_lo
	v_cndmask_b32_e32 v21, v21, v10, vcc_lo
	v_cmp_eq_u32_e32 vcc_lo, 5, v0
	s_delay_alu instid0(VALU_DEP_3) | instskip(NEXT) | instid1(VALU_DEP_3)
	v_cndmask_b32_e32 v19, v19, v13, vcc_lo
	v_cndmask_b32_e32 v21, v21, v12, vcc_lo
	v_cmp_eq_u32_e32 vcc_lo, 6, v0
	s_delay_alu instid0(VALU_DEP_2) | instskip(SKIP_1) | instid1(VALU_DEP_1)
	v_dual_cndmask_b32 v22, v19, v15 :: v_dual_cndmask_b32 v21, v21, v14
	s_waitcnt lgkmcnt(0)
	v_mul_f64 v[16:17], v[21:22], v[16:17]
	s_cbranch_execz .LBB6_102
	s_branch .LBB6_103
.LBB6_101:
                                        ; implicit-def: $vgpr16_vgpr17
.LBB6_102:
	ds_load_b64 v[16:17], v50
.LBB6_103:
	s_mov_b32 s2, exec_lo
	v_cmpx_ne_u32_e32 2, v0
	s_cbranch_execz .LBB6_107
; %bb.104:
	v_cmp_eq_u32_e32 vcc_lo, 1, v18
	v_cndmask_b32_e32 v19, v3, v5, vcc_lo
	v_cndmask_b32_e32 v21, v2, v4, vcc_lo
	v_cmp_eq_u32_e32 vcc_lo, 2, v18
	s_delay_alu instid0(VALU_DEP_3) | instskip(NEXT) | instid1(VALU_DEP_3)
	v_cndmask_b32_e32 v19, v19, v7, vcc_lo
	v_cndmask_b32_e32 v21, v21, v6, vcc_lo
	v_cmp_eq_u32_e32 vcc_lo, 3, v18
	s_delay_alu instid0(VALU_DEP_3) | instskip(NEXT) | instid1(VALU_DEP_3)
	v_cndmask_b32_e32 v19, v19, v9, vcc_lo
	v_cndmask_b32_e32 v21, v21, v8, vcc_lo
	v_cmp_eq_u32_e32 vcc_lo, 4, v18
	ds_load_b64 v[8:9], v50 offset:8
	v_cndmask_b32_e32 v19, v19, v11, vcc_lo
	v_cndmask_b32_e32 v21, v21, v10, vcc_lo
	v_cmp_eq_u32_e32 vcc_lo, 5, v18
	s_delay_alu instid0(VALU_DEP_3) | instskip(NEXT) | instid1(VALU_DEP_3)
	v_cndmask_b32_e32 v19, v19, v13, vcc_lo
	v_cndmask_b32_e32 v21, v21, v12, vcc_lo
	v_cmp_eq_u32_e32 vcc_lo, 6, v18
	s_delay_alu instid0(VALU_DEP_2) | instskip(SKIP_1) | instid1(VALU_DEP_1)
	v_dual_cndmask_b32 v18, v21, v14 :: v_dual_cndmask_b32 v19, v19, v15
	s_waitcnt lgkmcnt(0)
	v_fma_f64 v[16:17], v[18:19], v[8:9], v[16:17]
	s_and_saveexec_b32 s3, s0
	s_cbranch_execz .LBB6_106
; %bb.105:
	v_mov_b32_e32 v8, 0
	ds_load_b64 v[8:9], v8 offset:80
	s_waitcnt lgkmcnt(0)
	v_fma_f64 v[16:17], v[6:7], v[8:9], v[16:17]
.LBB6_106:
	s_or_b32 exec_lo, exec_lo, s3
.LBB6_107:
	s_delay_alu instid0(SALU_CYCLE_1)
	s_or_b32 exec_lo, exec_lo, s2
	v_mov_b32_e32 v8, 0
	ds_load_b64 v[8:9], v8 offset:24
	s_waitcnt lgkmcnt(0)
	v_mul_f64 v[8:9], v[16:17], v[8:9]
.LBB6_108:
	s_or_b32 exec_lo, exec_lo, s1
	s_delay_alu instid0(SALU_CYCLE_1)
	s_mov_b32 s1, exec_lo
	ds_store_b64 v50, v[10:11]
	s_waitcnt lgkmcnt(0)
	s_barrier
	buffer_gl0_inv
	v_cmpx_gt_u32_e32 4, v0
	s_cbranch_execz .LBB6_118
; %bb.109:
	v_cmp_ne_u32_e32 vcc_lo, 1, v20
	s_cbranch_vccnz .LBB6_111
; %bb.110:
	v_cmp_eq_u32_e32 vcc_lo, 1, v0
	v_dual_cndmask_b32 v16, v3, v5 :: v_dual_cndmask_b32 v17, v2, v4
	v_cmp_eq_u32_e32 vcc_lo, 2, v0
	s_delay_alu instid0(VALU_DEP_2) | instskip(SKIP_1) | instid1(VALU_DEP_2)
	v_dual_cndmask_b32 v16, v16, v7 :: v_dual_cndmask_b32 v17, v17, v6
	v_cmp_eq_u32_e32 vcc_lo, 3, v0
	v_dual_cndmask_b32 v18, v16, v9 :: v_dual_cndmask_b32 v19, v17, v8
	v_cmp_eq_u32_e32 vcc_lo, 4, v0
	ds_load_b64 v[16:17], v50
	v_dual_cndmask_b32 v18, v18, v11 :: v_dual_cndmask_b32 v19, v19, v10
	v_cmp_eq_u32_e32 vcc_lo, 5, v0
	s_delay_alu instid0(VALU_DEP_2) | instskip(SKIP_1) | instid1(VALU_DEP_2)
	v_dual_cndmask_b32 v18, v18, v13 :: v_dual_cndmask_b32 v21, v19, v12
	v_cmp_eq_u32_e32 vcc_lo, 6, v0
	v_dual_cndmask_b32 v19, v18, v15 :: v_dual_cndmask_b32 v18, v21, v14
	s_waitcnt lgkmcnt(0)
	s_delay_alu instid0(VALU_DEP_1)
	v_mul_f64 v[16:17], v[18:19], v[16:17]
	s_cbranch_execz .LBB6_112
	s_branch .LBB6_113
.LBB6_111:
                                        ; implicit-def: $vgpr16_vgpr17
.LBB6_112:
	ds_load_b64 v[16:17], v50
.LBB6_113:
	s_mov_b32 s2, exec_lo
	v_cmpx_ne_u32_e32 3, v0
	s_cbranch_execz .LBB6_117
; %bb.114:
	v_lshl_add_u32 v21, v0, 3, 0x48
	v_dual_mov_b32 v19, v1 :: v_dual_mov_b32 v18, v0
	s_mov_b32 s3, 0
	s_set_inst_prefetch_distance 0x1
	.p2align	6
.LBB6_115:                              ; =>This Inner Loop Header: Depth=1
	s_delay_alu instid0(VALU_DEP_1) | instskip(NEXT) | instid1(VALU_DEP_2)
	v_add_co_u32 v18, vcc_lo, v18, 1
	v_add_co_ci_u32_e32 v19, vcc_lo, 0, v19, vcc_lo
	s_delay_alu instid0(VALU_DEP_2) | instskip(SKIP_3) | instid1(VALU_DEP_2)
	v_cmp_eq_u32_e32 vcc_lo, 1, v18
	v_cmp_eq_u32_e64 s0, 2, v18
	v_dual_cndmask_b32 v22, v3, v5 :: v_dual_cndmask_b32 v23, v2, v4
	v_cmp_eq_u32_e32 vcc_lo, 3, v18
	v_cndmask_b32_e64 v24, v22, v7, s0
	s_delay_alu instid0(VALU_DEP_3)
	v_cndmask_b32_e64 v25, v23, v6, s0
	ds_load_b64 v[22:23], v21
	v_cmp_eq_u32_e64 s0, 4, v18
	v_add_nc_u32_e32 v21, 8, v21
	v_dual_cndmask_b32 v24, v24, v9 :: v_dual_cndmask_b32 v25, v25, v8
	v_cmp_eq_u32_e32 vcc_lo, 5, v18
	s_delay_alu instid0(VALU_DEP_2) | instskip(NEXT) | instid1(VALU_DEP_3)
	v_cndmask_b32_e64 v24, v24, v11, s0
	v_cndmask_b32_e64 v25, v25, v10, s0
	v_cmp_eq_u32_e64 s0, 6, v18
	s_delay_alu instid0(VALU_DEP_3) | instskip(NEXT) | instid1(VALU_DEP_3)
	v_cndmask_b32_e32 v24, v24, v13, vcc_lo
	v_cndmask_b32_e32 v26, v25, v12, vcc_lo
	v_cmp_lt_u32_e32 vcc_lo, 2, v18
	s_delay_alu instid0(VALU_DEP_3) | instskip(NEXT) | instid1(VALU_DEP_3)
	v_cndmask_b32_e64 v25, v24, v15, s0
	v_cndmask_b32_e64 v24, v26, v14, s0
	s_or_b32 s3, vcc_lo, s3
	s_waitcnt lgkmcnt(0)
	s_delay_alu instid0(VALU_DEP_1)
	v_fma_f64 v[16:17], v[24:25], v[22:23], v[16:17]
	s_and_not1_b32 exec_lo, exec_lo, s3
	s_cbranch_execnz .LBB6_115
; %bb.116:
	s_set_inst_prefetch_distance 0x2
	s_or_b32 exec_lo, exec_lo, s3
.LBB6_117:
	s_delay_alu instid0(SALU_CYCLE_1)
	s_or_b32 exec_lo, exec_lo, s2
	v_mov_b32_e32 v10, 0
	ds_load_b64 v[10:11], v10 offset:32
	s_waitcnt lgkmcnt(0)
	v_mul_f64 v[10:11], v[16:17], v[10:11]
.LBB6_118:
	s_or_b32 exec_lo, exec_lo, s1
	v_cmp_gt_u32_e64 s0, 5, v0
	ds_store_b64 v50, v[12:13]
	s_waitcnt lgkmcnt(0)
	s_barrier
	buffer_gl0_inv
	s_and_saveexec_b32 s2, s0
	s_cbranch_execz .LBB6_128
; %bb.119:
	v_cmp_ne_u32_e32 vcc_lo, 1, v20
	s_cbranch_vccnz .LBB6_121
; %bb.120:
	v_cmp_eq_u32_e32 vcc_lo, 1, v0
	v_dual_cndmask_b32 v16, v3, v5 :: v_dual_cndmask_b32 v17, v2, v4
	v_cmp_eq_u32_e32 vcc_lo, 2, v0
	s_delay_alu instid0(VALU_DEP_2) | instskip(SKIP_1) | instid1(VALU_DEP_2)
	v_dual_cndmask_b32 v16, v16, v7 :: v_dual_cndmask_b32 v17, v17, v6
	v_cmp_eq_u32_e32 vcc_lo, 3, v0
	v_dual_cndmask_b32 v18, v16, v9 :: v_dual_cndmask_b32 v19, v17, v8
	v_cmp_eq_u32_e32 vcc_lo, 4, v0
	ds_load_b64 v[16:17], v50
	v_dual_cndmask_b32 v18, v18, v11 :: v_dual_cndmask_b32 v19, v19, v10
	v_cmp_eq_u32_e32 vcc_lo, 5, v0
	s_delay_alu instid0(VALU_DEP_2) | instskip(SKIP_1) | instid1(VALU_DEP_2)
	v_dual_cndmask_b32 v18, v18, v13 :: v_dual_cndmask_b32 v21, v19, v12
	v_cmp_eq_u32_e32 vcc_lo, 6, v0
	v_dual_cndmask_b32 v19, v18, v15 :: v_dual_cndmask_b32 v18, v21, v14
	s_waitcnt lgkmcnt(0)
	s_delay_alu instid0(VALU_DEP_1)
	v_mul_f64 v[16:17], v[18:19], v[16:17]
	s_cbranch_execz .LBB6_122
	s_branch .LBB6_123
.LBB6_121:
                                        ; implicit-def: $vgpr16_vgpr17
.LBB6_122:
	ds_load_b64 v[16:17], v50
.LBB6_123:
	s_mov_b32 s3, exec_lo
	v_cmpx_ne_u32_e32 4, v0
	s_cbranch_execz .LBB6_127
; %bb.124:
	v_lshl_add_u32 v21, v0, 3, 0x48
	v_dual_mov_b32 v19, v1 :: v_dual_mov_b32 v18, v0
	s_mov_b32 s4, 0
	s_set_inst_prefetch_distance 0x1
	.p2align	6
.LBB6_125:                              ; =>This Inner Loop Header: Depth=1
	s_delay_alu instid0(VALU_DEP_1) | instskip(NEXT) | instid1(VALU_DEP_2)
	v_add_co_u32 v18, vcc_lo, v18, 1
	v_add_co_ci_u32_e32 v19, vcc_lo, 0, v19, vcc_lo
	s_delay_alu instid0(VALU_DEP_2) | instskip(SKIP_3) | instid1(VALU_DEP_2)
	v_cmp_eq_u32_e32 vcc_lo, 1, v18
	v_cmp_eq_u32_e64 s1, 2, v18
	v_dual_cndmask_b32 v22, v3, v5 :: v_dual_cndmask_b32 v23, v2, v4
	v_cmp_eq_u32_e32 vcc_lo, 3, v18
	v_cndmask_b32_e64 v24, v22, v7, s1
	s_delay_alu instid0(VALU_DEP_3)
	v_cndmask_b32_e64 v25, v23, v6, s1
	ds_load_b64 v[22:23], v21
	v_cmp_eq_u32_e64 s1, 4, v18
	v_add_nc_u32_e32 v21, 8, v21
	v_dual_cndmask_b32 v24, v24, v9 :: v_dual_cndmask_b32 v25, v25, v8
	v_cmp_eq_u32_e32 vcc_lo, 5, v18
	s_delay_alu instid0(VALU_DEP_2) | instskip(NEXT) | instid1(VALU_DEP_3)
	v_cndmask_b32_e64 v24, v24, v11, s1
	v_cndmask_b32_e64 v25, v25, v10, s1
	v_cmp_eq_u32_e64 s1, 6, v18
	s_delay_alu instid0(VALU_DEP_3) | instskip(NEXT) | instid1(VALU_DEP_3)
	v_cndmask_b32_e32 v24, v24, v13, vcc_lo
	v_cndmask_b32_e32 v26, v25, v12, vcc_lo
	v_cmp_lt_u32_e32 vcc_lo, 3, v18
	s_delay_alu instid0(VALU_DEP_3) | instskip(NEXT) | instid1(VALU_DEP_3)
	v_cndmask_b32_e64 v25, v24, v15, s1
	v_cndmask_b32_e64 v24, v26, v14, s1
	s_or_b32 s4, vcc_lo, s4
	s_waitcnt lgkmcnt(0)
	s_delay_alu instid0(VALU_DEP_1)
	v_fma_f64 v[16:17], v[24:25], v[22:23], v[16:17]
	s_and_not1_b32 exec_lo, exec_lo, s4
	s_cbranch_execnz .LBB6_125
; %bb.126:
	s_set_inst_prefetch_distance 0x2
	s_or_b32 exec_lo, exec_lo, s4
.LBB6_127:
	s_delay_alu instid0(SALU_CYCLE_1)
	s_or_b32 exec_lo, exec_lo, s3
	v_mov_b32_e32 v12, 0
	ds_load_b64 v[12:13], v12 offset:40
	s_waitcnt lgkmcnt(0)
	v_mul_f64 v[12:13], v[16:17], v[12:13]
.LBB6_128:
	s_or_b32 exec_lo, exec_lo, s2
	s_delay_alu instid0(SALU_CYCLE_1)
	s_mov_b32 s1, exec_lo
	ds_store_b64 v50, v[14:15]
	s_waitcnt lgkmcnt(0)
	s_barrier
	buffer_gl0_inv
	v_cmpx_ne_u32_e32 6, v0
	s_cbranch_execz .LBB6_138
; %bb.129:
	v_cmp_ne_u32_e32 vcc_lo, 1, v20
	s_cbranch_vccnz .LBB6_131
; %bb.130:
	v_cmp_eq_u32_e32 vcc_lo, 1, v0
	v_dual_cndmask_b32 v16, v3, v5 :: v_dual_cndmask_b32 v17, v2, v4
	v_cmp_eq_u32_e32 vcc_lo, 2, v0
	s_delay_alu instid0(VALU_DEP_2) | instskip(SKIP_1) | instid1(VALU_DEP_2)
	v_dual_cndmask_b32 v16, v16, v7 :: v_dual_cndmask_b32 v17, v17, v6
	v_cmp_eq_u32_e32 vcc_lo, 3, v0
	v_dual_cndmask_b32 v18, v16, v9 :: v_dual_cndmask_b32 v19, v17, v8
	v_cmp_eq_u32_e32 vcc_lo, 4, v0
	ds_load_b64 v[16:17], v50
	v_dual_cndmask_b32 v18, v18, v11 :: v_dual_cndmask_b32 v19, v19, v10
	v_cmp_eq_u32_e32 vcc_lo, 5, v0
	s_delay_alu instid0(VALU_DEP_2) | instskip(NEXT) | instid1(VALU_DEP_3)
	v_cndmask_b32_e32 v18, v18, v13, vcc_lo
	v_cndmask_b32_e32 v20, v19, v12, vcc_lo
	v_cmp_eq_u32_e32 vcc_lo, 6, v0
	s_delay_alu instid0(VALU_DEP_2) | instskip(SKIP_1) | instid1(VALU_DEP_1)
	v_dual_cndmask_b32 v19, v18, v15 :: v_dual_cndmask_b32 v18, v20, v14
	s_waitcnt lgkmcnt(0)
	v_mul_f64 v[16:17], v[18:19], v[16:17]
	s_cbranch_execz .LBB6_132
	s_branch .LBB6_133
.LBB6_131:
                                        ; implicit-def: $vgpr16_vgpr17
.LBB6_132:
	ds_load_b64 v[16:17], v50
.LBB6_133:
	s_and_saveexec_b32 s2, s0
	s_cbranch_execz .LBB6_137
; %bb.134:
	v_lshl_add_u32 v18, v0, 3, 0x48
	s_mov_b32 s3, 0
	s_set_inst_prefetch_distance 0x1
	.p2align	6
.LBB6_135:                              ; =>This Inner Loop Header: Depth=1
	v_add_co_u32 v0, vcc_lo, v0, 1
	v_add_co_ci_u32_e32 v1, vcc_lo, 0, v1, vcc_lo
	s_delay_alu instid0(VALU_DEP_2) | instskip(SKIP_3) | instid1(VALU_DEP_2)
	v_cmp_eq_u32_e32 vcc_lo, 1, v0
	v_cmp_eq_u32_e64 s0, 2, v0
	v_dual_cndmask_b32 v19, v3, v5 :: v_dual_cndmask_b32 v20, v2, v4
	v_cmp_eq_u32_e32 vcc_lo, 3, v0
	v_cndmask_b32_e64 v21, v19, v7, s0
	s_delay_alu instid0(VALU_DEP_3)
	v_cndmask_b32_e64 v22, v20, v6, s0
	ds_load_b64 v[19:20], v18
	v_cmp_eq_u32_e64 s0, 4, v0
	v_dual_cndmask_b32 v21, v21, v9 :: v_dual_add_nc_u32 v18, 8, v18
	v_cndmask_b32_e32 v22, v22, v8, vcc_lo
	v_cmp_eq_u32_e32 vcc_lo, 5, v0
	s_delay_alu instid0(VALU_DEP_3) | instskip(NEXT) | instid1(VALU_DEP_3)
	v_cndmask_b32_e64 v21, v21, v11, s0
	v_cndmask_b32_e64 v22, v22, v10, s0
	v_cmp_eq_u32_e64 s0, 6, v0
	s_delay_alu instid0(VALU_DEP_3) | instskip(NEXT) | instid1(VALU_DEP_3)
	v_cndmask_b32_e32 v21, v21, v13, vcc_lo
	v_cndmask_b32_e32 v23, v22, v12, vcc_lo
	v_cmp_lt_u32_e32 vcc_lo, 4, v0
	s_delay_alu instid0(VALU_DEP_3) | instskip(NEXT) | instid1(VALU_DEP_3)
	v_cndmask_b32_e64 v22, v21, v15, s0
	v_cndmask_b32_e64 v21, v23, v14, s0
	s_or_b32 s3, vcc_lo, s3
	s_waitcnt lgkmcnt(0)
	s_delay_alu instid0(VALU_DEP_1)
	v_fma_f64 v[16:17], v[21:22], v[19:20], v[16:17]
	s_and_not1_b32 exec_lo, exec_lo, s3
	s_cbranch_execnz .LBB6_135
; %bb.136:
	s_set_inst_prefetch_distance 0x2
	s_or_b32 exec_lo, exec_lo, s3
.LBB6_137:
	s_delay_alu instid0(SALU_CYCLE_1)
	s_or_b32 exec_lo, exec_lo, s2
	v_mov_b32_e32 v0, 0
	ds_load_b64 v[0:1], v0 offset:48
	s_waitcnt lgkmcnt(0)
	v_mul_f64 v[14:15], v[16:17], v[0:1]
.LBB6_138:
	s_or_b32 exec_lo, exec_lo, s1
	v_dual_mov_b32 v33, v17 :: v_dual_mov_b32 v32, v16
	s_delay_alu instid0(VALU_DEP_2)
	v_dual_mov_b32 v31, v15 :: v_dual_mov_b32 v30, v14
	v_dual_mov_b32 v29, v13 :: v_dual_mov_b32 v28, v12
	;; [unrolled: 1-line block ×7, first 2 shown]
.LBB6_139:
	s_clause 0x6
	global_store_b64 v[34:35], v[18:19], off
	global_store_b64 v[38:39], v[20:21], off
	;; [unrolled: 1-line block ×7, first 2 shown]
.LBB6_140:
	s_nop 0
	s_sendmsg sendmsg(MSG_DEALLOC_VGPRS)
	s_endpgm
	.section	.rodata,"a",@progbits
	.p2align	6, 0x0
	.amdhsa_kernel _ZN9rocsolver6v33100L18trti2_kernel_smallILi7EdPdEEv13rocblas_fill_17rocblas_diagonal_T1_iil
		.amdhsa_group_segment_fixed_size 120
		.amdhsa_private_segment_fixed_size 0
		.amdhsa_kernarg_size 32
		.amdhsa_user_sgpr_count 15
		.amdhsa_user_sgpr_dispatch_ptr 0
		.amdhsa_user_sgpr_queue_ptr 0
		.amdhsa_user_sgpr_kernarg_segment_ptr 1
		.amdhsa_user_sgpr_dispatch_id 0
		.amdhsa_user_sgpr_private_segment_size 0
		.amdhsa_wavefront_size32 1
		.amdhsa_uses_dynamic_stack 0
		.amdhsa_enable_private_segment 0
		.amdhsa_system_sgpr_workgroup_id_x 1
		.amdhsa_system_sgpr_workgroup_id_y 0
		.amdhsa_system_sgpr_workgroup_id_z 0
		.amdhsa_system_sgpr_workgroup_info 0
		.amdhsa_system_vgpr_workitem_id 0
		.amdhsa_next_free_vgpr 64
		.amdhsa_next_free_sgpr 24
		.amdhsa_reserve_vcc 1
		.amdhsa_float_round_mode_32 0
		.amdhsa_float_round_mode_16_64 0
		.amdhsa_float_denorm_mode_32 3
		.amdhsa_float_denorm_mode_16_64 3
		.amdhsa_dx10_clamp 1
		.amdhsa_ieee_mode 1
		.amdhsa_fp16_overflow 0
		.amdhsa_workgroup_processor_mode 1
		.amdhsa_memory_ordered 1
		.amdhsa_forward_progress 0
		.amdhsa_shared_vgpr_count 0
		.amdhsa_exception_fp_ieee_invalid_op 0
		.amdhsa_exception_fp_denorm_src 0
		.amdhsa_exception_fp_ieee_div_zero 0
		.amdhsa_exception_fp_ieee_overflow 0
		.amdhsa_exception_fp_ieee_underflow 0
		.amdhsa_exception_fp_ieee_inexact 0
		.amdhsa_exception_int_div_zero 0
	.end_amdhsa_kernel
	.section	.text._ZN9rocsolver6v33100L18trti2_kernel_smallILi7EdPdEEv13rocblas_fill_17rocblas_diagonal_T1_iil,"axG",@progbits,_ZN9rocsolver6v33100L18trti2_kernel_smallILi7EdPdEEv13rocblas_fill_17rocblas_diagonal_T1_iil,comdat
.Lfunc_end6:
	.size	_ZN9rocsolver6v33100L18trti2_kernel_smallILi7EdPdEEv13rocblas_fill_17rocblas_diagonal_T1_iil, .Lfunc_end6-_ZN9rocsolver6v33100L18trti2_kernel_smallILi7EdPdEEv13rocblas_fill_17rocblas_diagonal_T1_iil
                                        ; -- End function
	.section	.AMDGPU.csdata,"",@progbits
; Kernel info:
; codeLenInByte = 7068
; NumSgprs: 26
; NumVgprs: 64
; ScratchSize: 0
; MemoryBound: 0
; FloatMode: 240
; IeeeMode: 1
; LDSByteSize: 120 bytes/workgroup (compile time only)
; SGPRBlocks: 3
; VGPRBlocks: 7
; NumSGPRsForWavesPerEU: 26
; NumVGPRsForWavesPerEU: 64
; Occupancy: 16
; WaveLimiterHint : 0
; COMPUTE_PGM_RSRC2:SCRATCH_EN: 0
; COMPUTE_PGM_RSRC2:USER_SGPR: 15
; COMPUTE_PGM_RSRC2:TRAP_HANDLER: 0
; COMPUTE_PGM_RSRC2:TGID_X_EN: 1
; COMPUTE_PGM_RSRC2:TGID_Y_EN: 0
; COMPUTE_PGM_RSRC2:TGID_Z_EN: 0
; COMPUTE_PGM_RSRC2:TIDIG_COMP_CNT: 0
	.section	.text._ZN9rocsolver6v33100L18trti2_kernel_smallILi8EdPdEEv13rocblas_fill_17rocblas_diagonal_T1_iil,"axG",@progbits,_ZN9rocsolver6v33100L18trti2_kernel_smallILi8EdPdEEv13rocblas_fill_17rocblas_diagonal_T1_iil,comdat
	.globl	_ZN9rocsolver6v33100L18trti2_kernel_smallILi8EdPdEEv13rocblas_fill_17rocblas_diagonal_T1_iil ; -- Begin function _ZN9rocsolver6v33100L18trti2_kernel_smallILi8EdPdEEv13rocblas_fill_17rocblas_diagonal_T1_iil
	.p2align	8
	.type	_ZN9rocsolver6v33100L18trti2_kernel_smallILi8EdPdEEv13rocblas_fill_17rocblas_diagonal_T1_iil,@function
_ZN9rocsolver6v33100L18trti2_kernel_smallILi8EdPdEEv13rocblas_fill_17rocblas_diagonal_T1_iil: ; @_ZN9rocsolver6v33100L18trti2_kernel_smallILi8EdPdEEv13rocblas_fill_17rocblas_diagonal_T1_iil
; %bb.0:
	s_mov_b32 s2, exec_lo
	v_cmpx_gt_u32_e32 8, v0
	s_cbranch_execz .LBB7_166
; %bb.1:
	s_load_b256 s[16:23], s[0:1], 0x0
	s_ashr_i32 s2, s15, 31
	v_lshlrev_b32_e32 v20, 3, v0
	v_mov_b32_e32 v18, 0
	v_mov_b32_e32 v19, 0xbff00000
	s_waitcnt lgkmcnt(0)
	s_mul_i32 s3, s15, s23
	s_mul_hi_u32 s4, s15, s22
	s_mul_i32 s5, s2, s22
	s_add_i32 s3, s4, s3
	v_add3_u32 v1, s21, s21, v0
	s_mul_i32 s2, s15, s22
	s_add_i32 s3, s3, s5
	s_ashr_i32 s1, s20, 31
	s_lshl_b64 s[2:3], s[2:3], 3
	s_mov_b32 s0, s20
	v_add_nc_u32_e32 v3, s21, v1
	s_add_u32 s2, s18, s2
	s_addc_u32 s3, s19, s3
	s_lshl_b64 s[0:1], s[0:1], 3
	v_ashrrev_i32_e32 v2, 31, v1
	s_add_u32 s0, s2, s0
	v_add_nc_u32_e32 v5, s21, v3
	s_addc_u32 s1, s3, s1
	v_add_co_u32 v34, s2, s0, v20
	s_mov_b32 s4, s21
	s_ashr_i32 s5, s21, 31
	v_lshlrev_b64 v[1:2], 3, v[1:2]
	v_ashrrev_i32_e32 v4, 31, v3
	v_add_co_ci_u32_e64 v35, null, s1, 0, s2
	s_lshl_b64 s[2:3], s[4:5], 3
	v_ashrrev_i32_e32 v6, 31, v5
	v_add_nc_u32_e32 v7, s21, v5
	v_add_co_u32 v38, vcc_lo, v34, s2
	v_lshlrev_b64 v[3:4], 3, v[3:4]
	v_add_co_ci_u32_e32 v39, vcc_lo, s3, v35, vcc_lo
	v_add_co_u32 v36, vcc_lo, s0, v1
	v_add_co_ci_u32_e32 v37, vcc_lo, s1, v2, vcc_lo
	v_lshlrev_b64 v[1:2], 3, v[5:6]
	v_ashrrev_i32_e32 v8, 31, v7
	v_add_nc_u32_e32 v5, s21, v7
	v_add_co_u32 v40, vcc_lo, s0, v3
	v_add_co_ci_u32_e32 v41, vcc_lo, s1, v4, vcc_lo
	s_delay_alu instid0(VALU_DEP_4) | instskip(NEXT) | instid1(VALU_DEP_4)
	v_lshlrev_b64 v[3:4], 3, v[7:8]
	v_add_nc_u32_e32 v7, s21, v5
	v_ashrrev_i32_e32 v6, 31, v5
	v_add_co_u32 v48, vcc_lo, s0, v1
	v_add_co_ci_u32_e32 v49, vcc_lo, s1, v2, vcc_lo
	s_delay_alu instid0(VALU_DEP_4) | instskip(NEXT) | instid1(VALU_DEP_4)
	v_ashrrev_i32_e32 v8, 31, v7
	v_lshlrev_b64 v[1:2], 3, v[5:6]
	v_add_co_u32 v44, vcc_lo, s0, v3
	v_add_co_ci_u32_e32 v45, vcc_lo, s1, v4, vcc_lo
	s_delay_alu instid0(VALU_DEP_4) | instskip(NEXT) | instid1(VALU_DEP_4)
	v_lshlrev_b64 v[3:4], 3, v[7:8]
	v_add_co_u32 v46, vcc_lo, s0, v1
	v_add_co_ci_u32_e32 v47, vcc_lo, s1, v2, vcc_lo
	v_mov_b32_e32 v1, 0
	s_delay_alu instid0(VALU_DEP_4)
	v_add_co_u32 v42, vcc_lo, s0, v3
	v_add_co_ci_u32_e32 v43, vcc_lo, s1, v4, vcc_lo
	s_clause 0x7
	global_load_b64 v[4:5], v[38:39], off
	global_load_b64 v[6:7], v[36:37], off
	;; [unrolled: 1-line block ×6, first 2 shown]
	global_load_b64 v[2:3], v20, s[0:1]
	global_load_b64 v[16:17], v[42:43], off
	v_cmp_eq_u32_e64 s0, 0, v0
	s_cmpk_lg_i32 s17, 0x84
	s_cselect_b32 s8, -1, 0
	s_cmpk_eq_i32 s17, 0x84
	s_cbranch_scc1 .LBB7_3
; %bb.2:
	v_cmp_eq_u32_e64 s1, 1, v0
	v_cmp_eq_u32_e64 s2, 2, v0
	v_cmp_eq_u32_e64 s3, 3, v0
	v_cmp_eq_u32_e64 s4, 4, v0
	v_cmp_eq_u32_e64 s5, 5, v0
	s_waitcnt vmcnt(1)
	v_cndmask_b32_e64 v18, v3, v5, s1
	v_cndmask_b32_e64 v19, v2, v4, s1
	v_cmp_eq_u32_e64 s6, 6, v0
	v_cmp_eq_u32_e64 s7, 7, v0
	s_delay_alu instid0(VALU_DEP_4) | instskip(NEXT) | instid1(VALU_DEP_4)
	v_cndmask_b32_e64 v18, v18, v7, s2
	v_cndmask_b32_e64 v19, v19, v6, s2
	s_delay_alu instid0(VALU_DEP_2) | instskip(NEXT) | instid1(VALU_DEP_2)
	v_cndmask_b32_e64 v18, v18, v9, s3
	v_cndmask_b32_e64 v19, v19, v8, s3
	s_delay_alu instid0(VALU_DEP_2) | instskip(NEXT) | instid1(VALU_DEP_2)
	;; [unrolled: 3-line block ×4, first 2 shown]
	v_cndmask_b32_e64 v18, v18, v15, s6
	v_cndmask_b32_e64 v21, v19, v14, s6
	s_waitcnt vmcnt(0)
	s_delay_alu instid0(VALU_DEP_2) | instskip(NEXT) | instid1(VALU_DEP_2)
	v_cndmask_b32_e64 v19, v18, v17, s7
	v_cndmask_b32_e64 v18, v21, v16, s7
	s_delay_alu instid0(VALU_DEP_1) | instskip(SKIP_1) | instid1(VALU_DEP_2)
	v_div_scale_f64 v[21:22], null, v[18:19], v[18:19], 1.0
	v_div_scale_f64 v[27:28], vcc_lo, 1.0, v[18:19], 1.0
	v_rcp_f64_e32 v[23:24], v[21:22]
	s_waitcnt_depctr 0xfff
	v_fma_f64 v[25:26], -v[21:22], v[23:24], 1.0
	s_delay_alu instid0(VALU_DEP_1) | instskip(NEXT) | instid1(VALU_DEP_1)
	v_fma_f64 v[23:24], v[23:24], v[25:26], v[23:24]
	v_fma_f64 v[25:26], -v[21:22], v[23:24], 1.0
	s_delay_alu instid0(VALU_DEP_1) | instskip(NEXT) | instid1(VALU_DEP_1)
	v_fma_f64 v[23:24], v[23:24], v[25:26], v[23:24]
	v_mul_f64 v[25:26], v[27:28], v[23:24]
	s_delay_alu instid0(VALU_DEP_1) | instskip(NEXT) | instid1(VALU_DEP_1)
	v_fma_f64 v[21:22], -v[21:22], v[25:26], v[27:28]
	v_div_fmas_f64 v[21:22], v[21:22], v[23:24], v[25:26]
	s_delay_alu instid0(VALU_DEP_1) | instskip(NEXT) | instid1(VALU_DEP_1)
	v_div_fixup_f64 v[18:19], v[21:22], v[18:19], 1.0
	v_cndmask_b32_e64 v17, v17, v19, s7
	s_delay_alu instid0(VALU_DEP_2)
	v_cndmask_b32_e64 v16, v16, v18, s7
	v_cndmask_b32_e64 v15, v15, v19, s6
	;; [unrolled: 1-line block ×15, first 2 shown]
	v_xor_b32_e32 v19, 0x80000000, v19
.LBB7_3:
	v_add_nc_u32_e32 v52, 64, v20
	s_cmpk_eq_i32 s16, 0x79
	ds_store_b64 v20, v[18:19]
	s_cbranch_scc1 .LBB7_7
; %bb.4:
	s_waitcnt vmcnt(0)
	v_dual_mov_b32 v33, v17 :: v_dual_mov_b32 v32, v16
	v_dual_mov_b32 v31, v15 :: v_dual_mov_b32 v30, v14
	;; [unrolled: 1-line block ×8, first 2 shown]
	v_cmp_eq_u32_e64 s1, 7, v0
	ds_store_b64 v52, v[14:15]
	s_waitcnt lgkmcnt(0)
	s_barrier
	buffer_gl0_inv
	s_and_saveexec_b32 s0, s1
	s_cbranch_execz .LBB7_11
; %bb.5:
	s_and_b32 vcc_lo, exec_lo, s8
	s_cbranch_vccz .LBB7_8
; %bb.6:
	v_cmp_eq_u32_e32 vcc_lo, 1, v0
	v_dual_cndmask_b32 v18, v3, v5 :: v_dual_cndmask_b32 v19, v2, v4
	v_cmp_eq_u32_e32 vcc_lo, 2, v0
	s_delay_alu instid0(VALU_DEP_2) | instskip(SKIP_1) | instid1(VALU_DEP_2)
	v_dual_cndmask_b32 v18, v18, v7 :: v_dual_cndmask_b32 v19, v19, v6
	v_cmp_eq_u32_e32 vcc_lo, 3, v0
	v_dual_cndmask_b32 v18, v18, v9 :: v_dual_cndmask_b32 v19, v19, v8
	v_cmp_eq_u32_e32 vcc_lo, 4, v0
	s_delay_alu instid0(VALU_DEP_2) | instskip(SKIP_4) | instid1(VALU_DEP_2)
	v_dual_cndmask_b32 v20, v18, v11 :: v_dual_cndmask_b32 v21, v19, v10
	v_cmp_eq_u32_e32 vcc_lo, 5, v0
	ds_load_b64 v[18:19], v52
	v_dual_cndmask_b32 v20, v20, v13 :: v_dual_cndmask_b32 v21, v21, v12
	v_cmp_eq_u32_e32 vcc_lo, 6, v0
	v_cndmask_b32_e32 v20, v20, v15, vcc_lo
	s_delay_alu instid0(VALU_DEP_3) | instskip(SKIP_1) | instid1(VALU_DEP_2)
	v_cndmask_b32_e32 v22, v21, v14, vcc_lo
	v_cmp_eq_u32_e32 vcc_lo, 7, v0
	v_dual_cndmask_b32 v21, v20, v17 :: v_dual_cndmask_b32 v20, v22, v16
	s_waitcnt lgkmcnt(0)
	s_delay_alu instid0(VALU_DEP_1)
	v_mul_f64 v[18:19], v[20:21], v[18:19]
	s_cbranch_execz .LBB7_9
	s_branch .LBB7_10
.LBB7_7:
                                        ; implicit-def: $vgpr18_vgpr19_vgpr20_vgpr21_vgpr22_vgpr23_vgpr24_vgpr25_vgpr26_vgpr27_vgpr28_vgpr29_vgpr30_vgpr31_vgpr32_vgpr33
	s_cbranch_execnz .LBB7_100
	s_branch .LBB7_165
.LBB7_8:
                                        ; implicit-def: $vgpr18_vgpr19
.LBB7_9:
	ds_load_b64 v[18:19], v52
.LBB7_10:
	v_mov_b32_e32 v20, 0
	ds_load_b64 v[20:21], v20 offset:48
	s_waitcnt lgkmcnt(0)
	v_mul_f64 v[50:51], v[18:19], v[20:21]
	v_dual_mov_b32 v33, v17 :: v_dual_mov_b32 v32, v16
	v_dual_mov_b32 v31, v15 :: v_dual_mov_b32 v30, v14
	;; [unrolled: 1-line block ×9, first 2 shown]
.LBB7_11:
	s_or_b32 exec_lo, exec_lo, s0
	v_cmp_lt_u32_e64 s0, 5, v0
	ds_store_b64 v52, v[28:29]
	s_waitcnt lgkmcnt(0)
	s_barrier
	buffer_gl0_inv
	s_and_saveexec_b32 s2, s0
	s_cbranch_execz .LBB7_19
; %bb.12:
	s_and_not1_b32 vcc_lo, exec_lo, s8
	s_cbranch_vccnz .LBB7_14
; %bb.13:
	v_cmp_eq_u32_e32 vcc_lo, 1, v0
	v_dual_cndmask_b32 v50, v19, v21 :: v_dual_cndmask_b32 v51, v18, v20
	v_cmp_eq_u32_e32 vcc_lo, 2, v0
	s_delay_alu instid0(VALU_DEP_2) | instskip(SKIP_1) | instid1(VALU_DEP_2)
	v_dual_cndmask_b32 v50, v50, v23 :: v_dual_cndmask_b32 v51, v51, v22
	v_cmp_eq_u32_e32 vcc_lo, 3, v0
	v_dual_cndmask_b32 v50, v50, v25 :: v_dual_cndmask_b32 v51, v51, v24
	v_cmp_eq_u32_e32 vcc_lo, 4, v0
	s_delay_alu instid0(VALU_DEP_2) | instskip(SKIP_4) | instid1(VALU_DEP_2)
	v_dual_cndmask_b32 v53, v50, v27 :: v_dual_cndmask_b32 v54, v51, v26
	v_cmp_eq_u32_e32 vcc_lo, 5, v0
	ds_load_b64 v[50:51], v52
	v_dual_cndmask_b32 v29, v53, v29 :: v_dual_cndmask_b32 v28, v54, v28
	v_cmp_eq_u32_e32 vcc_lo, 6, v0
	v_dual_cndmask_b32 v29, v29, v31 :: v_dual_cndmask_b32 v28, v28, v30
	v_cmp_eq_u32_e32 vcc_lo, 7, v0
	s_delay_alu instid0(VALU_DEP_2) | instskip(SKIP_1) | instid1(VALU_DEP_1)
	v_dual_cndmask_b32 v29, v29, v33 :: v_dual_cndmask_b32 v28, v28, v32
	s_waitcnt lgkmcnt(0)
	v_mul_f64 v[28:29], v[28:29], v[50:51]
	s_cbranch_execz .LBB7_15
	s_branch .LBB7_16
.LBB7_14:
                                        ; implicit-def: $vgpr28_vgpr29
.LBB7_15:
	ds_load_b64 v[28:29], v52
.LBB7_16:
	s_and_saveexec_b32 s3, s1
	s_cbranch_execz .LBB7_18
; %bb.17:
	v_mov_b32_e32 v50, 0
	ds_load_b64 v[50:51], v50 offset:112
	s_waitcnt lgkmcnt(0)
	v_fma_f64 v[28:29], v[30:31], v[50:51], v[28:29]
.LBB7_18:
	s_or_b32 exec_lo, exec_lo, s3
	v_mov_b32_e32 v50, 0
	ds_load_b64 v[50:51], v50 offset:40
	s_waitcnt lgkmcnt(0)
	v_mul_f64 v[28:29], v[28:29], v[50:51]
.LBB7_19:
	s_or_b32 exec_lo, exec_lo, s2
	v_cmp_lt_u32_e64 s1, 4, v0
	ds_store_b64 v52, v[26:27]
	s_waitcnt lgkmcnt(0)
	s_barrier
	buffer_gl0_inv
	s_and_saveexec_b32 s4, s1
	s_cbranch_execz .LBB7_35
; %bb.20:
	s_and_not1_b32 vcc_lo, exec_lo, s8
	s_cbranch_vccnz .LBB7_22
; %bb.21:
	v_cmp_eq_u32_e32 vcc_lo, 1, v0
	v_dual_cndmask_b32 v50, v19, v21 :: v_dual_cndmask_b32 v51, v18, v20
	v_cmp_eq_u32_e32 vcc_lo, 2, v0
	s_delay_alu instid0(VALU_DEP_2) | instskip(SKIP_1) | instid1(VALU_DEP_2)
	v_dual_cndmask_b32 v50, v50, v23 :: v_dual_cndmask_b32 v51, v51, v22
	v_cmp_eq_u32_e32 vcc_lo, 3, v0
	v_dual_cndmask_b32 v50, v50, v25 :: v_dual_cndmask_b32 v51, v51, v24
	v_cmp_eq_u32_e32 vcc_lo, 4, v0
	s_delay_alu instid0(VALU_DEP_2) | instskip(SKIP_4) | instid1(VALU_DEP_2)
	v_dual_cndmask_b32 v53, v50, v27 :: v_dual_cndmask_b32 v54, v51, v26
	v_cmp_eq_u32_e32 vcc_lo, 5, v0
	ds_load_b64 v[50:51], v52
	v_dual_cndmask_b32 v53, v53, v29 :: v_dual_cndmask_b32 v54, v54, v28
	v_cmp_eq_u32_e32 vcc_lo, 6, v0
	v_cndmask_b32_e32 v53, v53, v31, vcc_lo
	s_delay_alu instid0(VALU_DEP_3) | instskip(SKIP_1) | instid1(VALU_DEP_2)
	v_cndmask_b32_e32 v55, v54, v30, vcc_lo
	v_cmp_eq_u32_e32 vcc_lo, 7, v0
	v_dual_cndmask_b32 v54, v53, v33 :: v_dual_cndmask_b32 v53, v55, v32
	s_waitcnt lgkmcnt(0)
	s_delay_alu instid0(VALU_DEP_1)
	v_mul_f64 v[50:51], v[53:54], v[50:51]
	s_cbranch_execz .LBB7_23
	s_branch .LBB7_24
.LBB7_22:
                                        ; implicit-def: $vgpr50_vgpr51
.LBB7_23:
	ds_load_b64 v[50:51], v52
.LBB7_24:
	s_and_saveexec_b32 s5, s0
	s_cbranch_execz .LBB7_34
; %bb.25:
	v_dual_mov_b32 v55, 5 :: v_dual_add_nc_u32 v54, -6, v0
	v_add_nc_u32_e32 v53, -5, v0
	s_mov_b32 s0, exec_lo
	s_delay_alu instid0(VALU_DEP_2)
	v_cmpx_lt_u32_e32 6, v54
	s_cbranch_execz .LBB7_29
; %bb.26:
	s_delay_alu instid0(VALU_DEP_2) | instskip(SKIP_3) | instid1(VALU_DEP_1)
	v_and_b32_e32 v54, -8, v53
	s_mov_b32 s6, 0
	s_mov_b64 s[2:3], 12
	s_movk_i32 s7, 0x68
	v_sub_nc_u32_e32 v54, 0, v54
.LBB7_27:                               ; =>This Inner Loop Header: Depth=1
	v_mov_b32_e32 v65, s7
	s_lshl_b32 s9, s2, 1
	s_delay_alu instid0(SALU_CYCLE_1)
	s_add_i32 m0, s9, -13
	v_movrels_b32_e32 v64, v18
	ds_load_2addr_b64 v[55:58], v65 offset1:1
	ds_load_2addr_b64 v[59:62], v65 offset0:2 offset1:3
	s_add_i32 m0, s9, -14
	v_movrels_b32_e32 v63, v18
	s_add_i32 m0, s9, -11
	s_waitcnt lgkmcnt(1)
	s_delay_alu instid0(VALU_DEP_1) | instskip(SKIP_4) | instid1(VALU_DEP_1)
	v_fma_f64 v[50:51], v[63:64], v[55:56], v[50:51]
	v_movrels_b32_e32 v56, v18
	s_add_i32 m0, s9, -12
	v_movrels_b32_e32 v55, v18
	s_add_i32 m0, s9, -9
	v_fma_f64 v[50:51], v[55:56], v[57:58], v[50:51]
	v_movrels_b32_e32 v56, v18
	s_add_i32 m0, s9, -10
	v_movrels_b32_e32 v55, v18
	s_add_i32 m0, s9, -7
	s_waitcnt lgkmcnt(0)
	s_delay_alu instid0(VALU_DEP_1)
	v_fma_f64 v[50:51], v[55:56], v[59:60], v[50:51]
	v_movrels_b32_e32 v56, v18
	s_add_i32 m0, s9, -8
	v_movrels_b32_e32 v55, v18
	s_add_i32 m0, s9, -5
	;; [unrolled: 2-line block ×4, first 2 shown]
	v_fma_f64 v[50:51], v[55:56], v[61:62], v[50:51]
	ds_load_2addr_b64 v[55:58], v65 offset0:4 offset1:5
	ds_load_2addr_b64 v[59:62], v65 offset0:6 offset1:7
	s_waitcnt lgkmcnt(1)
	v_fma_f64 v[50:51], v[63:64], v[55:56], v[50:51]
	v_movrels_b32_e32 v56, v18
	s_add_i32 m0, s9, -4
	v_movrels_b32_e32 v55, v18
	s_add_i32 m0, s9, -1
	s_delay_alu instid0(VALU_DEP_1)
	v_fma_f64 v[50:51], v[55:56], v[57:58], v[50:51]
	v_movrels_b32_e32 v56, v18
	s_add_i32 m0, s9, -2
	s_add_u32 s2, s2, 8
	v_movrels_b32_e32 v55, v18
	s_mov_b32 m0, s9
	s_addc_u32 s3, s3, 0
	s_add_i32 s9, s2, -7
	s_add_i32 s7, s7, 64
	s_waitcnt lgkmcnt(0)
	s_delay_alu instid0(VALU_DEP_3) | instskip(SKIP_2) | instid1(VALU_DEP_1)
	v_fma_f64 v[50:51], v[55:56], v[59:60], v[50:51]
	v_movrels_b32_e32 v56, v19
	v_movrels_b32_e32 v55, v18
	v_fma_f64 v[50:51], v[55:56], v[61:62], v[50:51]
	v_add_nc_u32_e32 v55, s2, v54
	s_delay_alu instid0(VALU_DEP_1) | instskip(SKIP_2) | instid1(SALU_CYCLE_1)
	v_cmp_eq_u32_e32 vcc_lo, 12, v55
	v_mov_b32_e32 v55, s9
	s_or_b32 s6, vcc_lo, s6
	s_and_not1_b32 exec_lo, exec_lo, s6
	s_cbranch_execnz .LBB7_27
; %bb.28:
	s_or_b32 exec_lo, exec_lo, s6
.LBB7_29:
	s_delay_alu instid0(SALU_CYCLE_1) | instskip(SKIP_3) | instid1(VALU_DEP_1)
	s_or_b32 exec_lo, exec_lo, s0
	v_and_b32_e32 v53, 7, v53
	s_mov_b32 s3, 0
	s_mov_b32 s2, exec_lo
	v_cmpx_ne_u32_e32 0, v53
	s_cbranch_execz .LBB7_33
; %bb.30:
	v_lshl_add_u32 v54, v55, 3, 64
	v_mov_b32_e32 v56, 0
	s_set_inst_prefetch_distance 0x1
	.p2align	6
.LBB7_31:                               ; =>This Inner Loop Header: Depth=1
	v_cmp_eq_u32_e32 vcc_lo, 1, v55
	v_cmp_eq_u32_e64 s0, 2, v55
	v_add_nc_u32_e32 v53, -1, v53
	v_dual_cndmask_b32 v57, v19, v21 :: v_dual_cndmask_b32 v58, v18, v20
	v_cmp_eq_u32_e32 vcc_lo, 3, v55
	s_delay_alu instid0(VALU_DEP_2) | instskip(NEXT) | instid1(VALU_DEP_3)
	v_cndmask_b32_e64 v57, v57, v23, s0
	v_cndmask_b32_e64 v58, v58, v22, s0
	v_cmp_eq_u32_e64 s0, 4, v55
	s_delay_alu instid0(VALU_DEP_2)
	v_dual_cndmask_b32 v59, v57, v25 :: v_dual_cndmask_b32 v60, v58, v24
	ds_load_b64 v[57:58], v54
	v_cmp_eq_u32_e32 vcc_lo, 5, v55
	v_add_nc_u32_e32 v54, 8, v54
	v_cndmask_b32_e64 v59, v59, v27, s0
	v_cndmask_b32_e64 v60, v60, v26, s0
	v_cmp_eq_u32_e64 s0, 6, v55
	s_delay_alu instid0(VALU_DEP_2) | instskip(SKIP_1) | instid1(VALU_DEP_2)
	v_dual_cndmask_b32 v59, v59, v29 :: v_dual_cndmask_b32 v60, v60, v28
	v_cmp_eq_u32_e32 vcc_lo, 7, v55
	v_cndmask_b32_e64 v59, v59, v31, s0
	s_delay_alu instid0(VALU_DEP_3) | instskip(SKIP_1) | instid1(VALU_DEP_1)
	v_cndmask_b32_e64 v61, v60, v30, s0
	v_add_co_u32 v55, s0, v55, 1
	v_add_co_ci_u32_e64 v56, s0, 0, v56, s0
	s_delay_alu instid0(VALU_DEP_3) | instskip(SKIP_2) | instid1(VALU_DEP_2)
	v_dual_cndmask_b32 v60, v59, v33 :: v_dual_cndmask_b32 v59, v61, v32
	v_cmp_eq_u32_e32 vcc_lo, 0, v53
	s_waitcnt lgkmcnt(0)
	v_fma_f64 v[50:51], v[59:60], v[57:58], v[50:51]
	s_or_b32 s3, vcc_lo, s3
	s_delay_alu instid0(SALU_CYCLE_1)
	s_and_not1_b32 exec_lo, exec_lo, s3
	s_cbranch_execnz .LBB7_31
; %bb.32:
	s_set_inst_prefetch_distance 0x2
	s_or_b32 exec_lo, exec_lo, s3
.LBB7_33:
	s_delay_alu instid0(SALU_CYCLE_1)
	s_or_b32 exec_lo, exec_lo, s2
.LBB7_34:
	s_delay_alu instid0(SALU_CYCLE_1)
	s_or_b32 exec_lo, exec_lo, s5
	v_mov_b32_e32 v26, 0
	ds_load_b64 v[26:27], v26 offset:32
	s_waitcnt lgkmcnt(0)
	v_mul_f64 v[26:27], v[50:51], v[26:27]
.LBB7_35:
	s_or_b32 exec_lo, exec_lo, s4
	v_cmp_lt_u32_e64 s0, 3, v0
	ds_store_b64 v52, v[24:25]
	s_waitcnt lgkmcnt(0)
	s_barrier
	buffer_gl0_inv
	s_and_saveexec_b32 s4, s0
	s_cbranch_execz .LBB7_51
; %bb.36:
	s_and_not1_b32 vcc_lo, exec_lo, s8
	s_cbranch_vccnz .LBB7_38
; %bb.37:
	v_cmp_eq_u32_e32 vcc_lo, 1, v0
	v_dual_cndmask_b32 v50, v19, v21 :: v_dual_cndmask_b32 v51, v18, v20
	v_cmp_eq_u32_e32 vcc_lo, 2, v0
	s_delay_alu instid0(VALU_DEP_2) | instskip(SKIP_1) | instid1(VALU_DEP_2)
	v_dual_cndmask_b32 v50, v50, v23 :: v_dual_cndmask_b32 v51, v51, v22
	v_cmp_eq_u32_e32 vcc_lo, 3, v0
	v_dual_cndmask_b32 v50, v50, v25 :: v_dual_cndmask_b32 v51, v51, v24
	v_cmp_eq_u32_e32 vcc_lo, 4, v0
	s_delay_alu instid0(VALU_DEP_2) | instskip(SKIP_4) | instid1(VALU_DEP_2)
	v_dual_cndmask_b32 v53, v50, v27 :: v_dual_cndmask_b32 v54, v51, v26
	v_cmp_eq_u32_e32 vcc_lo, 5, v0
	ds_load_b64 v[50:51], v52
	v_dual_cndmask_b32 v53, v53, v29 :: v_dual_cndmask_b32 v54, v54, v28
	v_cmp_eq_u32_e32 vcc_lo, 6, v0
	v_cndmask_b32_e32 v53, v53, v31, vcc_lo
	s_delay_alu instid0(VALU_DEP_3) | instskip(SKIP_1) | instid1(VALU_DEP_2)
	v_cndmask_b32_e32 v55, v54, v30, vcc_lo
	v_cmp_eq_u32_e32 vcc_lo, 7, v0
	v_dual_cndmask_b32 v54, v53, v33 :: v_dual_cndmask_b32 v53, v55, v32
	s_waitcnt lgkmcnt(0)
	s_delay_alu instid0(VALU_DEP_1)
	v_mul_f64 v[50:51], v[53:54], v[50:51]
	s_cbranch_execz .LBB7_39
	s_branch .LBB7_40
.LBB7_38:
                                        ; implicit-def: $vgpr50_vgpr51
.LBB7_39:
	ds_load_b64 v[50:51], v52
.LBB7_40:
	s_and_saveexec_b32 s5, s1
	s_cbranch_execz .LBB7_50
; %bb.41:
	v_dual_mov_b32 v55, 4 :: v_dual_add_nc_u32 v54, -5, v0
	v_add_nc_u32_e32 v53, -4, v0
	s_mov_b32 s1, exec_lo
	s_delay_alu instid0(VALU_DEP_2)
	v_cmpx_lt_u32_e32 6, v54
	s_cbranch_execz .LBB7_45
; %bb.42:
	s_delay_alu instid0(VALU_DEP_2) | instskip(SKIP_3) | instid1(VALU_DEP_1)
	v_and_b32_e32 v54, -8, v53
	s_mov_b32 s6, 0
	s_mov_b64 s[2:3], 5
	s_movk_i32 s7, 0x60
	v_sub_nc_u32_e32 v54, 0, v54
.LBB7_43:                               ; =>This Inner Loop Header: Depth=1
	v_mov_b32_e32 v65, s7
	s_lshl_b32 s9, s2, 1
	s_delay_alu instid0(SALU_CYCLE_1)
	s_add_i32 m0, s9, -1
	s_add_i32 s10, s9, 3
	ds_load_b128 v[55:58], v65
	ds_load_b128 v[59:62], v65 offset:16
	v_movrels_b32_e32 v64, v18
	s_add_i32 m0, s9, -2
	s_add_i32 s11, s9, 2
	v_movrels_b32_e32 v63, v18
	s_mov_b32 m0, s9
	s_waitcnt lgkmcnt(1)
	s_delay_alu instid0(VALU_DEP_1) | instskip(SKIP_4) | instid1(VALU_DEP_1)
	v_fma_f64 v[50:51], v[63:64], v[55:56], v[50:51]
	v_movrels_b32_e32 v56, v19
	v_movrels_b32_e32 v55, v18
	s_mov_b32 m0, s10
	s_add_i32 s10, s9, 5
	v_fma_f64 v[50:51], v[55:56], v[57:58], v[50:51]
	v_movrels_b32_e32 v56, v18
	s_mov_b32 m0, s11
	s_add_i32 s11, s9, 4
	v_movrels_b32_e32 v55, v18
	s_mov_b32 m0, s10
	s_add_i32 s10, s9, 7
	s_waitcnt lgkmcnt(0)
	s_delay_alu instid0(VALU_DEP_1)
	v_fma_f64 v[50:51], v[55:56], v[59:60], v[50:51]
	v_movrels_b32_e32 v56, v18
	s_mov_b32 m0, s11
	s_add_i32 s11, s9, 6
	v_movrels_b32_e32 v55, v18
	s_mov_b32 m0, s10
	s_add_i32 s10, s9, 9
	;; [unrolled: 3-line block ×4, first 2 shown]
	v_fma_f64 v[50:51], v[55:56], v[61:62], v[50:51]
	ds_load_b128 v[55:58], v65 offset:32
	ds_load_b128 v[59:62], v65 offset:48
	s_waitcnt lgkmcnt(1)
	v_fma_f64 v[50:51], v[63:64], v[55:56], v[50:51]
	v_movrels_b32_e32 v56, v18
	s_mov_b32 m0, s11
	s_add_i32 s11, s9, 10
	v_movrels_b32_e32 v55, v18
	s_mov_b32 m0, s10
	s_add_i32 s10, s9, 13
	s_add_i32 s9, s9, 12
	s_add_u32 s2, s2, 8
	s_addc_u32 s3, s3, 0
	s_add_i32 s7, s7, 64
	s_delay_alu instid0(VALU_DEP_3)
	v_fma_f64 v[50:51], v[55:56], v[57:58], v[50:51]
	v_movrels_b32_e32 v56, v18
	s_mov_b32 m0, s11
	v_movrels_b32_e32 v55, v18
	s_mov_b32 m0, s10
	s_waitcnt lgkmcnt(0)
	s_delay_alu instid0(VALU_DEP_1) | instskip(SKIP_4) | instid1(VALU_DEP_1)
	v_fma_f64 v[50:51], v[55:56], v[59:60], v[50:51]
	v_movrels_b32_e32 v56, v18
	s_mov_b32 m0, s9
	s_add_i32 s9, s2, -1
	v_movrels_b32_e32 v55, v18
	v_fma_f64 v[50:51], v[55:56], v[61:62], v[50:51]
	v_add_nc_u32_e32 v55, s2, v54
	s_delay_alu instid0(VALU_DEP_1) | instskip(SKIP_2) | instid1(SALU_CYCLE_1)
	v_cmp_eq_u32_e32 vcc_lo, 5, v55
	v_mov_b32_e32 v55, s9
	s_or_b32 s6, vcc_lo, s6
	s_and_not1_b32 exec_lo, exec_lo, s6
	s_cbranch_execnz .LBB7_43
; %bb.44:
	s_or_b32 exec_lo, exec_lo, s6
.LBB7_45:
	s_delay_alu instid0(SALU_CYCLE_1) | instskip(SKIP_3) | instid1(VALU_DEP_1)
	s_or_b32 exec_lo, exec_lo, s1
	v_and_b32_e32 v53, 7, v53
	s_mov_b32 s3, 0
	s_mov_b32 s2, exec_lo
	v_cmpx_ne_u32_e32 0, v53
	s_cbranch_execz .LBB7_49
; %bb.46:
	v_lshl_add_u32 v54, v55, 3, 64
	v_mov_b32_e32 v56, 0
	s_set_inst_prefetch_distance 0x1
	.p2align	6
.LBB7_47:                               ; =>This Inner Loop Header: Depth=1
	v_cmp_eq_u32_e32 vcc_lo, 1, v55
	v_cmp_eq_u32_e64 s1, 2, v55
	v_add_nc_u32_e32 v53, -1, v53
	v_dual_cndmask_b32 v57, v19, v21 :: v_dual_cndmask_b32 v58, v18, v20
	v_cmp_eq_u32_e32 vcc_lo, 3, v55
	s_delay_alu instid0(VALU_DEP_2) | instskip(NEXT) | instid1(VALU_DEP_3)
	v_cndmask_b32_e64 v57, v57, v23, s1
	v_cndmask_b32_e64 v58, v58, v22, s1
	v_cmp_eq_u32_e64 s1, 4, v55
	s_delay_alu instid0(VALU_DEP_2)
	v_dual_cndmask_b32 v59, v57, v25 :: v_dual_cndmask_b32 v60, v58, v24
	ds_load_b64 v[57:58], v54
	v_cmp_eq_u32_e32 vcc_lo, 5, v55
	v_add_nc_u32_e32 v54, 8, v54
	v_cndmask_b32_e64 v59, v59, v27, s1
	v_cndmask_b32_e64 v60, v60, v26, s1
	v_cmp_eq_u32_e64 s1, 6, v55
	s_delay_alu instid0(VALU_DEP_2) | instskip(SKIP_1) | instid1(VALU_DEP_2)
	v_dual_cndmask_b32 v59, v59, v29 :: v_dual_cndmask_b32 v60, v60, v28
	v_cmp_eq_u32_e32 vcc_lo, 7, v55
	v_cndmask_b32_e64 v59, v59, v31, s1
	s_delay_alu instid0(VALU_DEP_3) | instskip(SKIP_1) | instid1(VALU_DEP_1)
	v_cndmask_b32_e64 v61, v60, v30, s1
	v_add_co_u32 v55, s1, v55, 1
	v_add_co_ci_u32_e64 v56, s1, 0, v56, s1
	s_delay_alu instid0(VALU_DEP_3) | instskip(SKIP_2) | instid1(VALU_DEP_2)
	v_dual_cndmask_b32 v60, v59, v33 :: v_dual_cndmask_b32 v59, v61, v32
	v_cmp_eq_u32_e32 vcc_lo, 0, v53
	s_waitcnt lgkmcnt(0)
	v_fma_f64 v[50:51], v[59:60], v[57:58], v[50:51]
	s_or_b32 s3, vcc_lo, s3
	s_delay_alu instid0(SALU_CYCLE_1)
	s_and_not1_b32 exec_lo, exec_lo, s3
	s_cbranch_execnz .LBB7_47
; %bb.48:
	s_set_inst_prefetch_distance 0x2
	s_or_b32 exec_lo, exec_lo, s3
.LBB7_49:
	s_delay_alu instid0(SALU_CYCLE_1)
	s_or_b32 exec_lo, exec_lo, s2
.LBB7_50:
	s_delay_alu instid0(SALU_CYCLE_1)
	s_or_b32 exec_lo, exec_lo, s5
	v_mov_b32_e32 v24, 0
	ds_load_b64 v[24:25], v24 offset:24
	s_waitcnt lgkmcnt(0)
	v_mul_f64 v[24:25], v[50:51], v[24:25]
.LBB7_51:
	s_or_b32 exec_lo, exec_lo, s4
	v_cmp_lt_u32_e64 s1, 2, v0
	ds_store_b64 v52, v[22:23]
	s_waitcnt lgkmcnt(0)
	s_barrier
	buffer_gl0_inv
	s_and_saveexec_b32 s4, s1
	s_cbranch_execz .LBB7_67
; %bb.52:
	s_and_not1_b32 vcc_lo, exec_lo, s8
	s_cbranch_vccnz .LBB7_54
; %bb.53:
	v_cmp_eq_u32_e32 vcc_lo, 1, v0
	v_dual_cndmask_b32 v50, v19, v21 :: v_dual_cndmask_b32 v51, v18, v20
	v_cmp_eq_u32_e32 vcc_lo, 2, v0
	s_delay_alu instid0(VALU_DEP_2) | instskip(SKIP_1) | instid1(VALU_DEP_2)
	v_dual_cndmask_b32 v50, v50, v23 :: v_dual_cndmask_b32 v51, v51, v22
	v_cmp_eq_u32_e32 vcc_lo, 3, v0
	v_dual_cndmask_b32 v50, v50, v25 :: v_dual_cndmask_b32 v51, v51, v24
	v_cmp_eq_u32_e32 vcc_lo, 4, v0
	s_delay_alu instid0(VALU_DEP_2) | instskip(SKIP_4) | instid1(VALU_DEP_2)
	v_dual_cndmask_b32 v53, v50, v27 :: v_dual_cndmask_b32 v54, v51, v26
	v_cmp_eq_u32_e32 vcc_lo, 5, v0
	ds_load_b64 v[50:51], v52
	v_dual_cndmask_b32 v53, v53, v29 :: v_dual_cndmask_b32 v54, v54, v28
	v_cmp_eq_u32_e32 vcc_lo, 6, v0
	v_cndmask_b32_e32 v53, v53, v31, vcc_lo
	s_delay_alu instid0(VALU_DEP_3) | instskip(SKIP_1) | instid1(VALU_DEP_2)
	v_cndmask_b32_e32 v55, v54, v30, vcc_lo
	v_cmp_eq_u32_e32 vcc_lo, 7, v0
	v_dual_cndmask_b32 v54, v53, v33 :: v_dual_cndmask_b32 v53, v55, v32
	s_waitcnt lgkmcnt(0)
	s_delay_alu instid0(VALU_DEP_1)
	v_mul_f64 v[50:51], v[53:54], v[50:51]
	s_cbranch_execz .LBB7_55
	s_branch .LBB7_56
.LBB7_54:
                                        ; implicit-def: $vgpr50_vgpr51
.LBB7_55:
	ds_load_b64 v[50:51], v52
.LBB7_56:
	s_and_saveexec_b32 s5, s0
	s_cbranch_execz .LBB7_66
; %bb.57:
	v_dual_mov_b32 v55, 3 :: v_dual_add_nc_u32 v54, -4, v0
	v_add_nc_u32_e32 v53, -3, v0
	s_mov_b32 s0, exec_lo
	s_delay_alu instid0(VALU_DEP_2)
	v_cmpx_lt_u32_e32 6, v54
	s_cbranch_execz .LBB7_61
; %bb.58:
	s_delay_alu instid0(VALU_DEP_2) | instskip(SKIP_3) | instid1(VALU_DEP_1)
	v_and_b32_e32 v54, -8, v53
	s_mov_b32 s6, 0
	s_mov_b64 s[2:3], 10
	s_movk_i32 s7, 0x58
	v_sub_nc_u32_e32 v54, 0, v54
.LBB7_59:                               ; =>This Inner Loop Header: Depth=1
	v_mov_b32_e32 v65, s7
	s_lshl_b32 s9, s2, 1
	s_delay_alu instid0(SALU_CYCLE_1)
	s_add_i32 m0, s9, -13
	v_movrels_b32_e32 v64, v18
	ds_load_2addr_b64 v[55:58], v65 offset1:1
	ds_load_2addr_b64 v[59:62], v65 offset0:2 offset1:3
	s_add_i32 m0, s9, -14
	v_movrels_b32_e32 v63, v18
	s_add_i32 m0, s9, -11
	s_waitcnt lgkmcnt(1)
	s_delay_alu instid0(VALU_DEP_1) | instskip(SKIP_4) | instid1(VALU_DEP_1)
	v_fma_f64 v[50:51], v[63:64], v[55:56], v[50:51]
	v_movrels_b32_e32 v56, v18
	s_add_i32 m0, s9, -12
	v_movrels_b32_e32 v55, v18
	s_add_i32 m0, s9, -9
	v_fma_f64 v[50:51], v[55:56], v[57:58], v[50:51]
	v_movrels_b32_e32 v56, v18
	s_add_i32 m0, s9, -10
	v_movrels_b32_e32 v55, v18
	s_add_i32 m0, s9, -7
	s_waitcnt lgkmcnt(0)
	s_delay_alu instid0(VALU_DEP_1)
	v_fma_f64 v[50:51], v[55:56], v[59:60], v[50:51]
	v_movrels_b32_e32 v56, v18
	s_add_i32 m0, s9, -8
	v_movrels_b32_e32 v55, v18
	s_add_i32 m0, s9, -5
	;; [unrolled: 2-line block ×4, first 2 shown]
	v_fma_f64 v[50:51], v[55:56], v[61:62], v[50:51]
	ds_load_2addr_b64 v[55:58], v65 offset0:4 offset1:5
	ds_load_2addr_b64 v[59:62], v65 offset0:6 offset1:7
	s_waitcnt lgkmcnt(1)
	v_fma_f64 v[50:51], v[63:64], v[55:56], v[50:51]
	v_movrels_b32_e32 v56, v18
	s_add_i32 m0, s9, -4
	v_movrels_b32_e32 v55, v18
	s_add_i32 m0, s9, -1
	s_delay_alu instid0(VALU_DEP_1)
	v_fma_f64 v[50:51], v[55:56], v[57:58], v[50:51]
	v_movrels_b32_e32 v56, v18
	s_add_i32 m0, s9, -2
	s_add_u32 s2, s2, 8
	v_movrels_b32_e32 v55, v18
	s_mov_b32 m0, s9
	s_addc_u32 s3, s3, 0
	s_add_i32 s9, s2, -7
	s_add_i32 s7, s7, 64
	s_waitcnt lgkmcnt(0)
	s_delay_alu instid0(VALU_DEP_3) | instskip(SKIP_2) | instid1(VALU_DEP_1)
	v_fma_f64 v[50:51], v[55:56], v[59:60], v[50:51]
	v_movrels_b32_e32 v56, v19
	v_movrels_b32_e32 v55, v18
	v_fma_f64 v[50:51], v[55:56], v[61:62], v[50:51]
	v_add_nc_u32_e32 v55, s2, v54
	s_delay_alu instid0(VALU_DEP_1) | instskip(SKIP_2) | instid1(SALU_CYCLE_1)
	v_cmp_eq_u32_e32 vcc_lo, 10, v55
	v_mov_b32_e32 v55, s9
	s_or_b32 s6, vcc_lo, s6
	s_and_not1_b32 exec_lo, exec_lo, s6
	s_cbranch_execnz .LBB7_59
; %bb.60:
	s_or_b32 exec_lo, exec_lo, s6
.LBB7_61:
	s_delay_alu instid0(SALU_CYCLE_1) | instskip(SKIP_3) | instid1(VALU_DEP_1)
	s_or_b32 exec_lo, exec_lo, s0
	v_and_b32_e32 v53, 7, v53
	s_mov_b32 s3, 0
	s_mov_b32 s2, exec_lo
	v_cmpx_ne_u32_e32 0, v53
	s_cbranch_execz .LBB7_65
; %bb.62:
	v_lshl_add_u32 v54, v55, 3, 64
	v_mov_b32_e32 v56, 0
	s_set_inst_prefetch_distance 0x1
	.p2align	6
.LBB7_63:                               ; =>This Inner Loop Header: Depth=1
	v_cmp_eq_u32_e32 vcc_lo, 1, v55
	v_cmp_eq_u32_e64 s0, 2, v55
	v_add_nc_u32_e32 v53, -1, v53
	v_dual_cndmask_b32 v57, v19, v21 :: v_dual_cndmask_b32 v58, v18, v20
	v_cmp_eq_u32_e32 vcc_lo, 3, v55
	s_delay_alu instid0(VALU_DEP_2) | instskip(NEXT) | instid1(VALU_DEP_3)
	v_cndmask_b32_e64 v57, v57, v23, s0
	v_cndmask_b32_e64 v58, v58, v22, s0
	v_cmp_eq_u32_e64 s0, 4, v55
	s_delay_alu instid0(VALU_DEP_2)
	v_dual_cndmask_b32 v59, v57, v25 :: v_dual_cndmask_b32 v60, v58, v24
	ds_load_b64 v[57:58], v54
	v_cmp_eq_u32_e32 vcc_lo, 5, v55
	v_add_nc_u32_e32 v54, 8, v54
	v_cndmask_b32_e64 v59, v59, v27, s0
	v_cndmask_b32_e64 v60, v60, v26, s0
	v_cmp_eq_u32_e64 s0, 6, v55
	s_delay_alu instid0(VALU_DEP_2) | instskip(SKIP_1) | instid1(VALU_DEP_2)
	v_dual_cndmask_b32 v59, v59, v29 :: v_dual_cndmask_b32 v60, v60, v28
	v_cmp_eq_u32_e32 vcc_lo, 7, v55
	v_cndmask_b32_e64 v59, v59, v31, s0
	s_delay_alu instid0(VALU_DEP_3) | instskip(SKIP_1) | instid1(VALU_DEP_1)
	v_cndmask_b32_e64 v61, v60, v30, s0
	v_add_co_u32 v55, s0, v55, 1
	v_add_co_ci_u32_e64 v56, s0, 0, v56, s0
	s_delay_alu instid0(VALU_DEP_3) | instskip(SKIP_2) | instid1(VALU_DEP_2)
	v_dual_cndmask_b32 v60, v59, v33 :: v_dual_cndmask_b32 v59, v61, v32
	v_cmp_eq_u32_e32 vcc_lo, 0, v53
	s_waitcnt lgkmcnt(0)
	v_fma_f64 v[50:51], v[59:60], v[57:58], v[50:51]
	s_or_b32 s3, vcc_lo, s3
	s_delay_alu instid0(SALU_CYCLE_1)
	s_and_not1_b32 exec_lo, exec_lo, s3
	s_cbranch_execnz .LBB7_63
; %bb.64:
	s_set_inst_prefetch_distance 0x2
	s_or_b32 exec_lo, exec_lo, s3
.LBB7_65:
	s_delay_alu instid0(SALU_CYCLE_1)
	s_or_b32 exec_lo, exec_lo, s2
.LBB7_66:
	s_delay_alu instid0(SALU_CYCLE_1)
	s_or_b32 exec_lo, exec_lo, s5
	v_mov_b32_e32 v22, 0
	ds_load_b64 v[22:23], v22 offset:16
	s_waitcnt lgkmcnt(0)
	v_mul_f64 v[22:23], v[50:51], v[22:23]
.LBB7_67:
	s_or_b32 exec_lo, exec_lo, s4
	v_cmp_lt_u32_e64 s0, 1, v0
	ds_store_b64 v52, v[20:21]
	s_waitcnt lgkmcnt(0)
	s_barrier
	buffer_gl0_inv
	s_and_saveexec_b32 s4, s0
	s_cbranch_execz .LBB7_83
; %bb.68:
	s_and_not1_b32 vcc_lo, exec_lo, s8
	s_cbranch_vccnz .LBB7_70
; %bb.69:
	v_cmp_eq_u32_e32 vcc_lo, 1, v0
	v_dual_cndmask_b32 v50, v19, v21 :: v_dual_cndmask_b32 v51, v18, v20
	v_cmp_eq_u32_e32 vcc_lo, 2, v0
	s_delay_alu instid0(VALU_DEP_2) | instskip(SKIP_1) | instid1(VALU_DEP_2)
	v_dual_cndmask_b32 v50, v50, v23 :: v_dual_cndmask_b32 v51, v51, v22
	v_cmp_eq_u32_e32 vcc_lo, 3, v0
	v_dual_cndmask_b32 v50, v50, v25 :: v_dual_cndmask_b32 v51, v51, v24
	v_cmp_eq_u32_e32 vcc_lo, 4, v0
	s_delay_alu instid0(VALU_DEP_2) | instskip(SKIP_4) | instid1(VALU_DEP_2)
	v_dual_cndmask_b32 v53, v50, v27 :: v_dual_cndmask_b32 v54, v51, v26
	v_cmp_eq_u32_e32 vcc_lo, 5, v0
	ds_load_b64 v[50:51], v52
	v_dual_cndmask_b32 v53, v53, v29 :: v_dual_cndmask_b32 v54, v54, v28
	v_cmp_eq_u32_e32 vcc_lo, 6, v0
	v_cndmask_b32_e32 v53, v53, v31, vcc_lo
	s_delay_alu instid0(VALU_DEP_3) | instskip(SKIP_1) | instid1(VALU_DEP_2)
	v_cndmask_b32_e32 v55, v54, v30, vcc_lo
	v_cmp_eq_u32_e32 vcc_lo, 7, v0
	v_dual_cndmask_b32 v54, v53, v33 :: v_dual_cndmask_b32 v53, v55, v32
	s_waitcnt lgkmcnt(0)
	s_delay_alu instid0(VALU_DEP_1)
	v_mul_f64 v[50:51], v[53:54], v[50:51]
	s_cbranch_execz .LBB7_71
	s_branch .LBB7_72
.LBB7_70:
                                        ; implicit-def: $vgpr50_vgpr51
.LBB7_71:
	ds_load_b64 v[50:51], v52
.LBB7_72:
	s_and_saveexec_b32 s5, s1
	s_cbranch_execz .LBB7_82
; %bb.73:
	v_dual_mov_b32 v55, 2 :: v_dual_add_nc_u32 v54, -3, v0
	v_add_nc_u32_e32 v53, -2, v0
	s_mov_b32 s1, exec_lo
	s_delay_alu instid0(VALU_DEP_2)
	v_cmpx_lt_u32_e32 6, v54
	s_cbranch_execz .LBB7_77
; %bb.74:
	s_delay_alu instid0(VALU_DEP_2) | instskip(SKIP_3) | instid1(VALU_DEP_1)
	v_and_b32_e32 v54, -8, v53
	s_mov_b32 s6, 0
	s_mov_b64 s[2:3], 9
	s_movk_i32 s7, 0x50
	v_sub_nc_u32_e32 v54, 0, v54
.LBB7_75:                               ; =>This Inner Loop Header: Depth=1
	v_mov_b32_e32 v65, s7
	s_lshl_b32 s9, s2, 1
	s_delay_alu instid0(SALU_CYCLE_1)
	s_add_i32 m0, s9, -13
	v_movrels_b32_e32 v64, v18
	ds_load_b128 v[55:58], v65
	ds_load_b128 v[59:62], v65 offset:16
	s_add_i32 m0, s9, -14
	v_movrels_b32_e32 v63, v18
	s_add_i32 m0, s9, -11
	s_waitcnt lgkmcnt(1)
	s_delay_alu instid0(VALU_DEP_1) | instskip(SKIP_4) | instid1(VALU_DEP_1)
	v_fma_f64 v[50:51], v[63:64], v[55:56], v[50:51]
	v_movrels_b32_e32 v56, v18
	s_add_i32 m0, s9, -12
	v_movrels_b32_e32 v55, v18
	s_add_i32 m0, s9, -9
	v_fma_f64 v[50:51], v[55:56], v[57:58], v[50:51]
	v_movrels_b32_e32 v56, v18
	s_add_i32 m0, s9, -10
	v_movrels_b32_e32 v55, v18
	s_add_i32 m0, s9, -7
	s_waitcnt lgkmcnt(0)
	s_delay_alu instid0(VALU_DEP_1)
	v_fma_f64 v[50:51], v[55:56], v[59:60], v[50:51]
	v_movrels_b32_e32 v56, v18
	s_add_i32 m0, s9, -8
	v_movrels_b32_e32 v55, v18
	s_add_i32 m0, s9, -5
	;; [unrolled: 2-line block ×4, first 2 shown]
	v_fma_f64 v[50:51], v[55:56], v[61:62], v[50:51]
	ds_load_b128 v[55:58], v65 offset:32
	ds_load_b128 v[59:62], v65 offset:48
	s_waitcnt lgkmcnt(1)
	v_fma_f64 v[50:51], v[63:64], v[55:56], v[50:51]
	v_movrels_b32_e32 v56, v18
	s_add_i32 m0, s9, -4
	v_movrels_b32_e32 v55, v18
	s_add_i32 m0, s9, -1
	s_delay_alu instid0(VALU_DEP_1)
	v_fma_f64 v[50:51], v[55:56], v[57:58], v[50:51]
	v_movrels_b32_e32 v56, v18
	s_add_i32 m0, s9, -2
	s_add_u32 s2, s2, 8
	v_movrels_b32_e32 v55, v18
	s_mov_b32 m0, s9
	s_addc_u32 s3, s3, 0
	s_add_i32 s9, s2, -7
	s_add_i32 s7, s7, 64
	s_waitcnt lgkmcnt(0)
	s_delay_alu instid0(VALU_DEP_3) | instskip(SKIP_2) | instid1(VALU_DEP_1)
	v_fma_f64 v[50:51], v[55:56], v[59:60], v[50:51]
	v_movrels_b32_e32 v56, v19
	v_movrels_b32_e32 v55, v18
	v_fma_f64 v[50:51], v[55:56], v[61:62], v[50:51]
	v_add_nc_u32_e32 v55, s2, v54
	s_delay_alu instid0(VALU_DEP_1) | instskip(SKIP_2) | instid1(SALU_CYCLE_1)
	v_cmp_eq_u32_e32 vcc_lo, 9, v55
	v_mov_b32_e32 v55, s9
	s_or_b32 s6, vcc_lo, s6
	s_and_not1_b32 exec_lo, exec_lo, s6
	s_cbranch_execnz .LBB7_75
; %bb.76:
	s_or_b32 exec_lo, exec_lo, s6
.LBB7_77:
	s_delay_alu instid0(SALU_CYCLE_1) | instskip(SKIP_3) | instid1(VALU_DEP_1)
	s_or_b32 exec_lo, exec_lo, s1
	v_and_b32_e32 v53, 7, v53
	s_mov_b32 s3, 0
	s_mov_b32 s2, exec_lo
	v_cmpx_ne_u32_e32 0, v53
	s_cbranch_execz .LBB7_81
; %bb.78:
	v_lshl_add_u32 v54, v55, 3, 64
	v_mov_b32_e32 v56, 0
	s_set_inst_prefetch_distance 0x1
	.p2align	6
.LBB7_79:                               ; =>This Inner Loop Header: Depth=1
	v_cmp_eq_u32_e32 vcc_lo, 1, v55
	v_cmp_eq_u32_e64 s1, 2, v55
	v_add_nc_u32_e32 v53, -1, v53
	v_dual_cndmask_b32 v57, v19, v21 :: v_dual_cndmask_b32 v58, v18, v20
	v_cmp_eq_u32_e32 vcc_lo, 3, v55
	s_delay_alu instid0(VALU_DEP_2) | instskip(NEXT) | instid1(VALU_DEP_3)
	v_cndmask_b32_e64 v57, v57, v23, s1
	v_cndmask_b32_e64 v58, v58, v22, s1
	v_cmp_eq_u32_e64 s1, 4, v55
	s_delay_alu instid0(VALU_DEP_2)
	v_dual_cndmask_b32 v59, v57, v25 :: v_dual_cndmask_b32 v60, v58, v24
	ds_load_b64 v[57:58], v54
	v_cmp_eq_u32_e32 vcc_lo, 5, v55
	v_add_nc_u32_e32 v54, 8, v54
	v_cndmask_b32_e64 v59, v59, v27, s1
	v_cndmask_b32_e64 v60, v60, v26, s1
	v_cmp_eq_u32_e64 s1, 6, v55
	s_delay_alu instid0(VALU_DEP_2) | instskip(SKIP_1) | instid1(VALU_DEP_2)
	v_dual_cndmask_b32 v59, v59, v29 :: v_dual_cndmask_b32 v60, v60, v28
	v_cmp_eq_u32_e32 vcc_lo, 7, v55
	v_cndmask_b32_e64 v59, v59, v31, s1
	s_delay_alu instid0(VALU_DEP_3) | instskip(SKIP_1) | instid1(VALU_DEP_1)
	v_cndmask_b32_e64 v61, v60, v30, s1
	v_add_co_u32 v55, s1, v55, 1
	v_add_co_ci_u32_e64 v56, s1, 0, v56, s1
	s_delay_alu instid0(VALU_DEP_3) | instskip(SKIP_2) | instid1(VALU_DEP_2)
	v_dual_cndmask_b32 v60, v59, v33 :: v_dual_cndmask_b32 v59, v61, v32
	v_cmp_eq_u32_e32 vcc_lo, 0, v53
	s_waitcnt lgkmcnt(0)
	v_fma_f64 v[50:51], v[59:60], v[57:58], v[50:51]
	s_or_b32 s3, vcc_lo, s3
	s_delay_alu instid0(SALU_CYCLE_1)
	s_and_not1_b32 exec_lo, exec_lo, s3
	s_cbranch_execnz .LBB7_79
; %bb.80:
	s_set_inst_prefetch_distance 0x2
	s_or_b32 exec_lo, exec_lo, s3
.LBB7_81:
	s_delay_alu instid0(SALU_CYCLE_1)
	s_or_b32 exec_lo, exec_lo, s2
.LBB7_82:
	s_delay_alu instid0(SALU_CYCLE_1)
	s_or_b32 exec_lo, exec_lo, s5
	v_mov_b32_e32 v20, 0
	ds_load_b64 v[20:21], v20 offset:8
	s_waitcnt lgkmcnt(0)
	v_mul_f64 v[20:21], v[50:51], v[20:21]
.LBB7_83:
	s_or_b32 exec_lo, exec_lo, s4
	s_mov_b32 s2, 0
	s_mov_b32 s3, exec_lo
	ds_store_b64 v52, v[18:19]
	s_waitcnt lgkmcnt(0)
	s_barrier
	buffer_gl0_inv
	v_cmpx_ne_u32_e32 0, v0
	s_cbranch_execz .LBB7_99
; %bb.84:
	s_and_not1_b32 vcc_lo, exec_lo, s8
	s_cbranch_vccnz .LBB7_86
; %bb.85:
	v_cmp_eq_u32_e32 vcc_lo, 1, v0
	v_dual_cndmask_b32 v50, v19, v21 :: v_dual_cndmask_b32 v51, v18, v20
	v_cmp_eq_u32_e32 vcc_lo, 2, v0
	s_delay_alu instid0(VALU_DEP_2) | instskip(SKIP_1) | instid1(VALU_DEP_2)
	v_dual_cndmask_b32 v50, v50, v23 :: v_dual_cndmask_b32 v51, v51, v22
	v_cmp_eq_u32_e32 vcc_lo, 3, v0
	v_dual_cndmask_b32 v50, v50, v25 :: v_dual_cndmask_b32 v51, v51, v24
	v_cmp_eq_u32_e32 vcc_lo, 4, v0
	s_delay_alu instid0(VALU_DEP_2) | instskip(SKIP_4) | instid1(VALU_DEP_2)
	v_dual_cndmask_b32 v53, v50, v27 :: v_dual_cndmask_b32 v54, v51, v26
	v_cmp_eq_u32_e32 vcc_lo, 5, v0
	ds_load_b64 v[50:51], v52
	v_dual_cndmask_b32 v53, v53, v29 :: v_dual_cndmask_b32 v54, v54, v28
	v_cmp_eq_u32_e32 vcc_lo, 6, v0
	v_cndmask_b32_e32 v53, v53, v31, vcc_lo
	s_delay_alu instid0(VALU_DEP_3) | instskip(SKIP_1) | instid1(VALU_DEP_2)
	v_cndmask_b32_e32 v55, v54, v30, vcc_lo
	v_cmp_eq_u32_e32 vcc_lo, 7, v0
	v_dual_cndmask_b32 v54, v53, v33 :: v_dual_cndmask_b32 v53, v55, v32
	s_waitcnt lgkmcnt(0)
	s_delay_alu instid0(VALU_DEP_1)
	v_mul_f64 v[50:51], v[53:54], v[50:51]
	s_cbranch_execz .LBB7_87
	s_branch .LBB7_88
.LBB7_86:
                                        ; implicit-def: $vgpr50_vgpr51
.LBB7_87:
	ds_load_b64 v[50:51], v52
.LBB7_88:
	s_and_saveexec_b32 s4, s0
	s_cbranch_execz .LBB7_98
; %bb.89:
	v_dual_mov_b32 v55, 1 :: v_dual_add_nc_u32 v54, -2, v0
	v_add_nc_u32_e32 v53, -1, v0
	s_mov_b32 s5, exec_lo
	s_delay_alu instid0(VALU_DEP_2)
	v_cmpx_lt_u32_e32 6, v54
	s_cbranch_execz .LBB7_93
; %bb.90:
	s_delay_alu instid0(VALU_DEP_2) | instskip(SKIP_3) | instid1(VALU_DEP_1)
	v_and_b32_e32 v54, -8, v53
	s_mov_b32 s6, 0
	s_mov_b64 s[0:1], 8
	s_movk_i32 s7, 0x48
	v_sub_nc_u32_e32 v54, 0, v54
.LBB7_91:                               ; =>This Inner Loop Header: Depth=1
	v_mov_b32_e32 v65, s7
	s_lshl_b32 s9, s0, 1
	s_delay_alu instid0(SALU_CYCLE_1)
	s_add_i32 m0, s9, -13
	v_movrels_b32_e32 v64, v18
	ds_load_2addr_b64 v[55:58], v65 offset1:1
	ds_load_2addr_b64 v[59:62], v65 offset0:2 offset1:3
	s_add_i32 m0, s9, -14
	v_movrels_b32_e32 v63, v18
	s_add_i32 m0, s9, -11
	s_waitcnt lgkmcnt(1)
	s_delay_alu instid0(VALU_DEP_1) | instskip(SKIP_4) | instid1(VALU_DEP_1)
	v_fma_f64 v[50:51], v[63:64], v[55:56], v[50:51]
	v_movrels_b32_e32 v56, v18
	s_add_i32 m0, s9, -12
	v_movrels_b32_e32 v55, v18
	s_add_i32 m0, s9, -9
	v_fma_f64 v[50:51], v[55:56], v[57:58], v[50:51]
	v_movrels_b32_e32 v56, v18
	s_add_i32 m0, s9, -10
	v_movrels_b32_e32 v55, v18
	s_add_i32 m0, s9, -7
	s_waitcnt lgkmcnt(0)
	s_delay_alu instid0(VALU_DEP_1)
	v_fma_f64 v[50:51], v[55:56], v[59:60], v[50:51]
	v_movrels_b32_e32 v56, v18
	s_add_i32 m0, s9, -8
	v_movrels_b32_e32 v55, v18
	s_add_i32 m0, s9, -5
	;; [unrolled: 2-line block ×4, first 2 shown]
	v_fma_f64 v[50:51], v[55:56], v[61:62], v[50:51]
	ds_load_2addr_b64 v[55:58], v65 offset0:4 offset1:5
	ds_load_2addr_b64 v[59:62], v65 offset0:6 offset1:7
	s_waitcnt lgkmcnt(1)
	v_fma_f64 v[50:51], v[63:64], v[55:56], v[50:51]
	v_movrels_b32_e32 v56, v18
	s_add_i32 m0, s9, -4
	v_movrels_b32_e32 v55, v18
	s_add_i32 m0, s9, -1
	s_delay_alu instid0(VALU_DEP_1)
	v_fma_f64 v[50:51], v[55:56], v[57:58], v[50:51]
	v_movrels_b32_e32 v56, v18
	s_add_i32 m0, s9, -2
	s_add_u32 s0, s0, 8
	v_movrels_b32_e32 v55, v18
	s_mov_b32 m0, s9
	s_addc_u32 s1, s1, 0
	s_add_i32 s9, s0, -7
	s_add_i32 s7, s7, 64
	s_waitcnt lgkmcnt(0)
	s_delay_alu instid0(VALU_DEP_3) | instskip(SKIP_2) | instid1(VALU_DEP_1)
	v_fma_f64 v[50:51], v[55:56], v[59:60], v[50:51]
	v_movrels_b32_e32 v56, v19
	v_movrels_b32_e32 v55, v18
	v_fma_f64 v[50:51], v[55:56], v[61:62], v[50:51]
	v_add_nc_u32_e32 v55, s0, v54
	s_delay_alu instid0(VALU_DEP_1) | instskip(SKIP_2) | instid1(SALU_CYCLE_1)
	v_cmp_eq_u32_e32 vcc_lo, 8, v55
	v_mov_b32_e32 v55, s9
	s_or_b32 s6, vcc_lo, s6
	s_and_not1_b32 exec_lo, exec_lo, s6
	s_cbranch_execnz .LBB7_91
; %bb.92:
	s_or_b32 exec_lo, exec_lo, s6
.LBB7_93:
	s_delay_alu instid0(SALU_CYCLE_1) | instskip(SKIP_3) | instid1(VALU_DEP_1)
	s_or_b32 exec_lo, exec_lo, s5
	v_and_b32_e32 v53, 7, v53
	s_mov_b32 s5, 0
	s_mov_b32 s1, exec_lo
	v_cmpx_ne_u32_e32 0, v53
	s_cbranch_execz .LBB7_97
; %bb.94:
	v_lshl_add_u32 v54, v55, 3, 64
	v_mov_b32_e32 v56, 0
	s_set_inst_prefetch_distance 0x1
	.p2align	6
.LBB7_95:                               ; =>This Inner Loop Header: Depth=1
	v_cmp_eq_u32_e32 vcc_lo, 1, v55
	v_cmp_eq_u32_e64 s0, 2, v55
	v_add_nc_u32_e32 v53, -1, v53
	v_dual_cndmask_b32 v57, v19, v21 :: v_dual_cndmask_b32 v58, v18, v20
	v_cmp_eq_u32_e32 vcc_lo, 3, v55
	s_delay_alu instid0(VALU_DEP_2) | instskip(NEXT) | instid1(VALU_DEP_3)
	v_cndmask_b32_e64 v57, v57, v23, s0
	v_cndmask_b32_e64 v58, v58, v22, s0
	v_cmp_eq_u32_e64 s0, 4, v55
	s_delay_alu instid0(VALU_DEP_2)
	v_dual_cndmask_b32 v59, v57, v25 :: v_dual_cndmask_b32 v60, v58, v24
	ds_load_b64 v[57:58], v54
	v_cmp_eq_u32_e32 vcc_lo, 5, v55
	v_add_nc_u32_e32 v54, 8, v54
	v_cndmask_b32_e64 v59, v59, v27, s0
	v_cndmask_b32_e64 v60, v60, v26, s0
	v_cmp_eq_u32_e64 s0, 6, v55
	s_delay_alu instid0(VALU_DEP_2) | instskip(SKIP_1) | instid1(VALU_DEP_2)
	v_dual_cndmask_b32 v59, v59, v29 :: v_dual_cndmask_b32 v60, v60, v28
	v_cmp_eq_u32_e32 vcc_lo, 7, v55
	v_cndmask_b32_e64 v59, v59, v31, s0
	s_delay_alu instid0(VALU_DEP_3) | instskip(SKIP_1) | instid1(VALU_DEP_1)
	v_cndmask_b32_e64 v61, v60, v30, s0
	v_add_co_u32 v55, s0, v55, 1
	v_add_co_ci_u32_e64 v56, s0, 0, v56, s0
	s_delay_alu instid0(VALU_DEP_3) | instskip(SKIP_2) | instid1(VALU_DEP_2)
	v_dual_cndmask_b32 v60, v59, v33 :: v_dual_cndmask_b32 v59, v61, v32
	v_cmp_eq_u32_e32 vcc_lo, 0, v53
	s_waitcnt lgkmcnt(0)
	v_fma_f64 v[50:51], v[59:60], v[57:58], v[50:51]
	s_or_b32 s5, vcc_lo, s5
	s_delay_alu instid0(SALU_CYCLE_1)
	s_and_not1_b32 exec_lo, exec_lo, s5
	s_cbranch_execnz .LBB7_95
; %bb.96:
	s_set_inst_prefetch_distance 0x2
	s_or_b32 exec_lo, exec_lo, s5
.LBB7_97:
	s_delay_alu instid0(SALU_CYCLE_1)
	s_or_b32 exec_lo, exec_lo, s1
.LBB7_98:
	s_delay_alu instid0(SALU_CYCLE_1)
	s_or_b32 exec_lo, exec_lo, s4
	v_mov_b32_e32 v18, 0
	ds_load_b64 v[18:19], v18
	s_waitcnt lgkmcnt(0)
	v_mul_f64 v[18:19], v[50:51], v[18:19]
.LBB7_99:
	s_or_b32 exec_lo, exec_lo, s3
	s_delay_alu instid0(SALU_CYCLE_1)
	s_and_b32 vcc_lo, exec_lo, s2
	s_cbranch_vccz .LBB7_165
.LBB7_100:
	v_cmp_eq_u32_e64 s0, 0, v0
	s_waitcnt vmcnt(7)
	ds_store_b64 v52, v[4:5]
	s_waitcnt vmcnt(0) lgkmcnt(0)
	s_barrier
	buffer_gl0_inv
	s_and_saveexec_b32 s1, s0
	s_cbranch_execz .LBB7_106
; %bb.101:
	s_and_b32 vcc_lo, exec_lo, s8
	s_cbranch_vccz .LBB7_103
; %bb.102:
	v_cmp_eq_u32_e32 vcc_lo, 1, v0
	v_dual_cndmask_b32 v5, v3, v5 :: v_dual_cndmask_b32 v4, v2, v4
	v_cmp_eq_u32_e32 vcc_lo, 2, v0
	s_delay_alu instid0(VALU_DEP_2) | instskip(SKIP_1) | instid1(VALU_DEP_2)
	v_dual_cndmask_b32 v5, v5, v7 :: v_dual_cndmask_b32 v4, v4, v6
	v_cmp_eq_u32_e32 vcc_lo, 3, v0
	v_dual_cndmask_b32 v5, v5, v9 :: v_dual_cndmask_b32 v4, v4, v8
	v_cmp_eq_u32_e32 vcc_lo, 4, v0
	s_delay_alu instid0(VALU_DEP_2) | instskip(SKIP_4) | instid1(VALU_DEP_2)
	v_dual_cndmask_b32 v18, v5, v11 :: v_dual_cndmask_b32 v19, v4, v10
	v_cmp_eq_u32_e32 vcc_lo, 5, v0
	ds_load_b64 v[4:5], v52
	v_dual_cndmask_b32 v18, v18, v13 :: v_dual_cndmask_b32 v19, v19, v12
	v_cmp_eq_u32_e32 vcc_lo, 6, v0
	v_cndmask_b32_e32 v18, v18, v15, vcc_lo
	s_delay_alu instid0(VALU_DEP_3) | instskip(SKIP_1) | instid1(VALU_DEP_2)
	v_cndmask_b32_e32 v20, v19, v14, vcc_lo
	v_cmp_eq_u32_e32 vcc_lo, 7, v0
	v_dual_cndmask_b32 v19, v18, v17 :: v_dual_cndmask_b32 v18, v20, v16
	s_waitcnt lgkmcnt(0)
	s_delay_alu instid0(VALU_DEP_1)
	v_mul_f64 v[4:5], v[18:19], v[4:5]
	s_cbranch_execz .LBB7_104
	s_branch .LBB7_105
.LBB7_103:
                                        ; implicit-def: $vgpr4_vgpr5
.LBB7_104:
	ds_load_b64 v[4:5], v52
.LBB7_105:
	v_mov_b32_e32 v18, 0
	ds_load_b64 v[18:19], v18 offset:8
	s_waitcnt lgkmcnt(0)
	v_mul_f64 v[4:5], v[4:5], v[18:19]
.LBB7_106:
	s_or_b32 exec_lo, exec_lo, s1
	v_add_nc_u32_e32 v20, 1, v0
	v_cndmask_b32_e64 v22, 0, 1, s8
	s_mov_b32 s1, exec_lo
	ds_store_b64 v52, v[6:7]
	s_waitcnt lgkmcnt(0)
	s_barrier
	buffer_gl0_inv
	v_cmpx_gt_u32_e32 2, v0
	s_cbranch_execz .LBB7_114
; %bb.107:
	s_and_not1_b32 vcc_lo, exec_lo, s8
	s_cbranch_vccnz .LBB7_109
; %bb.108:
	v_cmp_eq_u32_e32 vcc_lo, 1, v0
	v_dual_cndmask_b32 v18, v3, v5 :: v_dual_cndmask_b32 v19, v2, v4
	v_cmp_eq_u32_e32 vcc_lo, 2, v0
	s_delay_alu instid0(VALU_DEP_2) | instskip(SKIP_1) | instid1(VALU_DEP_2)
	v_dual_cndmask_b32 v18, v18, v7 :: v_dual_cndmask_b32 v19, v19, v6
	v_cmp_eq_u32_e32 vcc_lo, 3, v0
	v_dual_cndmask_b32 v18, v18, v9 :: v_dual_cndmask_b32 v19, v19, v8
	v_cmp_eq_u32_e32 vcc_lo, 4, v0
	s_delay_alu instid0(VALU_DEP_2) | instskip(NEXT) | instid1(VALU_DEP_3)
	v_cndmask_b32_e32 v21, v18, v11, vcc_lo
	v_cndmask_b32_e32 v23, v19, v10, vcc_lo
	v_cmp_eq_u32_e32 vcc_lo, 5, v0
	ds_load_b64 v[18:19], v52
	v_cndmask_b32_e32 v21, v21, v13, vcc_lo
	v_cndmask_b32_e32 v23, v23, v12, vcc_lo
	v_cmp_eq_u32_e32 vcc_lo, 6, v0
	s_delay_alu instid0(VALU_DEP_3) | instskip(NEXT) | instid1(VALU_DEP_3)
	v_cndmask_b32_e32 v21, v21, v15, vcc_lo
	v_cndmask_b32_e32 v23, v23, v14, vcc_lo
	v_cmp_eq_u32_e32 vcc_lo, 7, v0
	s_delay_alu instid0(VALU_DEP_2) | instskip(SKIP_1) | instid1(VALU_DEP_1)
	v_dual_cndmask_b32 v24, v21, v17 :: v_dual_cndmask_b32 v23, v23, v16
	s_waitcnt lgkmcnt(0)
	v_mul_f64 v[18:19], v[23:24], v[18:19]
	s_cbranch_execz .LBB7_110
	s_branch .LBB7_111
.LBB7_109:
                                        ; implicit-def: $vgpr18_vgpr19
.LBB7_110:
	ds_load_b64 v[18:19], v52
.LBB7_111:
	s_and_saveexec_b32 s2, s0
	s_cbranch_execz .LBB7_113
; %bb.112:
	v_cmp_eq_u32_e32 vcc_lo, 1, v20
	v_cndmask_b32_e32 v21, v3, v5, vcc_lo
	v_cndmask_b32_e32 v23, v2, v4, vcc_lo
	v_cmp_eq_u32_e32 vcc_lo, 2, v20
	s_delay_alu instid0(VALU_DEP_2) | instskip(SKIP_1) | instid1(VALU_DEP_2)
	v_dual_cndmask_b32 v7, v21, v7 :: v_dual_cndmask_b32 v6, v23, v6
	v_cmp_eq_u32_e32 vcc_lo, 3, v20
	v_dual_cndmask_b32 v7, v7, v9 :: v_dual_cndmask_b32 v6, v6, v8
	v_cmp_eq_u32_e32 vcc_lo, 4, v20
	s_delay_alu instid0(VALU_DEP_2) | instskip(NEXT) | instid1(VALU_DEP_3)
	v_cndmask_b32_e32 v21, v7, v11, vcc_lo
	v_cndmask_b32_e32 v23, v6, v10, vcc_lo
	v_cmp_eq_u32_e32 vcc_lo, 5, v20
	ds_load_b64 v[6:7], v52 offset:8
	v_cndmask_b32_e32 v21, v21, v13, vcc_lo
	v_cndmask_b32_e32 v23, v23, v12, vcc_lo
	v_cmp_eq_u32_e32 vcc_lo, 6, v20
	s_delay_alu instid0(VALU_DEP_3) | instskip(NEXT) | instid1(VALU_DEP_3)
	v_cndmask_b32_e32 v21, v21, v15, vcc_lo
	v_cndmask_b32_e32 v23, v23, v14, vcc_lo
	v_cmp_eq_u32_e32 vcc_lo, 7, v20
	s_delay_alu instid0(VALU_DEP_2) | instskip(SKIP_1) | instid1(VALU_DEP_1)
	v_dual_cndmask_b32 v24, v21, v17 :: v_dual_cndmask_b32 v23, v23, v16
	s_waitcnt lgkmcnt(0)
	v_fma_f64 v[18:19], v[23:24], v[6:7], v[18:19]
.LBB7_113:
	s_or_b32 exec_lo, exec_lo, s2
	v_mov_b32_e32 v6, 0
	ds_load_b64 v[6:7], v6 offset:16
	s_waitcnt lgkmcnt(0)
	v_mul_f64 v[6:7], v[18:19], v[6:7]
.LBB7_114:
	s_or_b32 exec_lo, exec_lo, s1
	s_delay_alu instid0(SALU_CYCLE_1)
	s_mov_b32 s1, exec_lo
	ds_store_b64 v52, v[8:9]
	s_waitcnt lgkmcnt(0)
	s_barrier
	buffer_gl0_inv
	v_cmpx_gt_u32_e32 3, v0
	s_cbranch_execz .LBB7_124
; %bb.115:
	v_cmp_ne_u32_e32 vcc_lo, 1, v22
	s_cbranch_vccnz .LBB7_117
; %bb.116:
	v_cmp_eq_u32_e32 vcc_lo, 1, v0
	v_dual_cndmask_b32 v18, v3, v5 :: v_dual_cndmask_b32 v19, v2, v4
	v_cmp_eq_u32_e32 vcc_lo, 2, v0
	s_delay_alu instid0(VALU_DEP_2) | instskip(SKIP_1) | instid1(VALU_DEP_2)
	v_dual_cndmask_b32 v18, v18, v7 :: v_dual_cndmask_b32 v19, v19, v6
	v_cmp_eq_u32_e32 vcc_lo, 3, v0
	v_dual_cndmask_b32 v18, v18, v9 :: v_dual_cndmask_b32 v19, v19, v8
	v_cmp_eq_u32_e32 vcc_lo, 4, v0
	s_delay_alu instid0(VALU_DEP_2) | instskip(NEXT) | instid1(VALU_DEP_3)
	v_cndmask_b32_e32 v21, v18, v11, vcc_lo
	v_cndmask_b32_e32 v23, v19, v10, vcc_lo
	v_cmp_eq_u32_e32 vcc_lo, 5, v0
	ds_load_b64 v[18:19], v52
	v_cndmask_b32_e32 v21, v21, v13, vcc_lo
	v_cndmask_b32_e32 v23, v23, v12, vcc_lo
	v_cmp_eq_u32_e32 vcc_lo, 6, v0
	s_delay_alu instid0(VALU_DEP_3) | instskip(NEXT) | instid1(VALU_DEP_3)
	v_cndmask_b32_e32 v21, v21, v15, vcc_lo
	v_cndmask_b32_e32 v23, v23, v14, vcc_lo
	v_cmp_eq_u32_e32 vcc_lo, 7, v0
	s_delay_alu instid0(VALU_DEP_2) | instskip(SKIP_1) | instid1(VALU_DEP_1)
	v_dual_cndmask_b32 v24, v21, v17 :: v_dual_cndmask_b32 v23, v23, v16
	s_waitcnt lgkmcnt(0)
	v_mul_f64 v[18:19], v[23:24], v[18:19]
	s_cbranch_execz .LBB7_118
	s_branch .LBB7_119
.LBB7_117:
                                        ; implicit-def: $vgpr18_vgpr19
.LBB7_118:
	ds_load_b64 v[18:19], v52
.LBB7_119:
	s_mov_b32 s2, exec_lo
	v_cmpx_ne_u32_e32 2, v0
	s_cbranch_execz .LBB7_123
; %bb.120:
	v_cmp_eq_u32_e32 vcc_lo, 1, v20
	v_cndmask_b32_e32 v21, v3, v5, vcc_lo
	v_cndmask_b32_e32 v23, v2, v4, vcc_lo
	v_cmp_eq_u32_e32 vcc_lo, 2, v20
	s_delay_alu instid0(VALU_DEP_2) | instskip(NEXT) | instid1(VALU_DEP_4)
	v_cndmask_b32_e32 v23, v23, v6, vcc_lo
	v_cndmask_b32_e32 v21, v21, v7, vcc_lo
	v_cmp_eq_u32_e32 vcc_lo, 3, v20
	s_delay_alu instid0(VALU_DEP_2) | instskip(SKIP_1) | instid1(VALU_DEP_2)
	v_dual_cndmask_b32 v8, v23, v8 :: v_dual_cndmask_b32 v9, v21, v9
	v_cmp_eq_u32_e32 vcc_lo, 4, v20
	v_cndmask_b32_e32 v21, v9, v11, vcc_lo
	s_delay_alu instid0(VALU_DEP_3)
	v_cndmask_b32_e32 v23, v8, v10, vcc_lo
	v_cmp_eq_u32_e32 vcc_lo, 5, v20
	ds_load_b64 v[8:9], v52 offset:8
	v_cndmask_b32_e32 v21, v21, v13, vcc_lo
	v_cndmask_b32_e32 v23, v23, v12, vcc_lo
	v_cmp_eq_u32_e32 vcc_lo, 6, v20
	s_delay_alu instid0(VALU_DEP_3) | instskip(NEXT) | instid1(VALU_DEP_3)
	v_cndmask_b32_e32 v21, v21, v15, vcc_lo
	v_cndmask_b32_e32 v23, v23, v14, vcc_lo
	v_cmp_eq_u32_e32 vcc_lo, 7, v20
	s_delay_alu instid0(VALU_DEP_2) | instskip(SKIP_1) | instid1(VALU_DEP_1)
	v_dual_cndmask_b32 v20, v23, v16 :: v_dual_cndmask_b32 v21, v21, v17
	s_waitcnt lgkmcnt(0)
	v_fma_f64 v[18:19], v[20:21], v[8:9], v[18:19]
	s_and_saveexec_b32 s3, s0
	s_cbranch_execz .LBB7_122
; %bb.121:
	v_mov_b32_e32 v8, 0
	ds_load_b64 v[8:9], v8 offset:80
	s_waitcnt lgkmcnt(0)
	v_fma_f64 v[18:19], v[6:7], v[8:9], v[18:19]
.LBB7_122:
	s_or_b32 exec_lo, exec_lo, s3
.LBB7_123:
	s_delay_alu instid0(SALU_CYCLE_1)
	s_or_b32 exec_lo, exec_lo, s2
	v_mov_b32_e32 v8, 0
	ds_load_b64 v[8:9], v8 offset:24
	s_waitcnt lgkmcnt(0)
	v_mul_f64 v[8:9], v[18:19], v[8:9]
.LBB7_124:
	s_or_b32 exec_lo, exec_lo, s1
	s_delay_alu instid0(SALU_CYCLE_1)
	s_mov_b32 s1, exec_lo
	ds_store_b64 v52, v[10:11]
	s_waitcnt lgkmcnt(0)
	s_barrier
	buffer_gl0_inv
	v_cmpx_gt_u32_e32 4, v0
	s_cbranch_execz .LBB7_134
; %bb.125:
	v_cmp_ne_u32_e32 vcc_lo, 1, v22
	s_cbranch_vccnz .LBB7_127
; %bb.126:
	v_cmp_eq_u32_e32 vcc_lo, 1, v0
	v_dual_cndmask_b32 v18, v3, v5 :: v_dual_cndmask_b32 v19, v2, v4
	v_cmp_eq_u32_e32 vcc_lo, 2, v0
	s_delay_alu instid0(VALU_DEP_2) | instskip(SKIP_1) | instid1(VALU_DEP_2)
	v_dual_cndmask_b32 v18, v18, v7 :: v_dual_cndmask_b32 v19, v19, v6
	v_cmp_eq_u32_e32 vcc_lo, 3, v0
	v_dual_cndmask_b32 v18, v18, v9 :: v_dual_cndmask_b32 v19, v19, v8
	v_cmp_eq_u32_e32 vcc_lo, 4, v0
	s_delay_alu instid0(VALU_DEP_2) | instskip(SKIP_4) | instid1(VALU_DEP_2)
	v_dual_cndmask_b32 v20, v18, v11 :: v_dual_cndmask_b32 v21, v19, v10
	v_cmp_eq_u32_e32 vcc_lo, 5, v0
	ds_load_b64 v[18:19], v52
	v_dual_cndmask_b32 v20, v20, v13 :: v_dual_cndmask_b32 v21, v21, v12
	v_cmp_eq_u32_e32 vcc_lo, 6, v0
	v_dual_cndmask_b32 v20, v20, v15 :: v_dual_cndmask_b32 v23, v21, v14
	v_cmp_eq_u32_e32 vcc_lo, 7, v0
	s_delay_alu instid0(VALU_DEP_2) | instskip(SKIP_1) | instid1(VALU_DEP_1)
	v_dual_cndmask_b32 v21, v20, v17 :: v_dual_cndmask_b32 v20, v23, v16
	s_waitcnt lgkmcnt(0)
	v_mul_f64 v[18:19], v[20:21], v[18:19]
	s_cbranch_execz .LBB7_128
	s_branch .LBB7_129
.LBB7_127:
                                        ; implicit-def: $vgpr18_vgpr19
.LBB7_128:
	ds_load_b64 v[18:19], v52
.LBB7_129:
	s_mov_b32 s2, exec_lo
	v_cmpx_ne_u32_e32 3, v0
	s_cbranch_execz .LBB7_133
; %bb.130:
	v_lshl_add_u32 v23, v0, 3, 0x48
	v_dual_mov_b32 v21, v1 :: v_dual_mov_b32 v20, v0
	s_mov_b32 s3, 0
	s_set_inst_prefetch_distance 0x1
	.p2align	6
.LBB7_131:                              ; =>This Inner Loop Header: Depth=1
	s_delay_alu instid0(VALU_DEP_1) | instskip(NEXT) | instid1(VALU_DEP_2)
	v_add_co_u32 v20, vcc_lo, v20, 1
	v_add_co_ci_u32_e32 v21, vcc_lo, 0, v21, vcc_lo
	s_delay_alu instid0(VALU_DEP_2) | instskip(SKIP_3) | instid1(VALU_DEP_2)
	v_cmp_eq_u32_e32 vcc_lo, 1, v20
	v_cmp_eq_u32_e64 s0, 2, v20
	v_dual_cndmask_b32 v24, v3, v5 :: v_dual_cndmask_b32 v25, v2, v4
	v_cmp_eq_u32_e32 vcc_lo, 3, v20
	v_cndmask_b32_e64 v24, v24, v7, s0
	s_delay_alu instid0(VALU_DEP_3) | instskip(SKIP_1) | instid1(VALU_DEP_2)
	v_cndmask_b32_e64 v25, v25, v6, s0
	v_cmp_eq_u32_e64 s0, 4, v20
	v_dual_cndmask_b32 v26, v24, v9 :: v_dual_cndmask_b32 v27, v25, v8
	ds_load_b64 v[24:25], v23
	v_cmp_eq_u32_e32 vcc_lo, 5, v20
	v_add_nc_u32_e32 v23, 8, v23
	v_cndmask_b32_e64 v26, v26, v11, s0
	v_cndmask_b32_e64 v27, v27, v10, s0
	v_cmp_eq_u32_e64 s0, 6, v20
	s_delay_alu instid0(VALU_DEP_2) | instskip(SKIP_1) | instid1(VALU_DEP_2)
	v_dual_cndmask_b32 v26, v26, v13 :: v_dual_cndmask_b32 v27, v27, v12
	v_cmp_eq_u32_e32 vcc_lo, 7, v20
	v_cndmask_b32_e64 v26, v26, v15, s0
	s_delay_alu instid0(VALU_DEP_3) | instskip(NEXT) | instid1(VALU_DEP_1)
	v_cndmask_b32_e64 v28, v27, v14, s0
	v_dual_cndmask_b32 v27, v26, v17 :: v_dual_cndmask_b32 v26, v28, v16
	v_cmp_lt_u32_e32 vcc_lo, 2, v20
	s_waitcnt lgkmcnt(0)
	s_delay_alu instid0(VALU_DEP_2) | instskip(SKIP_1) | instid1(SALU_CYCLE_1)
	v_fma_f64 v[18:19], v[26:27], v[24:25], v[18:19]
	s_or_b32 s3, vcc_lo, s3
	s_and_not1_b32 exec_lo, exec_lo, s3
	s_cbranch_execnz .LBB7_131
; %bb.132:
	s_set_inst_prefetch_distance 0x2
	s_or_b32 exec_lo, exec_lo, s3
.LBB7_133:
	s_delay_alu instid0(SALU_CYCLE_1)
	s_or_b32 exec_lo, exec_lo, s2
	v_mov_b32_e32 v10, 0
	ds_load_b64 v[10:11], v10 offset:32
	s_waitcnt lgkmcnt(0)
	v_mul_f64 v[10:11], v[18:19], v[10:11]
.LBB7_134:
	s_or_b32 exec_lo, exec_lo, s1
	s_delay_alu instid0(SALU_CYCLE_1)
	s_mov_b32 s1, exec_lo
	ds_store_b64 v52, v[12:13]
	s_waitcnt lgkmcnt(0)
	s_barrier
	buffer_gl0_inv
	v_cmpx_gt_u32_e32 5, v0
	s_cbranch_execz .LBB7_144
; %bb.135:
	v_cmp_ne_u32_e32 vcc_lo, 1, v22
	s_cbranch_vccnz .LBB7_137
; %bb.136:
	v_cmp_eq_u32_e32 vcc_lo, 1, v0
	v_dual_cndmask_b32 v18, v3, v5 :: v_dual_cndmask_b32 v19, v2, v4
	v_cmp_eq_u32_e32 vcc_lo, 2, v0
	s_delay_alu instid0(VALU_DEP_2) | instskip(SKIP_1) | instid1(VALU_DEP_2)
	v_dual_cndmask_b32 v18, v18, v7 :: v_dual_cndmask_b32 v19, v19, v6
	v_cmp_eq_u32_e32 vcc_lo, 3, v0
	v_dual_cndmask_b32 v18, v18, v9 :: v_dual_cndmask_b32 v19, v19, v8
	v_cmp_eq_u32_e32 vcc_lo, 4, v0
	s_delay_alu instid0(VALU_DEP_2) | instskip(SKIP_4) | instid1(VALU_DEP_2)
	v_dual_cndmask_b32 v20, v18, v11 :: v_dual_cndmask_b32 v21, v19, v10
	v_cmp_eq_u32_e32 vcc_lo, 5, v0
	ds_load_b64 v[18:19], v52
	v_dual_cndmask_b32 v20, v20, v13 :: v_dual_cndmask_b32 v21, v21, v12
	v_cmp_eq_u32_e32 vcc_lo, 6, v0
	v_dual_cndmask_b32 v20, v20, v15 :: v_dual_cndmask_b32 v23, v21, v14
	v_cmp_eq_u32_e32 vcc_lo, 7, v0
	s_delay_alu instid0(VALU_DEP_2) | instskip(SKIP_1) | instid1(VALU_DEP_1)
	v_dual_cndmask_b32 v21, v20, v17 :: v_dual_cndmask_b32 v20, v23, v16
	s_waitcnt lgkmcnt(0)
	v_mul_f64 v[18:19], v[20:21], v[18:19]
	s_cbranch_execz .LBB7_138
	s_branch .LBB7_139
.LBB7_137:
                                        ; implicit-def: $vgpr18_vgpr19
.LBB7_138:
	ds_load_b64 v[18:19], v52
.LBB7_139:
	s_mov_b32 s2, exec_lo
	v_cmpx_ne_u32_e32 4, v0
	s_cbranch_execz .LBB7_143
; %bb.140:
	v_lshl_add_u32 v23, v0, 3, 0x48
	v_dual_mov_b32 v21, v1 :: v_dual_mov_b32 v20, v0
	s_mov_b32 s3, 0
	s_set_inst_prefetch_distance 0x1
	.p2align	6
.LBB7_141:                              ; =>This Inner Loop Header: Depth=1
	s_delay_alu instid0(VALU_DEP_1) | instskip(NEXT) | instid1(VALU_DEP_2)
	v_add_co_u32 v20, vcc_lo, v20, 1
	v_add_co_ci_u32_e32 v21, vcc_lo, 0, v21, vcc_lo
	s_delay_alu instid0(VALU_DEP_2) | instskip(SKIP_3) | instid1(VALU_DEP_2)
	v_cmp_eq_u32_e32 vcc_lo, 1, v20
	v_cmp_eq_u32_e64 s0, 2, v20
	v_dual_cndmask_b32 v24, v3, v5 :: v_dual_cndmask_b32 v25, v2, v4
	v_cmp_eq_u32_e32 vcc_lo, 3, v20
	v_cndmask_b32_e64 v24, v24, v7, s0
	s_delay_alu instid0(VALU_DEP_3) | instskip(SKIP_1) | instid1(VALU_DEP_2)
	v_cndmask_b32_e64 v25, v25, v6, s0
	v_cmp_eq_u32_e64 s0, 4, v20
	v_dual_cndmask_b32 v26, v24, v9 :: v_dual_cndmask_b32 v27, v25, v8
	ds_load_b64 v[24:25], v23
	v_cmp_eq_u32_e32 vcc_lo, 5, v20
	v_add_nc_u32_e32 v23, 8, v23
	v_cndmask_b32_e64 v26, v26, v11, s0
	v_cndmask_b32_e64 v27, v27, v10, s0
	v_cmp_eq_u32_e64 s0, 6, v20
	s_delay_alu instid0(VALU_DEP_2) | instskip(SKIP_1) | instid1(VALU_DEP_2)
	v_dual_cndmask_b32 v26, v26, v13 :: v_dual_cndmask_b32 v27, v27, v12
	v_cmp_eq_u32_e32 vcc_lo, 7, v20
	v_cndmask_b32_e64 v26, v26, v15, s0
	s_delay_alu instid0(VALU_DEP_3) | instskip(NEXT) | instid1(VALU_DEP_1)
	v_cndmask_b32_e64 v28, v27, v14, s0
	v_dual_cndmask_b32 v27, v26, v17 :: v_dual_cndmask_b32 v26, v28, v16
	v_cmp_lt_u32_e32 vcc_lo, 3, v20
	s_waitcnt lgkmcnt(0)
	s_delay_alu instid0(VALU_DEP_2) | instskip(SKIP_1) | instid1(SALU_CYCLE_1)
	v_fma_f64 v[18:19], v[26:27], v[24:25], v[18:19]
	s_or_b32 s3, vcc_lo, s3
	s_and_not1_b32 exec_lo, exec_lo, s3
	s_cbranch_execnz .LBB7_141
; %bb.142:
	s_set_inst_prefetch_distance 0x2
	s_or_b32 exec_lo, exec_lo, s3
.LBB7_143:
	s_delay_alu instid0(SALU_CYCLE_1)
	s_or_b32 exec_lo, exec_lo, s2
	v_mov_b32_e32 v12, 0
	ds_load_b64 v[12:13], v12 offset:40
	s_waitcnt lgkmcnt(0)
	v_mul_f64 v[12:13], v[18:19], v[12:13]
.LBB7_144:
	s_or_b32 exec_lo, exec_lo, s1
	v_cmp_gt_u32_e64 s0, 6, v0
	ds_store_b64 v52, v[14:15]
	s_waitcnt lgkmcnt(0)
	s_barrier
	buffer_gl0_inv
	s_and_saveexec_b32 s2, s0
	s_cbranch_execz .LBB7_154
; %bb.145:
	v_cmp_ne_u32_e32 vcc_lo, 1, v22
	s_cbranch_vccnz .LBB7_147
; %bb.146:
	v_cmp_eq_u32_e32 vcc_lo, 1, v0
	v_dual_cndmask_b32 v18, v3, v5 :: v_dual_cndmask_b32 v19, v2, v4
	v_cmp_eq_u32_e32 vcc_lo, 2, v0
	s_delay_alu instid0(VALU_DEP_2) | instskip(SKIP_1) | instid1(VALU_DEP_2)
	v_dual_cndmask_b32 v18, v18, v7 :: v_dual_cndmask_b32 v19, v19, v6
	v_cmp_eq_u32_e32 vcc_lo, 3, v0
	v_dual_cndmask_b32 v18, v18, v9 :: v_dual_cndmask_b32 v19, v19, v8
	v_cmp_eq_u32_e32 vcc_lo, 4, v0
	s_delay_alu instid0(VALU_DEP_2) | instskip(SKIP_4) | instid1(VALU_DEP_2)
	v_dual_cndmask_b32 v20, v18, v11 :: v_dual_cndmask_b32 v21, v19, v10
	v_cmp_eq_u32_e32 vcc_lo, 5, v0
	ds_load_b64 v[18:19], v52
	v_dual_cndmask_b32 v20, v20, v13 :: v_dual_cndmask_b32 v21, v21, v12
	v_cmp_eq_u32_e32 vcc_lo, 6, v0
	v_dual_cndmask_b32 v20, v20, v15 :: v_dual_cndmask_b32 v23, v21, v14
	v_cmp_eq_u32_e32 vcc_lo, 7, v0
	s_delay_alu instid0(VALU_DEP_2) | instskip(SKIP_1) | instid1(VALU_DEP_1)
	v_dual_cndmask_b32 v21, v20, v17 :: v_dual_cndmask_b32 v20, v23, v16
	s_waitcnt lgkmcnt(0)
	v_mul_f64 v[18:19], v[20:21], v[18:19]
	s_cbranch_execz .LBB7_148
	s_branch .LBB7_149
.LBB7_147:
                                        ; implicit-def: $vgpr18_vgpr19
.LBB7_148:
	ds_load_b64 v[18:19], v52
.LBB7_149:
	s_mov_b32 s3, exec_lo
	v_cmpx_ne_u32_e32 5, v0
	s_cbranch_execz .LBB7_153
; %bb.150:
	v_lshl_add_u32 v23, v0, 3, 0x48
	v_dual_mov_b32 v21, v1 :: v_dual_mov_b32 v20, v0
	s_mov_b32 s4, 0
	s_set_inst_prefetch_distance 0x1
	.p2align	6
.LBB7_151:                              ; =>This Inner Loop Header: Depth=1
	s_delay_alu instid0(VALU_DEP_1) | instskip(NEXT) | instid1(VALU_DEP_2)
	v_add_co_u32 v20, vcc_lo, v20, 1
	v_add_co_ci_u32_e32 v21, vcc_lo, 0, v21, vcc_lo
	s_delay_alu instid0(VALU_DEP_2) | instskip(SKIP_3) | instid1(VALU_DEP_2)
	v_cmp_eq_u32_e32 vcc_lo, 1, v20
	v_cmp_eq_u32_e64 s1, 2, v20
	v_dual_cndmask_b32 v24, v3, v5 :: v_dual_cndmask_b32 v25, v2, v4
	v_cmp_eq_u32_e32 vcc_lo, 3, v20
	v_cndmask_b32_e64 v24, v24, v7, s1
	s_delay_alu instid0(VALU_DEP_3) | instskip(SKIP_1) | instid1(VALU_DEP_2)
	v_cndmask_b32_e64 v25, v25, v6, s1
	v_cmp_eq_u32_e64 s1, 4, v20
	v_dual_cndmask_b32 v26, v24, v9 :: v_dual_cndmask_b32 v27, v25, v8
	ds_load_b64 v[24:25], v23
	v_cmp_eq_u32_e32 vcc_lo, 5, v20
	v_add_nc_u32_e32 v23, 8, v23
	v_cndmask_b32_e64 v26, v26, v11, s1
	v_cndmask_b32_e64 v27, v27, v10, s1
	v_cmp_eq_u32_e64 s1, 6, v20
	s_delay_alu instid0(VALU_DEP_2) | instskip(SKIP_1) | instid1(VALU_DEP_2)
	v_dual_cndmask_b32 v26, v26, v13 :: v_dual_cndmask_b32 v27, v27, v12
	v_cmp_eq_u32_e32 vcc_lo, 7, v20
	v_cndmask_b32_e64 v26, v26, v15, s1
	s_delay_alu instid0(VALU_DEP_3) | instskip(NEXT) | instid1(VALU_DEP_1)
	v_cndmask_b32_e64 v28, v27, v14, s1
	v_dual_cndmask_b32 v27, v26, v17 :: v_dual_cndmask_b32 v26, v28, v16
	v_cmp_lt_u32_e32 vcc_lo, 4, v20
	s_waitcnt lgkmcnt(0)
	s_delay_alu instid0(VALU_DEP_2) | instskip(SKIP_1) | instid1(SALU_CYCLE_1)
	v_fma_f64 v[18:19], v[26:27], v[24:25], v[18:19]
	s_or_b32 s4, vcc_lo, s4
	s_and_not1_b32 exec_lo, exec_lo, s4
	s_cbranch_execnz .LBB7_151
; %bb.152:
	s_set_inst_prefetch_distance 0x2
	s_or_b32 exec_lo, exec_lo, s4
.LBB7_153:
	s_delay_alu instid0(SALU_CYCLE_1)
	s_or_b32 exec_lo, exec_lo, s3
	v_mov_b32_e32 v14, 0
	ds_load_b64 v[14:15], v14 offset:48
	s_waitcnt lgkmcnt(0)
	v_mul_f64 v[14:15], v[18:19], v[14:15]
.LBB7_154:
	s_or_b32 exec_lo, exec_lo, s2
	s_delay_alu instid0(SALU_CYCLE_1)
	s_mov_b32 s1, exec_lo
	ds_store_b64 v52, v[16:17]
	s_waitcnt lgkmcnt(0)
	s_barrier
	buffer_gl0_inv
	v_cmpx_ne_u32_e32 7, v0
	s_cbranch_execz .LBB7_164
; %bb.155:
	v_cmp_ne_u32_e32 vcc_lo, 1, v22
	s_cbranch_vccnz .LBB7_157
; %bb.156:
	v_cmp_eq_u32_e32 vcc_lo, 1, v0
	v_dual_cndmask_b32 v18, v3, v5 :: v_dual_cndmask_b32 v19, v2, v4
	v_cmp_eq_u32_e32 vcc_lo, 2, v0
	s_delay_alu instid0(VALU_DEP_2) | instskip(SKIP_1) | instid1(VALU_DEP_2)
	v_dual_cndmask_b32 v18, v18, v7 :: v_dual_cndmask_b32 v19, v19, v6
	v_cmp_eq_u32_e32 vcc_lo, 3, v0
	v_dual_cndmask_b32 v18, v18, v9 :: v_dual_cndmask_b32 v19, v19, v8
	v_cmp_eq_u32_e32 vcc_lo, 4, v0
	s_delay_alu instid0(VALU_DEP_2) | instskip(SKIP_4) | instid1(VALU_DEP_2)
	v_dual_cndmask_b32 v20, v18, v11 :: v_dual_cndmask_b32 v21, v19, v10
	v_cmp_eq_u32_e32 vcc_lo, 5, v0
	ds_load_b64 v[18:19], v52
	v_dual_cndmask_b32 v20, v20, v13 :: v_dual_cndmask_b32 v21, v21, v12
	v_cmp_eq_u32_e32 vcc_lo, 6, v0
	v_cndmask_b32_e32 v20, v20, v15, vcc_lo
	s_delay_alu instid0(VALU_DEP_3) | instskip(SKIP_1) | instid1(VALU_DEP_2)
	v_cndmask_b32_e32 v22, v21, v14, vcc_lo
	v_cmp_eq_u32_e32 vcc_lo, 7, v0
	v_dual_cndmask_b32 v21, v20, v17 :: v_dual_cndmask_b32 v20, v22, v16
	s_waitcnt lgkmcnt(0)
	s_delay_alu instid0(VALU_DEP_1)
	v_mul_f64 v[18:19], v[20:21], v[18:19]
	s_cbranch_execz .LBB7_158
	s_branch .LBB7_159
.LBB7_157:
                                        ; implicit-def: $vgpr18_vgpr19
.LBB7_158:
	ds_load_b64 v[18:19], v52
.LBB7_159:
	s_and_saveexec_b32 s2, s0
	s_cbranch_execz .LBB7_163
; %bb.160:
	v_lshl_add_u32 v20, v0, 3, 0x48
	s_mov_b32 s3, 0
	s_set_inst_prefetch_distance 0x1
	.p2align	6
.LBB7_161:                              ; =>This Inner Loop Header: Depth=1
	v_add_co_u32 v0, vcc_lo, v0, 1
	v_add_co_ci_u32_e32 v1, vcc_lo, 0, v1, vcc_lo
	s_delay_alu instid0(VALU_DEP_2) | instskip(SKIP_3) | instid1(VALU_DEP_2)
	v_cmp_eq_u32_e32 vcc_lo, 1, v0
	v_cmp_eq_u32_e64 s0, 2, v0
	v_dual_cndmask_b32 v21, v3, v5 :: v_dual_cndmask_b32 v22, v2, v4
	v_cmp_eq_u32_e32 vcc_lo, 3, v0
	v_cndmask_b32_e64 v21, v21, v7, s0
	s_delay_alu instid0(VALU_DEP_3) | instskip(SKIP_1) | instid1(VALU_DEP_2)
	v_cndmask_b32_e64 v22, v22, v6, s0
	v_cmp_eq_u32_e64 s0, 4, v0
	v_dual_cndmask_b32 v23, v21, v9 :: v_dual_cndmask_b32 v24, v22, v8
	ds_load_b64 v[21:22], v20
	v_cmp_eq_u32_e32 vcc_lo, 5, v0
	v_add_nc_u32_e32 v20, 8, v20
	v_cndmask_b32_e64 v23, v23, v11, s0
	v_cndmask_b32_e64 v24, v24, v10, s0
	v_cmp_eq_u32_e64 s0, 6, v0
	s_delay_alu instid0(VALU_DEP_2) | instskip(SKIP_1) | instid1(VALU_DEP_2)
	v_dual_cndmask_b32 v23, v23, v13 :: v_dual_cndmask_b32 v24, v24, v12
	v_cmp_eq_u32_e32 vcc_lo, 7, v0
	v_cndmask_b32_e64 v23, v23, v15, s0
	s_delay_alu instid0(VALU_DEP_3) | instskip(NEXT) | instid1(VALU_DEP_1)
	v_cndmask_b32_e64 v25, v24, v14, s0
	v_dual_cndmask_b32 v24, v23, v17 :: v_dual_cndmask_b32 v23, v25, v16
	v_cmp_lt_u32_e32 vcc_lo, 5, v0
	s_waitcnt lgkmcnt(0)
	s_delay_alu instid0(VALU_DEP_2) | instskip(SKIP_1) | instid1(SALU_CYCLE_1)
	v_fma_f64 v[18:19], v[23:24], v[21:22], v[18:19]
	s_or_b32 s3, vcc_lo, s3
	s_and_not1_b32 exec_lo, exec_lo, s3
	s_cbranch_execnz .LBB7_161
; %bb.162:
	s_set_inst_prefetch_distance 0x2
	s_or_b32 exec_lo, exec_lo, s3
.LBB7_163:
	s_delay_alu instid0(SALU_CYCLE_1)
	s_or_b32 exec_lo, exec_lo, s2
	v_mov_b32_e32 v0, 0
	ds_load_b64 v[0:1], v0 offset:56
	s_waitcnt lgkmcnt(0)
	v_mul_f64 v[16:17], v[18:19], v[0:1]
.LBB7_164:
	s_or_b32 exec_lo, exec_lo, s1
	s_delay_alu instid0(VALU_DEP_1)
	v_dual_mov_b32 v33, v17 :: v_dual_mov_b32 v32, v16
	v_dual_mov_b32 v31, v15 :: v_dual_mov_b32 v30, v14
	;; [unrolled: 1-line block ×8, first 2 shown]
.LBB7_165:
	s_clause 0x7
	global_store_b64 v[34:35], v[18:19], off
	global_store_b64 v[38:39], v[20:21], off
	;; [unrolled: 1-line block ×8, first 2 shown]
.LBB7_166:
	s_nop 0
	s_sendmsg sendmsg(MSG_DEALLOC_VGPRS)
	s_endpgm
	.section	.rodata,"a",@progbits
	.p2align	6, 0x0
	.amdhsa_kernel _ZN9rocsolver6v33100L18trti2_kernel_smallILi8EdPdEEv13rocblas_fill_17rocblas_diagonal_T1_iil
		.amdhsa_group_segment_fixed_size 128
		.amdhsa_private_segment_fixed_size 0
		.amdhsa_kernarg_size 32
		.amdhsa_user_sgpr_count 15
		.amdhsa_user_sgpr_dispatch_ptr 0
		.amdhsa_user_sgpr_queue_ptr 0
		.amdhsa_user_sgpr_kernarg_segment_ptr 1
		.amdhsa_user_sgpr_dispatch_id 0
		.amdhsa_user_sgpr_private_segment_size 0
		.amdhsa_wavefront_size32 1
		.amdhsa_uses_dynamic_stack 0
		.amdhsa_enable_private_segment 0
		.amdhsa_system_sgpr_workgroup_id_x 1
		.amdhsa_system_sgpr_workgroup_id_y 0
		.amdhsa_system_sgpr_workgroup_id_z 0
		.amdhsa_system_sgpr_workgroup_info 0
		.amdhsa_system_vgpr_workitem_id 0
		.amdhsa_next_free_vgpr 66
		.amdhsa_next_free_sgpr 24
		.amdhsa_reserve_vcc 1
		.amdhsa_float_round_mode_32 0
		.amdhsa_float_round_mode_16_64 0
		.amdhsa_float_denorm_mode_32 3
		.amdhsa_float_denorm_mode_16_64 3
		.amdhsa_dx10_clamp 1
		.amdhsa_ieee_mode 1
		.amdhsa_fp16_overflow 0
		.amdhsa_workgroup_processor_mode 1
		.amdhsa_memory_ordered 1
		.amdhsa_forward_progress 0
		.amdhsa_shared_vgpr_count 0
		.amdhsa_exception_fp_ieee_invalid_op 0
		.amdhsa_exception_fp_denorm_src 0
		.amdhsa_exception_fp_ieee_div_zero 0
		.amdhsa_exception_fp_ieee_overflow 0
		.amdhsa_exception_fp_ieee_underflow 0
		.amdhsa_exception_fp_ieee_inexact 0
		.amdhsa_exception_int_div_zero 0
	.end_amdhsa_kernel
	.section	.text._ZN9rocsolver6v33100L18trti2_kernel_smallILi8EdPdEEv13rocblas_fill_17rocblas_diagonal_T1_iil,"axG",@progbits,_ZN9rocsolver6v33100L18trti2_kernel_smallILi8EdPdEEv13rocblas_fill_17rocblas_diagonal_T1_iil,comdat
.Lfunc_end7:
	.size	_ZN9rocsolver6v33100L18trti2_kernel_smallILi8EdPdEEv13rocblas_fill_17rocblas_diagonal_T1_iil, .Lfunc_end7-_ZN9rocsolver6v33100L18trti2_kernel_smallILi8EdPdEEv13rocblas_fill_17rocblas_diagonal_T1_iil
                                        ; -- End function
	.section	.AMDGPU.csdata,"",@progbits
; Kernel info:
; codeLenInByte = 8772
; NumSgprs: 26
; NumVgprs: 66
; ScratchSize: 0
; MemoryBound: 0
; FloatMode: 240
; IeeeMode: 1
; LDSByteSize: 128 bytes/workgroup (compile time only)
; SGPRBlocks: 3
; VGPRBlocks: 8
; NumSGPRsForWavesPerEU: 26
; NumVGPRsForWavesPerEU: 66
; Occupancy: 16
; WaveLimiterHint : 0
; COMPUTE_PGM_RSRC2:SCRATCH_EN: 0
; COMPUTE_PGM_RSRC2:USER_SGPR: 15
; COMPUTE_PGM_RSRC2:TRAP_HANDLER: 0
; COMPUTE_PGM_RSRC2:TGID_X_EN: 1
; COMPUTE_PGM_RSRC2:TGID_Y_EN: 0
; COMPUTE_PGM_RSRC2:TGID_Z_EN: 0
; COMPUTE_PGM_RSRC2:TIDIG_COMP_CNT: 0
	.section	.text._ZN9rocsolver6v33100L18trti2_kernel_smallILi9EdPdEEv13rocblas_fill_17rocblas_diagonal_T1_iil,"axG",@progbits,_ZN9rocsolver6v33100L18trti2_kernel_smallILi9EdPdEEv13rocblas_fill_17rocblas_diagonal_T1_iil,comdat
	.globl	_ZN9rocsolver6v33100L18trti2_kernel_smallILi9EdPdEEv13rocblas_fill_17rocblas_diagonal_T1_iil ; -- Begin function _ZN9rocsolver6v33100L18trti2_kernel_smallILi9EdPdEEv13rocblas_fill_17rocblas_diagonal_T1_iil
	.p2align	8
	.type	_ZN9rocsolver6v33100L18trti2_kernel_smallILi9EdPdEEv13rocblas_fill_17rocblas_diagonal_T1_iil,@function
_ZN9rocsolver6v33100L18trti2_kernel_smallILi9EdPdEEv13rocblas_fill_17rocblas_diagonal_T1_iil: ; @_ZN9rocsolver6v33100L18trti2_kernel_smallILi9EdPdEEv13rocblas_fill_17rocblas_diagonal_T1_iil
; %bb.0:
	s_mov_b32 s2, exec_lo
	v_cmpx_gt_u32_e32 9, v0
	s_cbranch_execz .LBB8_192
; %bb.1:
	s_load_b256 s[16:23], s[0:1], 0x0
	s_ashr_i32 s2, s15, 31
	v_lshlrev_b32_e32 v36, 3, v0
	v_mov_b32_e32 v34, 0
	v_mov_b32_e32 v35, 0xbff00000
	s_waitcnt lgkmcnt(0)
	s_mul_i32 s3, s15, s23
	s_mul_hi_u32 s4, s15, s22
	s_mul_i32 s5, s2, s22
	s_add_i32 s3, s4, s3
	v_add3_u32 v1, s21, s21, v0
	s_mul_i32 s2, s15, s22
	s_add_i32 s3, s3, s5
	s_ashr_i32 s1, s20, 31
	s_lshl_b64 s[2:3], s[2:3], 3
	s_mov_b32 s0, s20
	v_ashrrev_i32_e32 v2, 31, v1
	v_add_nc_u32_e32 v4, s21, v1
	s_add_u32 s2, s18, s2
	s_addc_u32 s3, s19, s3
	s_lshl_b64 s[0:1], s[0:1], 3
	v_lshlrev_b64 v[6:7], 3, v[1:2]
	s_add_u32 s0, s2, s0
	v_add_nc_u32_e32 v8, s21, v4
	s_addc_u32 s1, s3, s1
	v_mov_b32_e32 v1, 0
	v_add_co_u32 v66, s2, s0, v36
	s_mov_b32 s4, s21
	s_ashr_i32 s5, s21, 31
	v_ashrrev_i32_e32 v5, 31, v4
	v_add_co_ci_u32_e64 v67, null, s1, 0, s2
	s_lshl_b64 s[2:3], s[4:5], 3
	v_ashrrev_i32_e32 v9, 31, v8
	v_add_nc_u32_e32 v10, s21, v8
	v_add_co_u32 v70, vcc_lo, v66, s2
	v_lshlrev_b64 v[4:5], 3, v[4:5]
	v_add_co_ci_u32_e32 v71, vcc_lo, s3, v67, vcc_lo
	v_add_co_u32 v68, vcc_lo, s0, v6
	v_add_co_ci_u32_e32 v69, vcc_lo, s1, v7, vcc_lo
	v_lshlrev_b64 v[6:7], 3, v[8:9]
	v_ashrrev_i32_e32 v11, 31, v10
	v_add_nc_u32_e32 v8, s21, v10
	v_add_co_u32 v72, vcc_lo, s0, v4
	v_add_co_ci_u32_e32 v73, vcc_lo, s1, v5, vcc_lo
	s_delay_alu instid0(VALU_DEP_4) | instskip(NEXT) | instid1(VALU_DEP_4)
	v_lshlrev_b64 v[4:5], 3, v[10:11]
	v_ashrrev_i32_e32 v9, 31, v8
	v_add_nc_u32_e32 v10, s21, v8
	v_add_co_u32 v74, vcc_lo, s0, v6
	v_add_co_ci_u32_e32 v75, vcc_lo, s1, v7, vcc_lo
	s_delay_alu instid0(VALU_DEP_4) | instskip(NEXT) | instid1(VALU_DEP_4)
	v_lshlrev_b64 v[6:7], 3, v[8:9]
	v_add_nc_u32_e32 v8, s21, v10
	v_ashrrev_i32_e32 v11, 31, v10
	v_add_co_u32 v82, vcc_lo, s0, v4
	v_add_co_ci_u32_e32 v83, vcc_lo, s1, v5, vcc_lo
	s_delay_alu instid0(VALU_DEP_4) | instskip(NEXT) | instid1(VALU_DEP_4)
	v_ashrrev_i32_e32 v9, 31, v8
	v_lshlrev_b64 v[4:5], 3, v[10:11]
	v_add_co_u32 v78, vcc_lo, s0, v6
	v_add_co_ci_u32_e32 v79, vcc_lo, s1, v7, vcc_lo
	s_delay_alu instid0(VALU_DEP_4) | instskip(NEXT) | instid1(VALU_DEP_4)
	v_lshlrev_b64 v[6:7], 3, v[8:9]
	v_add_co_u32 v80, vcc_lo, s0, v4
	v_add_co_ci_u32_e32 v81, vcc_lo, s1, v5, vcc_lo
	global_load_b64 v[2:3], v36, s[0:1]
	v_add_co_u32 v76, vcc_lo, s0, v6
	v_add_co_ci_u32_e32 v77, vcc_lo, s1, v7, vcc_lo
	s_clause 0x7
	global_load_b64 v[4:5], v[70:71], off
	global_load_b64 v[6:7], v[68:69], off
	;; [unrolled: 1-line block ×8, first 2 shown]
	v_cmp_eq_u32_e64 s0, 0, v0
	s_cmpk_lg_i32 s17, 0x84
	s_cselect_b32 s9, -1, 0
	s_cmpk_eq_i32 s17, 0x84
	s_cbranch_scc1 .LBB8_3
; %bb.2:
	v_cmp_eq_u32_e64 s1, 1, v0
	v_cmp_eq_u32_e64 s2, 2, v0
	v_cmp_eq_u32_e64 s3, 3, v0
	v_cmp_eq_u32_e64 s4, 4, v0
	v_cmp_eq_u32_e64 s5, 5, v0
	s_waitcnt vmcnt(7)
	v_cndmask_b32_e64 v20, v3, v5, s1
	v_cndmask_b32_e64 v21, v2, v4, s1
	v_cmp_eq_u32_e64 s6, 6, v0
	v_cmp_eq_u32_e64 s7, 7, v0
	;; [unrolled: 1-line block ×3, first 2 shown]
	s_waitcnt vmcnt(6)
	v_cndmask_b32_e64 v20, v20, v7, s2
	v_cndmask_b32_e64 v21, v21, v6, s2
	s_waitcnt vmcnt(5)
	s_delay_alu instid0(VALU_DEP_2) | instskip(NEXT) | instid1(VALU_DEP_2)
	v_cndmask_b32_e64 v20, v20, v9, s3
	v_cndmask_b32_e64 v21, v21, v8, s3
	s_waitcnt vmcnt(4)
	s_delay_alu instid0(VALU_DEP_2) | instskip(NEXT) | instid1(VALU_DEP_2)
	v_cndmask_b32_e64 v20, v20, v11, s4
	v_cndmask_b32_e64 v21, v21, v10, s4
	s_waitcnt vmcnt(3)
	s_delay_alu instid0(VALU_DEP_2) | instskip(NEXT) | instid1(VALU_DEP_2)
	v_cndmask_b32_e64 v20, v20, v13, s5
	v_cndmask_b32_e64 v21, v21, v12, s5
	s_waitcnt vmcnt(2)
	s_delay_alu instid0(VALU_DEP_2) | instskip(NEXT) | instid1(VALU_DEP_2)
	v_cndmask_b32_e64 v20, v20, v15, s6
	v_cndmask_b32_e64 v21, v21, v14, s6
	s_waitcnt vmcnt(1)
	s_delay_alu instid0(VALU_DEP_2) | instskip(NEXT) | instid1(VALU_DEP_2)
	v_cndmask_b32_e64 v20, v20, v17, s7
	v_cndmask_b32_e64 v22, v21, v16, s7
	s_waitcnt vmcnt(0)
	s_delay_alu instid0(VALU_DEP_2) | instskip(NEXT) | instid1(VALU_DEP_2)
	v_cndmask_b32_e64 v21, v20, v19, s8
	v_cndmask_b32_e64 v20, v22, v18, s8
	s_delay_alu instid0(VALU_DEP_1) | instskip(SKIP_1) | instid1(VALU_DEP_2)
	v_div_scale_f64 v[22:23], null, v[20:21], v[20:21], 1.0
	v_div_scale_f64 v[28:29], vcc_lo, 1.0, v[20:21], 1.0
	v_rcp_f64_e32 v[24:25], v[22:23]
	s_waitcnt_depctr 0xfff
	v_fma_f64 v[26:27], -v[22:23], v[24:25], 1.0
	s_delay_alu instid0(VALU_DEP_1) | instskip(NEXT) | instid1(VALU_DEP_1)
	v_fma_f64 v[24:25], v[24:25], v[26:27], v[24:25]
	v_fma_f64 v[26:27], -v[22:23], v[24:25], 1.0
	s_delay_alu instid0(VALU_DEP_1) | instskip(NEXT) | instid1(VALU_DEP_1)
	v_fma_f64 v[24:25], v[24:25], v[26:27], v[24:25]
	v_mul_f64 v[26:27], v[28:29], v[24:25]
	s_delay_alu instid0(VALU_DEP_1) | instskip(NEXT) | instid1(VALU_DEP_1)
	v_fma_f64 v[22:23], -v[22:23], v[26:27], v[28:29]
	v_div_fmas_f64 v[22:23], v[22:23], v[24:25], v[26:27]
	s_delay_alu instid0(VALU_DEP_1) | instskip(NEXT) | instid1(VALU_DEP_1)
	v_div_fixup_f64 v[34:35], v[22:23], v[20:21], 1.0
	v_cndmask_b32_e64 v19, v19, v35, s8
	s_delay_alu instid0(VALU_DEP_2)
	v_cndmask_b32_e64 v18, v18, v34, s8
	v_cndmask_b32_e64 v17, v17, v35, s7
	v_cndmask_b32_e64 v16, v16, v34, s7
	v_cndmask_b32_e64 v15, v15, v35, s6
	v_cndmask_b32_e64 v14, v14, v34, s6
	v_cndmask_b32_e64 v13, v13, v35, s5
	v_cndmask_b32_e64 v12, v12, v34, s5
	v_cndmask_b32_e64 v11, v11, v35, s4
	v_cndmask_b32_e64 v10, v10, v34, s4
	v_cndmask_b32_e64 v9, v9, v35, s3
	v_cndmask_b32_e64 v8, v8, v34, s3
	v_cndmask_b32_e64 v7, v7, v35, s2
	v_cndmask_b32_e64 v6, v6, v34, s2
	v_cndmask_b32_e64 v5, v5, v35, s1
	v_cndmask_b32_e64 v4, v4, v34, s1
	v_cndmask_b32_e64 v3, v3, v35, s0
	v_cndmask_b32_e64 v2, v2, v34, s0
	v_xor_b32_e32 v35, 0x80000000, v35
.LBB8_3:
	v_add_nc_u32_e32 v86, 0x50, v36
	s_cmpk_eq_i32 s16, 0x79
	ds_store_b64 v36, v[34:35]
	s_cbranch_scc1 .LBB8_7
; %bb.4:
	s_waitcnt vmcnt(0)
	v_dual_mov_b32 v65, v33 :: v_dual_mov_b32 v64, v32
	v_dual_mov_b32 v63, v31 :: v_dual_mov_b32 v62, v30
	;; [unrolled: 1-line block ×16, first 2 shown]
	v_cmp_eq_u32_e64 s0, 8, v0
	ds_store_b64 v86, v[16:17]
	s_waitcnt lgkmcnt(0)
	s_barrier
	buffer_gl0_inv
	s_and_saveexec_b32 s1, s0
	s_cbranch_execz .LBB8_11
; %bb.5:
	s_and_b32 vcc_lo, exec_lo, s9
	s_cbranch_vccz .LBB8_8
; %bb.6:
	v_cmp_eq_u32_e32 vcc_lo, 1, v0
	v_dual_cndmask_b32 v34, v3, v5 :: v_dual_cndmask_b32 v35, v2, v4
	v_cmp_eq_u32_e32 vcc_lo, 2, v0
	s_delay_alu instid0(VALU_DEP_2) | instskip(SKIP_1) | instid1(VALU_DEP_2)
	v_dual_cndmask_b32 v34, v34, v7 :: v_dual_cndmask_b32 v35, v35, v6
	v_cmp_eq_u32_e32 vcc_lo, 3, v0
	v_dual_cndmask_b32 v34, v34, v9 :: v_dual_cndmask_b32 v35, v35, v8
	v_cmp_eq_u32_e32 vcc_lo, 4, v0
	s_delay_alu instid0(VALU_DEP_2) | instskip(SKIP_1) | instid1(VALU_DEP_2)
	v_dual_cndmask_b32 v34, v34, v11 :: v_dual_cndmask_b32 v35, v35, v10
	v_cmp_eq_u32_e32 vcc_lo, 5, v0
	v_dual_cndmask_b32 v36, v34, v13 :: v_dual_cndmask_b32 v37, v35, v12
	v_cmp_eq_u32_e32 vcc_lo, 6, v0
	ds_load_b64 v[34:35], v86
	v_dual_cndmask_b32 v36, v36, v15 :: v_dual_cndmask_b32 v37, v37, v14
	v_cmp_eq_u32_e32 vcc_lo, 7, v0
	s_delay_alu instid0(VALU_DEP_2) | instskip(NEXT) | instid1(VALU_DEP_3)
	v_cndmask_b32_e32 v36, v36, v17, vcc_lo
	v_cndmask_b32_e32 v38, v37, v16, vcc_lo
	v_cmp_eq_u32_e32 vcc_lo, 8, v0
	s_delay_alu instid0(VALU_DEP_2) | instskip(SKIP_1) | instid1(VALU_DEP_1)
	v_dual_cndmask_b32 v37, v36, v19 :: v_dual_cndmask_b32 v36, v38, v18
	s_waitcnt lgkmcnt(0)
	v_mul_f64 v[34:35], v[36:37], v[34:35]
	s_cbranch_execz .LBB8_9
	s_branch .LBB8_10
.LBB8_7:
                                        ; implicit-def: $vgpr34_vgpr35_vgpr36_vgpr37_vgpr38_vgpr39_vgpr40_vgpr41_vgpr42_vgpr43_vgpr44_vgpr45_vgpr46_vgpr47_vgpr48_vgpr49_vgpr50_vgpr51_vgpr52_vgpr53_vgpr54_vgpr55_vgpr56_vgpr57_vgpr58_vgpr59_vgpr60_vgpr61_vgpr62_vgpr63_vgpr64_vgpr65
	s_cbranch_execnz .LBB8_116
	s_branch .LBB8_191
.LBB8_8:
                                        ; implicit-def: $vgpr34_vgpr35
.LBB8_9:
	ds_load_b64 v[34:35], v86
.LBB8_10:
	v_mov_b32_e32 v36, 0
	v_dual_mov_b32 v38, v6 :: v_dual_mov_b32 v41, v9
	v_dual_mov_b32 v40, v8 :: v_dual_mov_b32 v43, v11
	ds_load_b64 v[36:37], v36 offset:56
	v_dual_mov_b32 v42, v10 :: v_dual_mov_b32 v45, v13
	v_dual_mov_b32 v44, v12 :: v_dual_mov_b32 v47, v15
	;; [unrolled: 1-line block ×4, first 2 shown]
	s_waitcnt lgkmcnt(0)
	v_mul_f64 v[48:49], v[34:35], v[36:37]
	v_dual_mov_b32 v34, v2 :: v_dual_mov_b32 v37, v5
	v_dual_mov_b32 v35, v3 :: v_dual_mov_b32 v36, v4
.LBB8_11:
	s_or_b32 exec_lo, exec_lo, s1
	v_cmp_lt_u32_e64 s1, 6, v0
	ds_store_b64 v86, v[46:47]
	s_waitcnt lgkmcnt(0)
	s_barrier
	buffer_gl0_inv
	s_and_saveexec_b32 s2, s1
	s_cbranch_execz .LBB8_19
; %bb.12:
	s_and_not1_b32 vcc_lo, exec_lo, s9
	s_cbranch_vccnz .LBB8_14
; %bb.13:
	v_cmp_eq_u32_e32 vcc_lo, 1, v0
	v_dual_cndmask_b32 v52, v35, v37 :: v_dual_cndmask_b32 v53, v34, v36
	v_cmp_eq_u32_e32 vcc_lo, 2, v0
	s_delay_alu instid0(VALU_DEP_2) | instskip(SKIP_1) | instid1(VALU_DEP_2)
	v_dual_cndmask_b32 v52, v52, v39 :: v_dual_cndmask_b32 v53, v53, v38
	v_cmp_eq_u32_e32 vcc_lo, 3, v0
	v_dual_cndmask_b32 v52, v52, v41 :: v_dual_cndmask_b32 v53, v53, v40
	v_cmp_eq_u32_e32 vcc_lo, 4, v0
	s_delay_alu instid0(VALU_DEP_2) | instskip(SKIP_1) | instid1(VALU_DEP_2)
	v_dual_cndmask_b32 v52, v52, v43 :: v_dual_cndmask_b32 v53, v53, v42
	v_cmp_eq_u32_e32 vcc_lo, 5, v0
	v_dual_cndmask_b32 v54, v52, v45 :: v_dual_cndmask_b32 v55, v53, v44
	v_cmp_eq_u32_e32 vcc_lo, 6, v0
	ds_load_b64 v[52:53], v86
	v_dual_cndmask_b32 v47, v54, v47 :: v_dual_cndmask_b32 v46, v55, v46
	v_cmp_eq_u32_e32 vcc_lo, 7, v0
	s_delay_alu instid0(VALU_DEP_2) | instskip(SKIP_1) | instid1(VALU_DEP_2)
	v_dual_cndmask_b32 v47, v47, v49 :: v_dual_cndmask_b32 v46, v46, v48
	v_cmp_eq_u32_e32 vcc_lo, 8, v0
	v_dual_cndmask_b32 v47, v47, v51 :: v_dual_cndmask_b32 v46, v46, v50
	s_waitcnt lgkmcnt(0)
	s_delay_alu instid0(VALU_DEP_1)
	v_mul_f64 v[46:47], v[46:47], v[52:53]
	s_cbranch_execz .LBB8_15
	s_branch .LBB8_16
.LBB8_14:
                                        ; implicit-def: $vgpr46_vgpr47
.LBB8_15:
	ds_load_b64 v[46:47], v86
.LBB8_16:
	s_and_saveexec_b32 s3, s0
	s_cbranch_execz .LBB8_18
; %bb.17:
	v_mov_b32_e32 v52, 0
	ds_load_b64 v[52:53], v52 offset:136
	s_waitcnt lgkmcnt(0)
	v_fma_f64 v[46:47], v[48:49], v[52:53], v[46:47]
.LBB8_18:
	s_or_b32 exec_lo, exec_lo, s3
	v_mov_b32_e32 v52, 0
	ds_load_b64 v[52:53], v52 offset:48
	s_waitcnt lgkmcnt(0)
	v_mul_f64 v[46:47], v[46:47], v[52:53]
.LBB8_19:
	s_or_b32 exec_lo, exec_lo, s2
	v_cmp_lt_u32_e64 s0, 5, v0
	ds_store_b64 v86, v[44:45]
	s_waitcnt lgkmcnt(0)
	s_barrier
	buffer_gl0_inv
	s_and_saveexec_b32 s4, s0
	s_cbranch_execz .LBB8_35
; %bb.20:
	s_and_not1_b32 vcc_lo, exec_lo, s9
	s_cbranch_vccnz .LBB8_22
; %bb.21:
	v_cmp_eq_u32_e32 vcc_lo, 1, v0
	v_dual_cndmask_b32 v84, v35, v37 :: v_dual_cndmask_b32 v85, v34, v36
	v_cmp_eq_u32_e32 vcc_lo, 2, v0
	s_delay_alu instid0(VALU_DEP_2) | instskip(SKIP_1) | instid1(VALU_DEP_2)
	v_dual_cndmask_b32 v84, v84, v39 :: v_dual_cndmask_b32 v85, v85, v38
	v_cmp_eq_u32_e32 vcc_lo, 3, v0
	v_dual_cndmask_b32 v84, v84, v41 :: v_dual_cndmask_b32 v85, v85, v40
	v_cmp_eq_u32_e32 vcc_lo, 4, v0
	s_delay_alu instid0(VALU_DEP_2) | instskip(SKIP_1) | instid1(VALU_DEP_2)
	v_dual_cndmask_b32 v84, v84, v43 :: v_dual_cndmask_b32 v85, v85, v42
	v_cmp_eq_u32_e32 vcc_lo, 5, v0
	v_dual_cndmask_b32 v87, v84, v45 :: v_dual_cndmask_b32 v88, v85, v44
	v_cmp_eq_u32_e32 vcc_lo, 6, v0
	ds_load_b64 v[84:85], v86
	v_dual_cndmask_b32 v87, v87, v47 :: v_dual_cndmask_b32 v88, v88, v46
	v_cmp_eq_u32_e32 vcc_lo, 7, v0
	s_delay_alu instid0(VALU_DEP_2) | instskip(NEXT) | instid1(VALU_DEP_3)
	v_cndmask_b32_e32 v87, v87, v49, vcc_lo
	v_cndmask_b32_e32 v89, v88, v48, vcc_lo
	v_cmp_eq_u32_e32 vcc_lo, 8, v0
	s_delay_alu instid0(VALU_DEP_2) | instskip(SKIP_1) | instid1(VALU_DEP_1)
	v_dual_cndmask_b32 v88, v87, v51 :: v_dual_cndmask_b32 v87, v89, v50
	s_waitcnt lgkmcnt(0)
	v_mul_f64 v[84:85], v[87:88], v[84:85]
	s_cbranch_execz .LBB8_23
	s_branch .LBB8_24
.LBB8_22:
                                        ; implicit-def: $vgpr84_vgpr85
.LBB8_23:
	ds_load_b64 v[84:85], v86
.LBB8_24:
	s_and_saveexec_b32 s5, s1
	s_cbranch_execz .LBB8_34
; %bb.25:
	v_dual_mov_b32 v89, 6 :: v_dual_add_nc_u32 v88, -7, v0
	v_add_nc_u32_e32 v87, -6, v0
	s_mov_b32 s1, exec_lo
	s_delay_alu instid0(VALU_DEP_2)
	v_cmpx_lt_u32_e32 6, v88
	s_cbranch_execz .LBB8_29
; %bb.26:
	s_delay_alu instid0(VALU_DEP_2) | instskip(SKIP_3) | instid1(VALU_DEP_1)
	v_and_b32_e32 v88, -8, v87
	s_mov_b32 s6, 0
	s_mov_b64 s[2:3], 13
	s_movk_i32 s7, 0x80
	v_sub_nc_u32_e32 v88, 0, v88
.LBB8_27:                               ; =>This Inner Loop Header: Depth=1
	v_mov_b32_e32 v99, s7
	s_lshl_b32 s8, s2, 1
	s_delay_alu instid0(SALU_CYCLE_1)
	s_add_i32 m0, s8, -13
	v_movrels_b32_e32 v98, v34
	ds_load_b128 v[89:92], v99
	ds_load_b128 v[93:96], v99 offset:16
	s_add_i32 m0, s8, -14
	v_movrels_b32_e32 v97, v34
	s_add_i32 m0, s8, -11
	s_waitcnt lgkmcnt(1)
	s_delay_alu instid0(VALU_DEP_1) | instskip(SKIP_4) | instid1(VALU_DEP_1)
	v_fma_f64 v[84:85], v[97:98], v[89:90], v[84:85]
	v_movrels_b32_e32 v90, v34
	s_add_i32 m0, s8, -12
	v_movrels_b32_e32 v89, v34
	s_add_i32 m0, s8, -9
	v_fma_f64 v[84:85], v[89:90], v[91:92], v[84:85]
	v_movrels_b32_e32 v90, v34
	s_add_i32 m0, s8, -10
	v_movrels_b32_e32 v89, v34
	s_add_i32 m0, s8, -7
	s_waitcnt lgkmcnt(0)
	s_delay_alu instid0(VALU_DEP_1)
	v_fma_f64 v[84:85], v[89:90], v[93:94], v[84:85]
	v_movrels_b32_e32 v90, v34
	s_add_i32 m0, s8, -8
	v_movrels_b32_e32 v89, v34
	s_add_i32 m0, s8, -5
	;; [unrolled: 2-line block ×4, first 2 shown]
	v_fma_f64 v[84:85], v[89:90], v[95:96], v[84:85]
	ds_load_b128 v[89:92], v99 offset:32
	ds_load_b128 v[93:96], v99 offset:48
	s_waitcnt lgkmcnt(1)
	v_fma_f64 v[84:85], v[97:98], v[89:90], v[84:85]
	v_movrels_b32_e32 v90, v34
	s_add_i32 m0, s8, -4
	v_movrels_b32_e32 v89, v34
	s_add_i32 m0, s8, -1
	s_delay_alu instid0(VALU_DEP_1)
	v_fma_f64 v[84:85], v[89:90], v[91:92], v[84:85]
	v_movrels_b32_e32 v90, v34
	s_add_i32 m0, s8, -2
	s_add_u32 s2, s2, 8
	v_movrels_b32_e32 v89, v34
	s_mov_b32 m0, s8
	s_addc_u32 s3, s3, 0
	s_add_i32 s8, s2, -7
	s_add_i32 s7, s7, 64
	s_waitcnt lgkmcnt(0)
	s_delay_alu instid0(VALU_DEP_3) | instskip(SKIP_2) | instid1(VALU_DEP_1)
	v_fma_f64 v[84:85], v[89:90], v[93:94], v[84:85]
	v_movrels_b32_e32 v90, v35
	v_movrels_b32_e32 v89, v34
	v_fma_f64 v[84:85], v[89:90], v[95:96], v[84:85]
	v_add_nc_u32_e32 v89, s2, v88
	s_delay_alu instid0(VALU_DEP_1) | instskip(SKIP_2) | instid1(SALU_CYCLE_1)
	v_cmp_eq_u32_e32 vcc_lo, 13, v89
	v_mov_b32_e32 v89, s8
	s_or_b32 s6, vcc_lo, s6
	s_and_not1_b32 exec_lo, exec_lo, s6
	s_cbranch_execnz .LBB8_27
; %bb.28:
	s_or_b32 exec_lo, exec_lo, s6
.LBB8_29:
	s_delay_alu instid0(SALU_CYCLE_1) | instskip(SKIP_3) | instid1(VALU_DEP_1)
	s_or_b32 exec_lo, exec_lo, s1
	v_and_b32_e32 v52, 7, v87
	s_mov_b32 s3, 0
	s_mov_b32 s2, exec_lo
	v_cmpx_ne_u32_e32 0, v52
	s_cbranch_execz .LBB8_33
; %bb.30:
	v_lshl_add_u32 v53, v89, 3, 0x50
	v_mov_b32_e32 v54, 0
.LBB8_31:                               ; =>This Inner Loop Header: Depth=1
	v_cmp_eq_u32_e32 vcc_lo, 1, v89
	v_cmp_eq_u32_e64 s1, 2, v89
	v_dual_cndmask_b32 v55, v35, v37 :: v_dual_add_nc_u32 v52, -1, v52
	v_cndmask_b32_e32 v56, v34, v36, vcc_lo
	v_cmp_eq_u32_e32 vcc_lo, 3, v89
	s_delay_alu instid0(VALU_DEP_3) | instskip(NEXT) | instid1(VALU_DEP_3)
	v_cndmask_b32_e64 v55, v55, v39, s1
	v_cndmask_b32_e64 v56, v56, v38, s1
	v_cmp_eq_u32_e64 s1, 4, v89
	s_delay_alu instid0(VALU_DEP_2) | instskip(SKIP_1) | instid1(VALU_DEP_2)
	v_dual_cndmask_b32 v55, v55, v41 :: v_dual_cndmask_b32 v56, v56, v40
	v_cmp_eq_u32_e32 vcc_lo, 5, v89
	v_cndmask_b32_e64 v57, v55, v43, s1
	s_delay_alu instid0(VALU_DEP_3)
	v_cndmask_b32_e64 v58, v56, v42, s1
	ds_load_b64 v[55:56], v53
	v_cmp_eq_u32_e64 s1, 6, v89
	v_add_nc_u32_e32 v53, 8, v53
	v_dual_cndmask_b32 v57, v57, v45 :: v_dual_cndmask_b32 v58, v58, v44
	v_cmp_eq_u32_e32 vcc_lo, 7, v89
	s_delay_alu instid0(VALU_DEP_2) | instskip(NEXT) | instid1(VALU_DEP_3)
	v_cndmask_b32_e64 v57, v57, v47, s1
	v_cndmask_b32_e64 v58, v58, v46, s1
	v_cmp_eq_u32_e64 s1, 8, v89
	s_delay_alu instid0(VALU_DEP_3) | instskip(NEXT) | instid1(VALU_DEP_3)
	v_cndmask_b32_e32 v57, v57, v49, vcc_lo
	v_cndmask_b32_e32 v59, v58, v48, vcc_lo
	v_cmp_eq_u32_e32 vcc_lo, 0, v52
	s_delay_alu instid0(VALU_DEP_3) | instskip(NEXT) | instid1(VALU_DEP_3)
	v_cndmask_b32_e64 v58, v57, v51, s1
	v_cndmask_b32_e64 v57, v59, v50, s1
	v_add_co_u32 v89, s1, v89, 1
	s_delay_alu instid0(VALU_DEP_1) | instskip(SKIP_1) | instid1(VALU_DEP_3)
	v_add_co_ci_u32_e64 v54, s1, 0, v54, s1
	s_waitcnt lgkmcnt(0)
	v_fma_f64 v[84:85], v[57:58], v[55:56], v[84:85]
	s_or_b32 s3, vcc_lo, s3
	s_delay_alu instid0(SALU_CYCLE_1)
	s_and_not1_b32 exec_lo, exec_lo, s3
	s_cbranch_execnz .LBB8_31
; %bb.32:
	s_or_b32 exec_lo, exec_lo, s3
.LBB8_33:
	s_delay_alu instid0(SALU_CYCLE_1)
	s_or_b32 exec_lo, exec_lo, s2
.LBB8_34:
	s_delay_alu instid0(SALU_CYCLE_1)
	s_or_b32 exec_lo, exec_lo, s5
	v_mov_b32_e32 v44, 0
	ds_load_b64 v[44:45], v44 offset:40
	s_waitcnt lgkmcnt(0)
	v_mul_f64 v[44:45], v[84:85], v[44:45]
.LBB8_35:
	s_or_b32 exec_lo, exec_lo, s4
	v_cmp_lt_u32_e64 s1, 4, v0
	ds_store_b64 v86, v[42:43]
	s_waitcnt lgkmcnt(0)
	s_barrier
	buffer_gl0_inv
	s_and_saveexec_b32 s4, s1
	s_cbranch_execz .LBB8_51
; %bb.36:
	s_and_not1_b32 vcc_lo, exec_lo, s9
	s_cbranch_vccnz .LBB8_38
; %bb.37:
	v_cmp_eq_u32_e32 vcc_lo, 1, v0
	v_dual_cndmask_b32 v84, v35, v37 :: v_dual_cndmask_b32 v85, v34, v36
	v_cmp_eq_u32_e32 vcc_lo, 2, v0
	s_delay_alu instid0(VALU_DEP_2) | instskip(SKIP_1) | instid1(VALU_DEP_2)
	v_dual_cndmask_b32 v84, v84, v39 :: v_dual_cndmask_b32 v85, v85, v38
	v_cmp_eq_u32_e32 vcc_lo, 3, v0
	v_dual_cndmask_b32 v84, v84, v41 :: v_dual_cndmask_b32 v85, v85, v40
	v_cmp_eq_u32_e32 vcc_lo, 4, v0
	s_delay_alu instid0(VALU_DEP_2) | instskip(SKIP_1) | instid1(VALU_DEP_2)
	v_dual_cndmask_b32 v84, v84, v43 :: v_dual_cndmask_b32 v85, v85, v42
	v_cmp_eq_u32_e32 vcc_lo, 5, v0
	v_dual_cndmask_b32 v87, v84, v45 :: v_dual_cndmask_b32 v88, v85, v44
	v_cmp_eq_u32_e32 vcc_lo, 6, v0
	ds_load_b64 v[84:85], v86
	v_dual_cndmask_b32 v87, v87, v47 :: v_dual_cndmask_b32 v88, v88, v46
	v_cmp_eq_u32_e32 vcc_lo, 7, v0
	s_delay_alu instid0(VALU_DEP_2) | instskip(NEXT) | instid1(VALU_DEP_3)
	v_cndmask_b32_e32 v87, v87, v49, vcc_lo
	v_cndmask_b32_e32 v89, v88, v48, vcc_lo
	v_cmp_eq_u32_e32 vcc_lo, 8, v0
	s_delay_alu instid0(VALU_DEP_2) | instskip(SKIP_1) | instid1(VALU_DEP_1)
	v_dual_cndmask_b32 v88, v87, v51 :: v_dual_cndmask_b32 v87, v89, v50
	s_waitcnt lgkmcnt(0)
	v_mul_f64 v[84:85], v[87:88], v[84:85]
	s_cbranch_execz .LBB8_39
	s_branch .LBB8_40
.LBB8_38:
                                        ; implicit-def: $vgpr84_vgpr85
.LBB8_39:
	ds_load_b64 v[84:85], v86
.LBB8_40:
	s_and_saveexec_b32 s5, s0
	s_cbranch_execz .LBB8_50
; %bb.41:
	v_dual_mov_b32 v89, 5 :: v_dual_add_nc_u32 v88, -6, v0
	v_add_nc_u32_e32 v87, -5, v0
	s_mov_b32 s0, exec_lo
	s_delay_alu instid0(VALU_DEP_2)
	v_cmpx_lt_u32_e32 6, v88
	s_cbranch_execz .LBB8_45
; %bb.42:
	s_delay_alu instid0(VALU_DEP_2) | instskip(SKIP_3) | instid1(VALU_DEP_1)
	v_and_b32_e32 v88, -8, v87
	s_mov_b32 s6, 0
	s_mov_b64 s[2:3], 12
	s_movk_i32 s7, 0x78
	v_sub_nc_u32_e32 v88, 0, v88
.LBB8_43:                               ; =>This Inner Loop Header: Depth=1
	v_mov_b32_e32 v99, s7
	s_lshl_b32 s8, s2, 1
	s_delay_alu instid0(SALU_CYCLE_1)
	s_add_i32 m0, s8, -13
	v_movrels_b32_e32 v98, v34
	ds_load_2addr_b64 v[89:92], v99 offset1:1
	ds_load_2addr_b64 v[93:96], v99 offset0:2 offset1:3
	s_add_i32 m0, s8, -14
	v_movrels_b32_e32 v97, v34
	s_add_i32 m0, s8, -11
	s_waitcnt lgkmcnt(1)
	s_delay_alu instid0(VALU_DEP_1) | instskip(SKIP_4) | instid1(VALU_DEP_1)
	v_fma_f64 v[84:85], v[97:98], v[89:90], v[84:85]
	v_movrels_b32_e32 v90, v34
	s_add_i32 m0, s8, -12
	v_movrels_b32_e32 v89, v34
	s_add_i32 m0, s8, -9
	v_fma_f64 v[84:85], v[89:90], v[91:92], v[84:85]
	v_movrels_b32_e32 v90, v34
	s_add_i32 m0, s8, -10
	v_movrels_b32_e32 v89, v34
	s_add_i32 m0, s8, -7
	s_waitcnt lgkmcnt(0)
	s_delay_alu instid0(VALU_DEP_1)
	v_fma_f64 v[84:85], v[89:90], v[93:94], v[84:85]
	v_movrels_b32_e32 v90, v34
	s_add_i32 m0, s8, -8
	v_movrels_b32_e32 v89, v34
	s_add_i32 m0, s8, -5
	;; [unrolled: 2-line block ×4, first 2 shown]
	v_fma_f64 v[84:85], v[89:90], v[95:96], v[84:85]
	ds_load_2addr_b64 v[89:92], v99 offset0:4 offset1:5
	ds_load_2addr_b64 v[93:96], v99 offset0:6 offset1:7
	s_waitcnt lgkmcnt(1)
	v_fma_f64 v[84:85], v[97:98], v[89:90], v[84:85]
	v_movrels_b32_e32 v90, v34
	s_add_i32 m0, s8, -4
	v_movrels_b32_e32 v89, v34
	s_add_i32 m0, s8, -1
	s_delay_alu instid0(VALU_DEP_1)
	v_fma_f64 v[84:85], v[89:90], v[91:92], v[84:85]
	v_movrels_b32_e32 v90, v34
	s_add_i32 m0, s8, -2
	s_add_u32 s2, s2, 8
	v_movrels_b32_e32 v89, v34
	s_mov_b32 m0, s8
	s_addc_u32 s3, s3, 0
	s_add_i32 s8, s2, -7
	s_add_i32 s7, s7, 64
	s_waitcnt lgkmcnt(0)
	s_delay_alu instid0(VALU_DEP_3) | instskip(SKIP_2) | instid1(VALU_DEP_1)
	v_fma_f64 v[84:85], v[89:90], v[93:94], v[84:85]
	v_movrels_b32_e32 v90, v35
	v_movrels_b32_e32 v89, v34
	v_fma_f64 v[84:85], v[89:90], v[95:96], v[84:85]
	v_add_nc_u32_e32 v89, s2, v88
	s_delay_alu instid0(VALU_DEP_1) | instskip(SKIP_2) | instid1(SALU_CYCLE_1)
	v_cmp_eq_u32_e32 vcc_lo, 12, v89
	v_mov_b32_e32 v89, s8
	s_or_b32 s6, vcc_lo, s6
	s_and_not1_b32 exec_lo, exec_lo, s6
	s_cbranch_execnz .LBB8_43
; %bb.44:
	s_or_b32 exec_lo, exec_lo, s6
.LBB8_45:
	s_delay_alu instid0(SALU_CYCLE_1) | instskip(SKIP_3) | instid1(VALU_DEP_1)
	s_or_b32 exec_lo, exec_lo, s0
	v_and_b32_e32 v52, 7, v87
	s_mov_b32 s3, 0
	s_mov_b32 s2, exec_lo
	v_cmpx_ne_u32_e32 0, v52
	s_cbranch_execz .LBB8_49
; %bb.46:
	v_lshl_add_u32 v53, v89, 3, 0x50
	v_mov_b32_e32 v54, 0
.LBB8_47:                               ; =>This Inner Loop Header: Depth=1
	v_cmp_eq_u32_e32 vcc_lo, 1, v89
	v_cmp_eq_u32_e64 s0, 2, v89
	v_dual_cndmask_b32 v55, v35, v37 :: v_dual_add_nc_u32 v52, -1, v52
	v_cndmask_b32_e32 v56, v34, v36, vcc_lo
	v_cmp_eq_u32_e32 vcc_lo, 3, v89
	s_delay_alu instid0(VALU_DEP_3) | instskip(NEXT) | instid1(VALU_DEP_3)
	v_cndmask_b32_e64 v55, v55, v39, s0
	v_cndmask_b32_e64 v56, v56, v38, s0
	v_cmp_eq_u32_e64 s0, 4, v89
	s_delay_alu instid0(VALU_DEP_2) | instskip(SKIP_1) | instid1(VALU_DEP_2)
	v_dual_cndmask_b32 v55, v55, v41 :: v_dual_cndmask_b32 v56, v56, v40
	v_cmp_eq_u32_e32 vcc_lo, 5, v89
	v_cndmask_b32_e64 v57, v55, v43, s0
	s_delay_alu instid0(VALU_DEP_3)
	v_cndmask_b32_e64 v58, v56, v42, s0
	ds_load_b64 v[55:56], v53
	v_cmp_eq_u32_e64 s0, 6, v89
	v_add_nc_u32_e32 v53, 8, v53
	v_dual_cndmask_b32 v57, v57, v45 :: v_dual_cndmask_b32 v58, v58, v44
	v_cmp_eq_u32_e32 vcc_lo, 7, v89
	s_delay_alu instid0(VALU_DEP_2) | instskip(NEXT) | instid1(VALU_DEP_3)
	v_cndmask_b32_e64 v57, v57, v47, s0
	v_cndmask_b32_e64 v58, v58, v46, s0
	v_cmp_eq_u32_e64 s0, 8, v89
	s_delay_alu instid0(VALU_DEP_3) | instskip(NEXT) | instid1(VALU_DEP_3)
	v_cndmask_b32_e32 v57, v57, v49, vcc_lo
	v_cndmask_b32_e32 v59, v58, v48, vcc_lo
	v_cmp_eq_u32_e32 vcc_lo, 0, v52
	s_delay_alu instid0(VALU_DEP_3) | instskip(NEXT) | instid1(VALU_DEP_3)
	v_cndmask_b32_e64 v58, v57, v51, s0
	v_cndmask_b32_e64 v57, v59, v50, s0
	v_add_co_u32 v89, s0, v89, 1
	s_delay_alu instid0(VALU_DEP_1) | instskip(SKIP_1) | instid1(VALU_DEP_3)
	v_add_co_ci_u32_e64 v54, s0, 0, v54, s0
	s_waitcnt lgkmcnt(0)
	v_fma_f64 v[84:85], v[57:58], v[55:56], v[84:85]
	s_or_b32 s3, vcc_lo, s3
	s_delay_alu instid0(SALU_CYCLE_1)
	s_and_not1_b32 exec_lo, exec_lo, s3
	s_cbranch_execnz .LBB8_47
; %bb.48:
	s_or_b32 exec_lo, exec_lo, s3
.LBB8_49:
	s_delay_alu instid0(SALU_CYCLE_1)
	s_or_b32 exec_lo, exec_lo, s2
.LBB8_50:
	s_delay_alu instid0(SALU_CYCLE_1)
	s_or_b32 exec_lo, exec_lo, s5
	v_mov_b32_e32 v42, 0
	ds_load_b64 v[42:43], v42 offset:32
	s_waitcnt lgkmcnt(0)
	v_mul_f64 v[42:43], v[84:85], v[42:43]
.LBB8_51:
	s_or_b32 exec_lo, exec_lo, s4
	v_cmp_lt_u32_e64 s0, 3, v0
	ds_store_b64 v86, v[40:41]
	s_waitcnt lgkmcnt(0)
	s_barrier
	buffer_gl0_inv
	s_and_saveexec_b32 s4, s0
	s_cbranch_execz .LBB8_67
; %bb.52:
	s_and_not1_b32 vcc_lo, exec_lo, s9
	s_cbranch_vccnz .LBB8_54
; %bb.53:
	v_cmp_eq_u32_e32 vcc_lo, 1, v0
	v_dual_cndmask_b32 v84, v35, v37 :: v_dual_cndmask_b32 v85, v34, v36
	v_cmp_eq_u32_e32 vcc_lo, 2, v0
	s_delay_alu instid0(VALU_DEP_2) | instskip(SKIP_1) | instid1(VALU_DEP_2)
	v_dual_cndmask_b32 v84, v84, v39 :: v_dual_cndmask_b32 v85, v85, v38
	v_cmp_eq_u32_e32 vcc_lo, 3, v0
	v_dual_cndmask_b32 v84, v84, v41 :: v_dual_cndmask_b32 v85, v85, v40
	v_cmp_eq_u32_e32 vcc_lo, 4, v0
	s_delay_alu instid0(VALU_DEP_2) | instskip(SKIP_1) | instid1(VALU_DEP_2)
	v_dual_cndmask_b32 v84, v84, v43 :: v_dual_cndmask_b32 v85, v85, v42
	v_cmp_eq_u32_e32 vcc_lo, 5, v0
	v_dual_cndmask_b32 v87, v84, v45 :: v_dual_cndmask_b32 v88, v85, v44
	v_cmp_eq_u32_e32 vcc_lo, 6, v0
	ds_load_b64 v[84:85], v86
	v_dual_cndmask_b32 v87, v87, v47 :: v_dual_cndmask_b32 v88, v88, v46
	v_cmp_eq_u32_e32 vcc_lo, 7, v0
	s_delay_alu instid0(VALU_DEP_2) | instskip(NEXT) | instid1(VALU_DEP_3)
	v_cndmask_b32_e32 v87, v87, v49, vcc_lo
	v_cndmask_b32_e32 v89, v88, v48, vcc_lo
	v_cmp_eq_u32_e32 vcc_lo, 8, v0
	s_delay_alu instid0(VALU_DEP_2) | instskip(SKIP_1) | instid1(VALU_DEP_1)
	v_dual_cndmask_b32 v88, v87, v51 :: v_dual_cndmask_b32 v87, v89, v50
	s_waitcnt lgkmcnt(0)
	v_mul_f64 v[84:85], v[87:88], v[84:85]
	s_cbranch_execz .LBB8_55
	s_branch .LBB8_56
.LBB8_54:
                                        ; implicit-def: $vgpr84_vgpr85
.LBB8_55:
	ds_load_b64 v[84:85], v86
.LBB8_56:
	s_and_saveexec_b32 s5, s1
	s_cbranch_execz .LBB8_66
; %bb.57:
	v_dual_mov_b32 v89, 4 :: v_dual_add_nc_u32 v88, -5, v0
	v_add_nc_u32_e32 v87, -4, v0
	s_mov_b32 s1, exec_lo
	s_delay_alu instid0(VALU_DEP_2)
	v_cmpx_lt_u32_e32 6, v88
	s_cbranch_execz .LBB8_61
; %bb.58:
	s_delay_alu instid0(VALU_DEP_2) | instskip(SKIP_3) | instid1(VALU_DEP_1)
	v_and_b32_e32 v88, -8, v87
	s_mov_b32 s6, 0
	s_mov_b64 s[2:3], 5
	s_movk_i32 s7, 0x70
	v_sub_nc_u32_e32 v88, 0, v88
.LBB8_59:                               ; =>This Inner Loop Header: Depth=1
	v_mov_b32_e32 v99, s7
	s_lshl_b32 s8, s2, 1
	s_delay_alu instid0(SALU_CYCLE_1)
	s_add_i32 m0, s8, -1
	s_add_i32 s10, s8, 3
	ds_load_b128 v[89:92], v99
	ds_load_b128 v[93:96], v99 offset:16
	v_movrels_b32_e32 v98, v34
	s_add_i32 m0, s8, -2
	s_add_i32 s11, s8, 2
	v_movrels_b32_e32 v97, v34
	s_mov_b32 m0, s8
	s_waitcnt lgkmcnt(1)
	s_delay_alu instid0(VALU_DEP_1) | instskip(SKIP_4) | instid1(VALU_DEP_1)
	v_fma_f64 v[84:85], v[97:98], v[89:90], v[84:85]
	v_movrels_b32_e32 v90, v35
	v_movrels_b32_e32 v89, v34
	s_mov_b32 m0, s10
	s_add_i32 s10, s8, 5
	v_fma_f64 v[84:85], v[89:90], v[91:92], v[84:85]
	v_movrels_b32_e32 v90, v34
	s_mov_b32 m0, s11
	s_add_i32 s11, s8, 4
	v_movrels_b32_e32 v89, v34
	s_mov_b32 m0, s10
	s_add_i32 s10, s8, 7
	s_waitcnt lgkmcnt(0)
	s_delay_alu instid0(VALU_DEP_1)
	v_fma_f64 v[84:85], v[89:90], v[93:94], v[84:85]
	v_movrels_b32_e32 v90, v34
	s_mov_b32 m0, s11
	s_add_i32 s11, s8, 6
	v_movrels_b32_e32 v89, v34
	s_mov_b32 m0, s10
	s_add_i32 s10, s8, 9
	;; [unrolled: 3-line block ×4, first 2 shown]
	v_fma_f64 v[84:85], v[89:90], v[95:96], v[84:85]
	ds_load_b128 v[89:92], v99 offset:32
	ds_load_b128 v[93:96], v99 offset:48
	s_waitcnt lgkmcnt(1)
	v_fma_f64 v[84:85], v[97:98], v[89:90], v[84:85]
	v_movrels_b32_e32 v90, v34
	s_mov_b32 m0, s11
	s_add_i32 s11, s8, 10
	v_movrels_b32_e32 v89, v34
	s_mov_b32 m0, s10
	s_add_i32 s10, s8, 13
	s_add_i32 s8, s8, 12
	s_add_u32 s2, s2, 8
	s_addc_u32 s3, s3, 0
	s_add_i32 s7, s7, 64
	s_delay_alu instid0(VALU_DEP_3)
	v_fma_f64 v[84:85], v[89:90], v[91:92], v[84:85]
	v_movrels_b32_e32 v90, v34
	s_mov_b32 m0, s11
	v_movrels_b32_e32 v89, v34
	s_mov_b32 m0, s10
	s_waitcnt lgkmcnt(0)
	s_delay_alu instid0(VALU_DEP_1) | instskip(SKIP_4) | instid1(VALU_DEP_1)
	v_fma_f64 v[84:85], v[89:90], v[93:94], v[84:85]
	v_movrels_b32_e32 v90, v34
	s_mov_b32 m0, s8
	s_add_i32 s8, s2, -1
	v_movrels_b32_e32 v89, v34
	v_fma_f64 v[84:85], v[89:90], v[95:96], v[84:85]
	v_add_nc_u32_e32 v89, s2, v88
	s_delay_alu instid0(VALU_DEP_1) | instskip(SKIP_2) | instid1(SALU_CYCLE_1)
	v_cmp_eq_u32_e32 vcc_lo, 5, v89
	v_mov_b32_e32 v89, s8
	s_or_b32 s6, vcc_lo, s6
	s_and_not1_b32 exec_lo, exec_lo, s6
	s_cbranch_execnz .LBB8_59
; %bb.60:
	s_or_b32 exec_lo, exec_lo, s6
.LBB8_61:
	s_delay_alu instid0(SALU_CYCLE_1) | instskip(SKIP_3) | instid1(VALU_DEP_1)
	s_or_b32 exec_lo, exec_lo, s1
	v_and_b32_e32 v52, 7, v87
	s_mov_b32 s3, 0
	s_mov_b32 s2, exec_lo
	v_cmpx_ne_u32_e32 0, v52
	s_cbranch_execz .LBB8_65
; %bb.62:
	v_lshl_add_u32 v53, v89, 3, 0x50
	v_mov_b32_e32 v54, 0
.LBB8_63:                               ; =>This Inner Loop Header: Depth=1
	v_cmp_eq_u32_e32 vcc_lo, 1, v89
	v_cmp_eq_u32_e64 s1, 2, v89
	v_dual_cndmask_b32 v55, v35, v37 :: v_dual_add_nc_u32 v52, -1, v52
	v_cndmask_b32_e32 v56, v34, v36, vcc_lo
	v_cmp_eq_u32_e32 vcc_lo, 3, v89
	s_delay_alu instid0(VALU_DEP_3) | instskip(NEXT) | instid1(VALU_DEP_3)
	v_cndmask_b32_e64 v55, v55, v39, s1
	v_cndmask_b32_e64 v56, v56, v38, s1
	v_cmp_eq_u32_e64 s1, 4, v89
	s_delay_alu instid0(VALU_DEP_2) | instskip(SKIP_1) | instid1(VALU_DEP_2)
	v_dual_cndmask_b32 v55, v55, v41 :: v_dual_cndmask_b32 v56, v56, v40
	v_cmp_eq_u32_e32 vcc_lo, 5, v89
	v_cndmask_b32_e64 v57, v55, v43, s1
	s_delay_alu instid0(VALU_DEP_3)
	v_cndmask_b32_e64 v58, v56, v42, s1
	ds_load_b64 v[55:56], v53
	v_cmp_eq_u32_e64 s1, 6, v89
	v_add_nc_u32_e32 v53, 8, v53
	v_dual_cndmask_b32 v57, v57, v45 :: v_dual_cndmask_b32 v58, v58, v44
	v_cmp_eq_u32_e32 vcc_lo, 7, v89
	s_delay_alu instid0(VALU_DEP_2) | instskip(NEXT) | instid1(VALU_DEP_3)
	v_cndmask_b32_e64 v57, v57, v47, s1
	v_cndmask_b32_e64 v58, v58, v46, s1
	v_cmp_eq_u32_e64 s1, 8, v89
	s_delay_alu instid0(VALU_DEP_3) | instskip(NEXT) | instid1(VALU_DEP_3)
	v_cndmask_b32_e32 v57, v57, v49, vcc_lo
	v_cndmask_b32_e32 v59, v58, v48, vcc_lo
	v_cmp_eq_u32_e32 vcc_lo, 0, v52
	s_delay_alu instid0(VALU_DEP_3) | instskip(NEXT) | instid1(VALU_DEP_3)
	v_cndmask_b32_e64 v58, v57, v51, s1
	v_cndmask_b32_e64 v57, v59, v50, s1
	v_add_co_u32 v89, s1, v89, 1
	s_delay_alu instid0(VALU_DEP_1) | instskip(SKIP_1) | instid1(VALU_DEP_3)
	v_add_co_ci_u32_e64 v54, s1, 0, v54, s1
	s_waitcnt lgkmcnt(0)
	v_fma_f64 v[84:85], v[57:58], v[55:56], v[84:85]
	s_or_b32 s3, vcc_lo, s3
	s_delay_alu instid0(SALU_CYCLE_1)
	s_and_not1_b32 exec_lo, exec_lo, s3
	s_cbranch_execnz .LBB8_63
; %bb.64:
	s_or_b32 exec_lo, exec_lo, s3
.LBB8_65:
	s_delay_alu instid0(SALU_CYCLE_1)
	s_or_b32 exec_lo, exec_lo, s2
.LBB8_66:
	s_delay_alu instid0(SALU_CYCLE_1)
	s_or_b32 exec_lo, exec_lo, s5
	v_mov_b32_e32 v40, 0
	ds_load_b64 v[40:41], v40 offset:24
	s_waitcnt lgkmcnt(0)
	v_mul_f64 v[40:41], v[84:85], v[40:41]
.LBB8_67:
	s_or_b32 exec_lo, exec_lo, s4
	v_cmp_lt_u32_e64 s1, 2, v0
	ds_store_b64 v86, v[38:39]
	s_waitcnt lgkmcnt(0)
	s_barrier
	buffer_gl0_inv
	s_and_saveexec_b32 s4, s1
	s_cbranch_execz .LBB8_83
; %bb.68:
	s_and_not1_b32 vcc_lo, exec_lo, s9
	s_cbranch_vccnz .LBB8_70
; %bb.69:
	v_cmp_eq_u32_e32 vcc_lo, 1, v0
	v_dual_cndmask_b32 v84, v35, v37 :: v_dual_cndmask_b32 v85, v34, v36
	v_cmp_eq_u32_e32 vcc_lo, 2, v0
	s_delay_alu instid0(VALU_DEP_2) | instskip(SKIP_1) | instid1(VALU_DEP_2)
	v_dual_cndmask_b32 v84, v84, v39 :: v_dual_cndmask_b32 v85, v85, v38
	v_cmp_eq_u32_e32 vcc_lo, 3, v0
	v_dual_cndmask_b32 v84, v84, v41 :: v_dual_cndmask_b32 v85, v85, v40
	v_cmp_eq_u32_e32 vcc_lo, 4, v0
	s_delay_alu instid0(VALU_DEP_2) | instskip(SKIP_1) | instid1(VALU_DEP_2)
	v_dual_cndmask_b32 v84, v84, v43 :: v_dual_cndmask_b32 v85, v85, v42
	v_cmp_eq_u32_e32 vcc_lo, 5, v0
	v_dual_cndmask_b32 v87, v84, v45 :: v_dual_cndmask_b32 v88, v85, v44
	v_cmp_eq_u32_e32 vcc_lo, 6, v0
	ds_load_b64 v[84:85], v86
	v_dual_cndmask_b32 v87, v87, v47 :: v_dual_cndmask_b32 v88, v88, v46
	v_cmp_eq_u32_e32 vcc_lo, 7, v0
	s_delay_alu instid0(VALU_DEP_2) | instskip(NEXT) | instid1(VALU_DEP_3)
	v_cndmask_b32_e32 v87, v87, v49, vcc_lo
	v_cndmask_b32_e32 v89, v88, v48, vcc_lo
	v_cmp_eq_u32_e32 vcc_lo, 8, v0
	s_delay_alu instid0(VALU_DEP_2) | instskip(SKIP_1) | instid1(VALU_DEP_1)
	v_dual_cndmask_b32 v88, v87, v51 :: v_dual_cndmask_b32 v87, v89, v50
	s_waitcnt lgkmcnt(0)
	v_mul_f64 v[84:85], v[87:88], v[84:85]
	s_cbranch_execz .LBB8_71
	s_branch .LBB8_72
.LBB8_70:
                                        ; implicit-def: $vgpr84_vgpr85
.LBB8_71:
	ds_load_b64 v[84:85], v86
.LBB8_72:
	s_and_saveexec_b32 s5, s0
	s_cbranch_execz .LBB8_82
; %bb.73:
	v_dual_mov_b32 v89, 3 :: v_dual_add_nc_u32 v88, -4, v0
	v_add_nc_u32_e32 v87, -3, v0
	s_mov_b32 s0, exec_lo
	s_delay_alu instid0(VALU_DEP_2)
	v_cmpx_lt_u32_e32 6, v88
	s_cbranch_execz .LBB8_77
; %bb.74:
	s_delay_alu instid0(VALU_DEP_2) | instskip(SKIP_3) | instid1(VALU_DEP_1)
	v_and_b32_e32 v88, -8, v87
	s_mov_b32 s6, 0
	s_mov_b64 s[2:3], 10
	s_movk_i32 s7, 0x68
	v_sub_nc_u32_e32 v88, 0, v88
.LBB8_75:                               ; =>This Inner Loop Header: Depth=1
	v_mov_b32_e32 v99, s7
	s_lshl_b32 s8, s2, 1
	s_delay_alu instid0(SALU_CYCLE_1)
	s_add_i32 m0, s8, -13
	v_movrels_b32_e32 v98, v34
	ds_load_2addr_b64 v[89:92], v99 offset1:1
	ds_load_2addr_b64 v[93:96], v99 offset0:2 offset1:3
	s_add_i32 m0, s8, -14
	v_movrels_b32_e32 v97, v34
	s_add_i32 m0, s8, -11
	s_waitcnt lgkmcnt(1)
	s_delay_alu instid0(VALU_DEP_1) | instskip(SKIP_4) | instid1(VALU_DEP_1)
	v_fma_f64 v[84:85], v[97:98], v[89:90], v[84:85]
	v_movrels_b32_e32 v90, v34
	s_add_i32 m0, s8, -12
	v_movrels_b32_e32 v89, v34
	s_add_i32 m0, s8, -9
	v_fma_f64 v[84:85], v[89:90], v[91:92], v[84:85]
	v_movrels_b32_e32 v90, v34
	s_add_i32 m0, s8, -10
	v_movrels_b32_e32 v89, v34
	s_add_i32 m0, s8, -7
	s_waitcnt lgkmcnt(0)
	s_delay_alu instid0(VALU_DEP_1)
	v_fma_f64 v[84:85], v[89:90], v[93:94], v[84:85]
	v_movrels_b32_e32 v90, v34
	s_add_i32 m0, s8, -8
	v_movrels_b32_e32 v89, v34
	s_add_i32 m0, s8, -5
	;; [unrolled: 2-line block ×4, first 2 shown]
	v_fma_f64 v[84:85], v[89:90], v[95:96], v[84:85]
	ds_load_2addr_b64 v[89:92], v99 offset0:4 offset1:5
	ds_load_2addr_b64 v[93:96], v99 offset0:6 offset1:7
	s_waitcnt lgkmcnt(1)
	v_fma_f64 v[84:85], v[97:98], v[89:90], v[84:85]
	v_movrels_b32_e32 v90, v34
	s_add_i32 m0, s8, -4
	v_movrels_b32_e32 v89, v34
	s_add_i32 m0, s8, -1
	s_delay_alu instid0(VALU_DEP_1)
	v_fma_f64 v[84:85], v[89:90], v[91:92], v[84:85]
	v_movrels_b32_e32 v90, v34
	s_add_i32 m0, s8, -2
	s_add_u32 s2, s2, 8
	v_movrels_b32_e32 v89, v34
	s_mov_b32 m0, s8
	s_addc_u32 s3, s3, 0
	s_add_i32 s8, s2, -7
	s_add_i32 s7, s7, 64
	s_waitcnt lgkmcnt(0)
	s_delay_alu instid0(VALU_DEP_3) | instskip(SKIP_2) | instid1(VALU_DEP_1)
	v_fma_f64 v[84:85], v[89:90], v[93:94], v[84:85]
	v_movrels_b32_e32 v90, v35
	v_movrels_b32_e32 v89, v34
	v_fma_f64 v[84:85], v[89:90], v[95:96], v[84:85]
	v_add_nc_u32_e32 v89, s2, v88
	s_delay_alu instid0(VALU_DEP_1) | instskip(SKIP_2) | instid1(SALU_CYCLE_1)
	v_cmp_eq_u32_e32 vcc_lo, 10, v89
	v_mov_b32_e32 v89, s8
	s_or_b32 s6, vcc_lo, s6
	s_and_not1_b32 exec_lo, exec_lo, s6
	s_cbranch_execnz .LBB8_75
; %bb.76:
	s_or_b32 exec_lo, exec_lo, s6
.LBB8_77:
	s_delay_alu instid0(SALU_CYCLE_1) | instskip(SKIP_3) | instid1(VALU_DEP_1)
	s_or_b32 exec_lo, exec_lo, s0
	v_and_b32_e32 v52, 7, v87
	s_mov_b32 s3, 0
	s_mov_b32 s2, exec_lo
	v_cmpx_ne_u32_e32 0, v52
	s_cbranch_execz .LBB8_81
; %bb.78:
	v_lshl_add_u32 v53, v89, 3, 0x50
	v_mov_b32_e32 v54, 0
.LBB8_79:                               ; =>This Inner Loop Header: Depth=1
	v_cmp_eq_u32_e32 vcc_lo, 1, v89
	v_cmp_eq_u32_e64 s0, 2, v89
	v_dual_cndmask_b32 v55, v35, v37 :: v_dual_add_nc_u32 v52, -1, v52
	v_cndmask_b32_e32 v56, v34, v36, vcc_lo
	v_cmp_eq_u32_e32 vcc_lo, 3, v89
	s_delay_alu instid0(VALU_DEP_3) | instskip(NEXT) | instid1(VALU_DEP_3)
	v_cndmask_b32_e64 v55, v55, v39, s0
	v_cndmask_b32_e64 v56, v56, v38, s0
	v_cmp_eq_u32_e64 s0, 4, v89
	s_delay_alu instid0(VALU_DEP_2) | instskip(SKIP_1) | instid1(VALU_DEP_2)
	v_dual_cndmask_b32 v55, v55, v41 :: v_dual_cndmask_b32 v56, v56, v40
	v_cmp_eq_u32_e32 vcc_lo, 5, v89
	v_cndmask_b32_e64 v57, v55, v43, s0
	s_delay_alu instid0(VALU_DEP_3)
	v_cndmask_b32_e64 v58, v56, v42, s0
	ds_load_b64 v[55:56], v53
	v_cmp_eq_u32_e64 s0, 6, v89
	v_add_nc_u32_e32 v53, 8, v53
	v_dual_cndmask_b32 v57, v57, v45 :: v_dual_cndmask_b32 v58, v58, v44
	v_cmp_eq_u32_e32 vcc_lo, 7, v89
	s_delay_alu instid0(VALU_DEP_2) | instskip(NEXT) | instid1(VALU_DEP_3)
	v_cndmask_b32_e64 v57, v57, v47, s0
	v_cndmask_b32_e64 v58, v58, v46, s0
	v_cmp_eq_u32_e64 s0, 8, v89
	s_delay_alu instid0(VALU_DEP_3) | instskip(NEXT) | instid1(VALU_DEP_3)
	v_cndmask_b32_e32 v57, v57, v49, vcc_lo
	v_cndmask_b32_e32 v59, v58, v48, vcc_lo
	v_cmp_eq_u32_e32 vcc_lo, 0, v52
	s_delay_alu instid0(VALU_DEP_3) | instskip(NEXT) | instid1(VALU_DEP_3)
	v_cndmask_b32_e64 v58, v57, v51, s0
	v_cndmask_b32_e64 v57, v59, v50, s0
	v_add_co_u32 v89, s0, v89, 1
	s_delay_alu instid0(VALU_DEP_1) | instskip(SKIP_1) | instid1(VALU_DEP_3)
	v_add_co_ci_u32_e64 v54, s0, 0, v54, s0
	s_waitcnt lgkmcnt(0)
	v_fma_f64 v[84:85], v[57:58], v[55:56], v[84:85]
	s_or_b32 s3, vcc_lo, s3
	s_delay_alu instid0(SALU_CYCLE_1)
	s_and_not1_b32 exec_lo, exec_lo, s3
	s_cbranch_execnz .LBB8_79
; %bb.80:
	s_or_b32 exec_lo, exec_lo, s3
.LBB8_81:
	s_delay_alu instid0(SALU_CYCLE_1)
	s_or_b32 exec_lo, exec_lo, s2
.LBB8_82:
	s_delay_alu instid0(SALU_CYCLE_1)
	s_or_b32 exec_lo, exec_lo, s5
	v_mov_b32_e32 v38, 0
	ds_load_b64 v[38:39], v38 offset:16
	s_waitcnt lgkmcnt(0)
	v_mul_f64 v[38:39], v[84:85], v[38:39]
.LBB8_83:
	s_or_b32 exec_lo, exec_lo, s4
	v_cmp_lt_u32_e64 s0, 1, v0
	ds_store_b64 v86, v[36:37]
	s_waitcnt lgkmcnt(0)
	s_barrier
	buffer_gl0_inv
	s_and_saveexec_b32 s4, s0
	s_cbranch_execz .LBB8_99
; %bb.84:
	s_and_not1_b32 vcc_lo, exec_lo, s9
	s_cbranch_vccnz .LBB8_86
; %bb.85:
	v_cmp_eq_u32_e32 vcc_lo, 1, v0
	v_dual_cndmask_b32 v84, v35, v37 :: v_dual_cndmask_b32 v85, v34, v36
	v_cmp_eq_u32_e32 vcc_lo, 2, v0
	s_delay_alu instid0(VALU_DEP_2) | instskip(SKIP_1) | instid1(VALU_DEP_2)
	v_dual_cndmask_b32 v84, v84, v39 :: v_dual_cndmask_b32 v85, v85, v38
	v_cmp_eq_u32_e32 vcc_lo, 3, v0
	v_dual_cndmask_b32 v84, v84, v41 :: v_dual_cndmask_b32 v85, v85, v40
	v_cmp_eq_u32_e32 vcc_lo, 4, v0
	s_delay_alu instid0(VALU_DEP_2) | instskip(SKIP_1) | instid1(VALU_DEP_2)
	v_dual_cndmask_b32 v84, v84, v43 :: v_dual_cndmask_b32 v85, v85, v42
	v_cmp_eq_u32_e32 vcc_lo, 5, v0
	v_dual_cndmask_b32 v87, v84, v45 :: v_dual_cndmask_b32 v88, v85, v44
	v_cmp_eq_u32_e32 vcc_lo, 6, v0
	ds_load_b64 v[84:85], v86
	v_dual_cndmask_b32 v87, v87, v47 :: v_dual_cndmask_b32 v88, v88, v46
	v_cmp_eq_u32_e32 vcc_lo, 7, v0
	s_delay_alu instid0(VALU_DEP_2) | instskip(NEXT) | instid1(VALU_DEP_3)
	v_cndmask_b32_e32 v87, v87, v49, vcc_lo
	v_cndmask_b32_e32 v89, v88, v48, vcc_lo
	v_cmp_eq_u32_e32 vcc_lo, 8, v0
	s_delay_alu instid0(VALU_DEP_2) | instskip(SKIP_1) | instid1(VALU_DEP_1)
	v_dual_cndmask_b32 v88, v87, v51 :: v_dual_cndmask_b32 v87, v89, v50
	s_waitcnt lgkmcnt(0)
	v_mul_f64 v[84:85], v[87:88], v[84:85]
	s_cbranch_execz .LBB8_87
	s_branch .LBB8_88
.LBB8_86:
                                        ; implicit-def: $vgpr84_vgpr85
.LBB8_87:
	ds_load_b64 v[84:85], v86
.LBB8_88:
	s_and_saveexec_b32 s5, s1
	s_cbranch_execz .LBB8_98
; %bb.89:
	v_dual_mov_b32 v89, 2 :: v_dual_add_nc_u32 v88, -3, v0
	v_add_nc_u32_e32 v87, -2, v0
	s_mov_b32 s1, exec_lo
	s_delay_alu instid0(VALU_DEP_2)
	v_cmpx_lt_u32_e32 6, v88
	s_cbranch_execz .LBB8_93
; %bb.90:
	s_delay_alu instid0(VALU_DEP_2) | instskip(SKIP_3) | instid1(VALU_DEP_1)
	v_and_b32_e32 v88, -8, v87
	s_mov_b32 s6, 0
	s_mov_b64 s[2:3], 9
	s_movk_i32 s7, 0x60
	v_sub_nc_u32_e32 v88, 0, v88
.LBB8_91:                               ; =>This Inner Loop Header: Depth=1
	v_mov_b32_e32 v99, s7
	s_lshl_b32 s8, s2, 1
	s_delay_alu instid0(SALU_CYCLE_1)
	s_add_i32 m0, s8, -13
	v_movrels_b32_e32 v98, v34
	ds_load_b128 v[89:92], v99
	ds_load_b128 v[93:96], v99 offset:16
	s_add_i32 m0, s8, -14
	v_movrels_b32_e32 v97, v34
	s_add_i32 m0, s8, -11
	s_waitcnt lgkmcnt(1)
	s_delay_alu instid0(VALU_DEP_1) | instskip(SKIP_4) | instid1(VALU_DEP_1)
	v_fma_f64 v[84:85], v[97:98], v[89:90], v[84:85]
	v_movrels_b32_e32 v90, v34
	s_add_i32 m0, s8, -12
	v_movrels_b32_e32 v89, v34
	s_add_i32 m0, s8, -9
	v_fma_f64 v[84:85], v[89:90], v[91:92], v[84:85]
	v_movrels_b32_e32 v90, v34
	s_add_i32 m0, s8, -10
	v_movrels_b32_e32 v89, v34
	s_add_i32 m0, s8, -7
	s_waitcnt lgkmcnt(0)
	s_delay_alu instid0(VALU_DEP_1)
	v_fma_f64 v[84:85], v[89:90], v[93:94], v[84:85]
	v_movrels_b32_e32 v90, v34
	s_add_i32 m0, s8, -8
	v_movrels_b32_e32 v89, v34
	s_add_i32 m0, s8, -5
	;; [unrolled: 2-line block ×4, first 2 shown]
	v_fma_f64 v[84:85], v[89:90], v[95:96], v[84:85]
	ds_load_b128 v[89:92], v99 offset:32
	ds_load_b128 v[93:96], v99 offset:48
	s_waitcnt lgkmcnt(1)
	v_fma_f64 v[84:85], v[97:98], v[89:90], v[84:85]
	v_movrels_b32_e32 v90, v34
	s_add_i32 m0, s8, -4
	v_movrels_b32_e32 v89, v34
	s_add_i32 m0, s8, -1
	s_delay_alu instid0(VALU_DEP_1)
	v_fma_f64 v[84:85], v[89:90], v[91:92], v[84:85]
	v_movrels_b32_e32 v90, v34
	s_add_i32 m0, s8, -2
	s_add_u32 s2, s2, 8
	v_movrels_b32_e32 v89, v34
	s_mov_b32 m0, s8
	s_addc_u32 s3, s3, 0
	s_add_i32 s8, s2, -7
	s_add_i32 s7, s7, 64
	s_waitcnt lgkmcnt(0)
	s_delay_alu instid0(VALU_DEP_3) | instskip(SKIP_2) | instid1(VALU_DEP_1)
	v_fma_f64 v[84:85], v[89:90], v[93:94], v[84:85]
	v_movrels_b32_e32 v90, v35
	v_movrels_b32_e32 v89, v34
	v_fma_f64 v[84:85], v[89:90], v[95:96], v[84:85]
	v_add_nc_u32_e32 v89, s2, v88
	s_delay_alu instid0(VALU_DEP_1) | instskip(SKIP_2) | instid1(SALU_CYCLE_1)
	v_cmp_eq_u32_e32 vcc_lo, 9, v89
	v_mov_b32_e32 v89, s8
	s_or_b32 s6, vcc_lo, s6
	s_and_not1_b32 exec_lo, exec_lo, s6
	s_cbranch_execnz .LBB8_91
; %bb.92:
	s_or_b32 exec_lo, exec_lo, s6
.LBB8_93:
	s_delay_alu instid0(SALU_CYCLE_1) | instskip(SKIP_3) | instid1(VALU_DEP_1)
	s_or_b32 exec_lo, exec_lo, s1
	v_and_b32_e32 v52, 7, v87
	s_mov_b32 s3, 0
	s_mov_b32 s2, exec_lo
	v_cmpx_ne_u32_e32 0, v52
	s_cbranch_execz .LBB8_97
; %bb.94:
	v_lshl_add_u32 v53, v89, 3, 0x50
	v_mov_b32_e32 v54, 0
.LBB8_95:                               ; =>This Inner Loop Header: Depth=1
	v_cmp_eq_u32_e32 vcc_lo, 1, v89
	v_cmp_eq_u32_e64 s1, 2, v89
	v_dual_cndmask_b32 v55, v35, v37 :: v_dual_add_nc_u32 v52, -1, v52
	v_cndmask_b32_e32 v56, v34, v36, vcc_lo
	v_cmp_eq_u32_e32 vcc_lo, 3, v89
	s_delay_alu instid0(VALU_DEP_3) | instskip(NEXT) | instid1(VALU_DEP_3)
	v_cndmask_b32_e64 v55, v55, v39, s1
	v_cndmask_b32_e64 v56, v56, v38, s1
	v_cmp_eq_u32_e64 s1, 4, v89
	s_delay_alu instid0(VALU_DEP_2) | instskip(SKIP_1) | instid1(VALU_DEP_2)
	v_dual_cndmask_b32 v55, v55, v41 :: v_dual_cndmask_b32 v56, v56, v40
	v_cmp_eq_u32_e32 vcc_lo, 5, v89
	v_cndmask_b32_e64 v57, v55, v43, s1
	s_delay_alu instid0(VALU_DEP_3)
	v_cndmask_b32_e64 v58, v56, v42, s1
	ds_load_b64 v[55:56], v53
	v_cmp_eq_u32_e64 s1, 6, v89
	v_add_nc_u32_e32 v53, 8, v53
	v_dual_cndmask_b32 v57, v57, v45 :: v_dual_cndmask_b32 v58, v58, v44
	v_cmp_eq_u32_e32 vcc_lo, 7, v89
	s_delay_alu instid0(VALU_DEP_2) | instskip(NEXT) | instid1(VALU_DEP_3)
	v_cndmask_b32_e64 v57, v57, v47, s1
	v_cndmask_b32_e64 v58, v58, v46, s1
	v_cmp_eq_u32_e64 s1, 8, v89
	s_delay_alu instid0(VALU_DEP_3) | instskip(NEXT) | instid1(VALU_DEP_3)
	v_cndmask_b32_e32 v57, v57, v49, vcc_lo
	v_cndmask_b32_e32 v59, v58, v48, vcc_lo
	v_cmp_eq_u32_e32 vcc_lo, 0, v52
	s_delay_alu instid0(VALU_DEP_3) | instskip(NEXT) | instid1(VALU_DEP_3)
	v_cndmask_b32_e64 v58, v57, v51, s1
	v_cndmask_b32_e64 v57, v59, v50, s1
	v_add_co_u32 v89, s1, v89, 1
	s_delay_alu instid0(VALU_DEP_1) | instskip(SKIP_1) | instid1(VALU_DEP_3)
	v_add_co_ci_u32_e64 v54, s1, 0, v54, s1
	s_waitcnt lgkmcnt(0)
	v_fma_f64 v[84:85], v[57:58], v[55:56], v[84:85]
	s_or_b32 s3, vcc_lo, s3
	s_delay_alu instid0(SALU_CYCLE_1)
	s_and_not1_b32 exec_lo, exec_lo, s3
	s_cbranch_execnz .LBB8_95
; %bb.96:
	s_or_b32 exec_lo, exec_lo, s3
.LBB8_97:
	s_delay_alu instid0(SALU_CYCLE_1)
	s_or_b32 exec_lo, exec_lo, s2
.LBB8_98:
	s_delay_alu instid0(SALU_CYCLE_1)
	s_or_b32 exec_lo, exec_lo, s5
	v_mov_b32_e32 v36, 0
	ds_load_b64 v[36:37], v36 offset:8
	s_waitcnt lgkmcnt(0)
	v_mul_f64 v[36:37], v[84:85], v[36:37]
.LBB8_99:
	s_or_b32 exec_lo, exec_lo, s4
	s_mov_b32 s2, 0
	s_mov_b32 s3, exec_lo
	ds_store_b64 v86, v[34:35]
	s_waitcnt lgkmcnt(0)
	s_barrier
	buffer_gl0_inv
	v_cmpx_ne_u32_e32 0, v0
	s_cbranch_execz .LBB8_115
; %bb.100:
	s_and_not1_b32 vcc_lo, exec_lo, s9
	s_cbranch_vccnz .LBB8_102
; %bb.101:
	v_cmp_eq_u32_e32 vcc_lo, 1, v0
	v_dual_cndmask_b32 v84, v35, v37 :: v_dual_cndmask_b32 v85, v34, v36
	v_cmp_eq_u32_e32 vcc_lo, 2, v0
	s_delay_alu instid0(VALU_DEP_2) | instskip(SKIP_1) | instid1(VALU_DEP_2)
	v_dual_cndmask_b32 v84, v84, v39 :: v_dual_cndmask_b32 v85, v85, v38
	v_cmp_eq_u32_e32 vcc_lo, 3, v0
	v_dual_cndmask_b32 v84, v84, v41 :: v_dual_cndmask_b32 v85, v85, v40
	v_cmp_eq_u32_e32 vcc_lo, 4, v0
	s_delay_alu instid0(VALU_DEP_2) | instskip(SKIP_1) | instid1(VALU_DEP_2)
	v_dual_cndmask_b32 v84, v84, v43 :: v_dual_cndmask_b32 v85, v85, v42
	v_cmp_eq_u32_e32 vcc_lo, 5, v0
	v_dual_cndmask_b32 v87, v84, v45 :: v_dual_cndmask_b32 v88, v85, v44
	v_cmp_eq_u32_e32 vcc_lo, 6, v0
	ds_load_b64 v[84:85], v86
	v_dual_cndmask_b32 v87, v87, v47 :: v_dual_cndmask_b32 v88, v88, v46
	v_cmp_eq_u32_e32 vcc_lo, 7, v0
	s_delay_alu instid0(VALU_DEP_2) | instskip(NEXT) | instid1(VALU_DEP_3)
	v_cndmask_b32_e32 v87, v87, v49, vcc_lo
	v_cndmask_b32_e32 v89, v88, v48, vcc_lo
	v_cmp_eq_u32_e32 vcc_lo, 8, v0
	s_delay_alu instid0(VALU_DEP_2) | instskip(SKIP_1) | instid1(VALU_DEP_1)
	v_dual_cndmask_b32 v88, v87, v51 :: v_dual_cndmask_b32 v87, v89, v50
	s_waitcnt lgkmcnt(0)
	v_mul_f64 v[84:85], v[87:88], v[84:85]
	s_cbranch_execz .LBB8_103
	s_branch .LBB8_104
.LBB8_102:
                                        ; implicit-def: $vgpr84_vgpr85
.LBB8_103:
	ds_load_b64 v[84:85], v86
.LBB8_104:
	s_and_saveexec_b32 s4, s0
	s_cbranch_execz .LBB8_114
; %bb.105:
	v_dual_mov_b32 v89, 1 :: v_dual_add_nc_u32 v88, -2, v0
	v_add_nc_u32_e32 v87, -1, v0
	s_mov_b32 s5, exec_lo
	s_delay_alu instid0(VALU_DEP_2)
	v_cmpx_lt_u32_e32 6, v88
	s_cbranch_execz .LBB8_109
; %bb.106:
	s_delay_alu instid0(VALU_DEP_2) | instskip(SKIP_3) | instid1(VALU_DEP_1)
	v_and_b32_e32 v88, -8, v87
	s_mov_b32 s6, 0
	s_mov_b64 s[0:1], 8
	s_movk_i32 s7, 0x58
	v_sub_nc_u32_e32 v88, 0, v88
.LBB8_107:                              ; =>This Inner Loop Header: Depth=1
	v_mov_b32_e32 v99, s7
	s_lshl_b32 s8, s0, 1
	s_delay_alu instid0(SALU_CYCLE_1)
	s_add_i32 m0, s8, -13
	v_movrels_b32_e32 v98, v34
	ds_load_2addr_b64 v[89:92], v99 offset1:1
	ds_load_2addr_b64 v[93:96], v99 offset0:2 offset1:3
	s_add_i32 m0, s8, -14
	v_movrels_b32_e32 v97, v34
	s_add_i32 m0, s8, -11
	s_waitcnt lgkmcnt(1)
	s_delay_alu instid0(VALU_DEP_1) | instskip(SKIP_4) | instid1(VALU_DEP_1)
	v_fma_f64 v[84:85], v[97:98], v[89:90], v[84:85]
	v_movrels_b32_e32 v90, v34
	s_add_i32 m0, s8, -12
	v_movrels_b32_e32 v89, v34
	s_add_i32 m0, s8, -9
	v_fma_f64 v[84:85], v[89:90], v[91:92], v[84:85]
	v_movrels_b32_e32 v90, v34
	s_add_i32 m0, s8, -10
	v_movrels_b32_e32 v89, v34
	s_add_i32 m0, s8, -7
	s_waitcnt lgkmcnt(0)
	s_delay_alu instid0(VALU_DEP_1)
	v_fma_f64 v[84:85], v[89:90], v[93:94], v[84:85]
	v_movrels_b32_e32 v90, v34
	s_add_i32 m0, s8, -8
	v_movrels_b32_e32 v89, v34
	s_add_i32 m0, s8, -5
	;; [unrolled: 2-line block ×4, first 2 shown]
	v_fma_f64 v[84:85], v[89:90], v[95:96], v[84:85]
	ds_load_2addr_b64 v[89:92], v99 offset0:4 offset1:5
	ds_load_2addr_b64 v[93:96], v99 offset0:6 offset1:7
	s_waitcnt lgkmcnt(1)
	v_fma_f64 v[84:85], v[97:98], v[89:90], v[84:85]
	v_movrels_b32_e32 v90, v34
	s_add_i32 m0, s8, -4
	v_movrels_b32_e32 v89, v34
	s_add_i32 m0, s8, -1
	s_delay_alu instid0(VALU_DEP_1)
	v_fma_f64 v[84:85], v[89:90], v[91:92], v[84:85]
	v_movrels_b32_e32 v90, v34
	s_add_i32 m0, s8, -2
	s_add_u32 s0, s0, 8
	v_movrels_b32_e32 v89, v34
	s_mov_b32 m0, s8
	s_addc_u32 s1, s1, 0
	s_add_i32 s8, s0, -7
	s_add_i32 s7, s7, 64
	s_waitcnt lgkmcnt(0)
	s_delay_alu instid0(VALU_DEP_3) | instskip(SKIP_2) | instid1(VALU_DEP_1)
	v_fma_f64 v[84:85], v[89:90], v[93:94], v[84:85]
	v_movrels_b32_e32 v90, v35
	v_movrels_b32_e32 v89, v34
	v_fma_f64 v[84:85], v[89:90], v[95:96], v[84:85]
	v_add_nc_u32_e32 v89, s0, v88
	s_delay_alu instid0(VALU_DEP_1) | instskip(SKIP_2) | instid1(SALU_CYCLE_1)
	v_cmp_eq_u32_e32 vcc_lo, 8, v89
	v_mov_b32_e32 v89, s8
	s_or_b32 s6, vcc_lo, s6
	s_and_not1_b32 exec_lo, exec_lo, s6
	s_cbranch_execnz .LBB8_107
; %bb.108:
	s_or_b32 exec_lo, exec_lo, s6
.LBB8_109:
	s_delay_alu instid0(SALU_CYCLE_1) | instskip(SKIP_3) | instid1(VALU_DEP_1)
	s_or_b32 exec_lo, exec_lo, s5
	v_and_b32_e32 v52, 7, v87
	s_mov_b32 s5, 0
	s_mov_b32 s1, exec_lo
	v_cmpx_ne_u32_e32 0, v52
	s_cbranch_execz .LBB8_113
; %bb.110:
	v_lshl_add_u32 v53, v89, 3, 0x50
	v_mov_b32_e32 v54, 0
.LBB8_111:                              ; =>This Inner Loop Header: Depth=1
	v_cmp_eq_u32_e32 vcc_lo, 1, v89
	v_cmp_eq_u32_e64 s0, 2, v89
	v_dual_cndmask_b32 v55, v35, v37 :: v_dual_add_nc_u32 v52, -1, v52
	v_cndmask_b32_e32 v56, v34, v36, vcc_lo
	v_cmp_eq_u32_e32 vcc_lo, 3, v89
	s_delay_alu instid0(VALU_DEP_3) | instskip(NEXT) | instid1(VALU_DEP_3)
	v_cndmask_b32_e64 v55, v55, v39, s0
	v_cndmask_b32_e64 v56, v56, v38, s0
	v_cmp_eq_u32_e64 s0, 4, v89
	s_delay_alu instid0(VALU_DEP_2) | instskip(SKIP_1) | instid1(VALU_DEP_2)
	v_dual_cndmask_b32 v55, v55, v41 :: v_dual_cndmask_b32 v56, v56, v40
	v_cmp_eq_u32_e32 vcc_lo, 5, v89
	v_cndmask_b32_e64 v57, v55, v43, s0
	s_delay_alu instid0(VALU_DEP_3)
	v_cndmask_b32_e64 v58, v56, v42, s0
	ds_load_b64 v[55:56], v53
	v_cmp_eq_u32_e64 s0, 6, v89
	v_add_nc_u32_e32 v53, 8, v53
	v_dual_cndmask_b32 v57, v57, v45 :: v_dual_cndmask_b32 v58, v58, v44
	v_cmp_eq_u32_e32 vcc_lo, 7, v89
	s_delay_alu instid0(VALU_DEP_2) | instskip(NEXT) | instid1(VALU_DEP_3)
	v_cndmask_b32_e64 v57, v57, v47, s0
	v_cndmask_b32_e64 v58, v58, v46, s0
	v_cmp_eq_u32_e64 s0, 8, v89
	s_delay_alu instid0(VALU_DEP_3) | instskip(NEXT) | instid1(VALU_DEP_3)
	v_cndmask_b32_e32 v57, v57, v49, vcc_lo
	v_cndmask_b32_e32 v59, v58, v48, vcc_lo
	v_cmp_eq_u32_e32 vcc_lo, 0, v52
	s_delay_alu instid0(VALU_DEP_3) | instskip(NEXT) | instid1(VALU_DEP_3)
	v_cndmask_b32_e64 v58, v57, v51, s0
	v_cndmask_b32_e64 v57, v59, v50, s0
	v_add_co_u32 v89, s0, v89, 1
	s_delay_alu instid0(VALU_DEP_1) | instskip(SKIP_1) | instid1(VALU_DEP_3)
	v_add_co_ci_u32_e64 v54, s0, 0, v54, s0
	s_waitcnt lgkmcnt(0)
	v_fma_f64 v[84:85], v[57:58], v[55:56], v[84:85]
	s_or_b32 s5, vcc_lo, s5
	s_delay_alu instid0(SALU_CYCLE_1)
	s_and_not1_b32 exec_lo, exec_lo, s5
	s_cbranch_execnz .LBB8_111
; %bb.112:
	s_or_b32 exec_lo, exec_lo, s5
.LBB8_113:
	s_delay_alu instid0(SALU_CYCLE_1)
	s_or_b32 exec_lo, exec_lo, s1
.LBB8_114:
	s_delay_alu instid0(SALU_CYCLE_1)
	s_or_b32 exec_lo, exec_lo, s4
	v_mov_b32_e32 v34, 0
	ds_load_b64 v[34:35], v34
	s_waitcnt lgkmcnt(0)
	v_mul_f64 v[34:35], v[84:85], v[34:35]
.LBB8_115:
	s_or_b32 exec_lo, exec_lo, s3
	s_delay_alu instid0(SALU_CYCLE_1)
	s_and_b32 vcc_lo, exec_lo, s2
	s_cbranch_vccz .LBB8_191
.LBB8_116:
	v_cmp_eq_u32_e64 s0, 0, v0
	s_waitcnt vmcnt(7)
	ds_store_b64 v86, v[4:5]
	s_waitcnt vmcnt(0) lgkmcnt(0)
	s_barrier
	buffer_gl0_inv
	s_and_saveexec_b32 s1, s0
	s_cbranch_execz .LBB8_122
; %bb.117:
	s_and_b32 vcc_lo, exec_lo, s9
	s_cbranch_vccz .LBB8_119
; %bb.118:
	v_cmp_eq_u32_e32 vcc_lo, 1, v0
	v_dual_cndmask_b32 v5, v3, v5 :: v_dual_cndmask_b32 v4, v2, v4
	v_cmp_eq_u32_e32 vcc_lo, 2, v0
	s_delay_alu instid0(VALU_DEP_2) | instskip(SKIP_1) | instid1(VALU_DEP_2)
	v_dual_cndmask_b32 v5, v5, v7 :: v_dual_cndmask_b32 v4, v4, v6
	v_cmp_eq_u32_e32 vcc_lo, 3, v0
	v_dual_cndmask_b32 v5, v5, v9 :: v_dual_cndmask_b32 v4, v4, v8
	v_cmp_eq_u32_e32 vcc_lo, 4, v0
	s_delay_alu instid0(VALU_DEP_2) | instskip(SKIP_1) | instid1(VALU_DEP_2)
	v_dual_cndmask_b32 v5, v5, v11 :: v_dual_cndmask_b32 v4, v4, v10
	v_cmp_eq_u32_e32 vcc_lo, 5, v0
	v_dual_cndmask_b32 v20, v5, v13 :: v_dual_cndmask_b32 v21, v4, v12
	v_cmp_eq_u32_e32 vcc_lo, 6, v0
	ds_load_b64 v[4:5], v86
	v_dual_cndmask_b32 v20, v20, v15 :: v_dual_cndmask_b32 v21, v21, v14
	v_cmp_eq_u32_e32 vcc_lo, 7, v0
	s_delay_alu instid0(VALU_DEP_2) | instskip(NEXT) | instid1(VALU_DEP_3)
	v_cndmask_b32_e32 v20, v20, v17, vcc_lo
	v_cndmask_b32_e32 v22, v21, v16, vcc_lo
	v_cmp_eq_u32_e32 vcc_lo, 8, v0
	s_delay_alu instid0(VALU_DEP_2) | instskip(SKIP_1) | instid1(VALU_DEP_1)
	v_dual_cndmask_b32 v21, v20, v19 :: v_dual_cndmask_b32 v20, v22, v18
	s_waitcnt lgkmcnt(0)
	v_mul_f64 v[4:5], v[20:21], v[4:5]
	s_cbranch_execz .LBB8_120
	s_branch .LBB8_121
.LBB8_119:
                                        ; implicit-def: $vgpr4_vgpr5
.LBB8_120:
	ds_load_b64 v[4:5], v86
.LBB8_121:
	v_mov_b32_e32 v20, 0
	ds_load_b64 v[20:21], v20 offset:8
	s_waitcnt lgkmcnt(0)
	v_mul_f64 v[4:5], v[4:5], v[20:21]
.LBB8_122:
	s_or_b32 exec_lo, exec_lo, s1
	v_add_nc_u32_e32 v35, 1, v0
	v_cndmask_b32_e64 v34, 0, 1, s9
	s_mov_b32 s1, exec_lo
	ds_store_b64 v86, v[6:7]
	s_waitcnt lgkmcnt(0)
	s_barrier
	buffer_gl0_inv
	v_cmpx_gt_u32_e32 2, v0
	s_cbranch_execz .LBB8_130
; %bb.123:
	s_and_not1_b32 vcc_lo, exec_lo, s9
	s_cbranch_vccnz .LBB8_125
; %bb.124:
	v_cmp_eq_u32_e32 vcc_lo, 1, v0
	v_dual_cndmask_b32 v20, v3, v5 :: v_dual_cndmask_b32 v21, v2, v4
	v_cmp_eq_u32_e32 vcc_lo, 2, v0
	s_delay_alu instid0(VALU_DEP_2) | instskip(SKIP_1) | instid1(VALU_DEP_2)
	v_dual_cndmask_b32 v20, v20, v7 :: v_dual_cndmask_b32 v21, v21, v6
	v_cmp_eq_u32_e32 vcc_lo, 3, v0
	v_dual_cndmask_b32 v20, v20, v9 :: v_dual_cndmask_b32 v21, v21, v8
	v_cmp_eq_u32_e32 vcc_lo, 4, v0
	s_delay_alu instid0(VALU_DEP_2) | instskip(SKIP_1) | instid1(VALU_DEP_2)
	v_dual_cndmask_b32 v20, v20, v11 :: v_dual_cndmask_b32 v21, v21, v10
	v_cmp_eq_u32_e32 vcc_lo, 5, v0
	v_dual_cndmask_b32 v22, v20, v13 :: v_dual_cndmask_b32 v23, v21, v12
	v_cmp_eq_u32_e32 vcc_lo, 6, v0
	ds_load_b64 v[20:21], v86
	v_dual_cndmask_b32 v22, v22, v15 :: v_dual_cndmask_b32 v23, v23, v14
	v_cmp_eq_u32_e32 vcc_lo, 7, v0
	s_delay_alu instid0(VALU_DEP_2) | instskip(NEXT) | instid1(VALU_DEP_3)
	v_cndmask_b32_e32 v22, v22, v17, vcc_lo
	v_cndmask_b32_e32 v24, v23, v16, vcc_lo
	v_cmp_eq_u32_e32 vcc_lo, 8, v0
	s_delay_alu instid0(VALU_DEP_2) | instskip(SKIP_1) | instid1(VALU_DEP_1)
	v_dual_cndmask_b32 v23, v22, v19 :: v_dual_cndmask_b32 v22, v24, v18
	s_waitcnt lgkmcnt(0)
	v_mul_f64 v[20:21], v[22:23], v[20:21]
	s_cbranch_execz .LBB8_126
	s_branch .LBB8_127
.LBB8_125:
                                        ; implicit-def: $vgpr20_vgpr21
.LBB8_126:
	ds_load_b64 v[20:21], v86
.LBB8_127:
	s_and_saveexec_b32 s2, s0
	s_cbranch_execz .LBB8_129
; %bb.128:
	v_cmp_eq_u32_e32 vcc_lo, 1, v35
	v_dual_cndmask_b32 v22, v3, v5 :: v_dual_cndmask_b32 v23, v2, v4
	v_cmp_eq_u32_e32 vcc_lo, 2, v35
	s_delay_alu instid0(VALU_DEP_2) | instskip(SKIP_1) | instid1(VALU_DEP_2)
	v_dual_cndmask_b32 v7, v22, v7 :: v_dual_cndmask_b32 v6, v23, v6
	v_cmp_eq_u32_e32 vcc_lo, 3, v35
	v_dual_cndmask_b32 v7, v7, v9 :: v_dual_cndmask_b32 v6, v6, v8
	v_cmp_eq_u32_e32 vcc_lo, 4, v35
	s_delay_alu instid0(VALU_DEP_2) | instskip(SKIP_1) | instid1(VALU_DEP_2)
	v_dual_cndmask_b32 v7, v7, v11 :: v_dual_cndmask_b32 v6, v6, v10
	v_cmp_eq_u32_e32 vcc_lo, 5, v35
	v_dual_cndmask_b32 v22, v7, v13 :: v_dual_cndmask_b32 v23, v6, v12
	v_cmp_eq_u32_e32 vcc_lo, 6, v35
	ds_load_b64 v[6:7], v86 offset:8
	v_dual_cndmask_b32 v22, v22, v15 :: v_dual_cndmask_b32 v23, v23, v14
	v_cmp_eq_u32_e32 vcc_lo, 7, v35
	s_delay_alu instid0(VALU_DEP_2) | instskip(NEXT) | instid1(VALU_DEP_3)
	v_cndmask_b32_e32 v22, v22, v17, vcc_lo
	v_cndmask_b32_e32 v24, v23, v16, vcc_lo
	v_cmp_eq_u32_e32 vcc_lo, 8, v35
	s_delay_alu instid0(VALU_DEP_2) | instskip(SKIP_1) | instid1(VALU_DEP_1)
	v_dual_cndmask_b32 v23, v22, v19 :: v_dual_cndmask_b32 v22, v24, v18
	s_waitcnt lgkmcnt(0)
	v_fma_f64 v[20:21], v[22:23], v[6:7], v[20:21]
.LBB8_129:
	s_or_b32 exec_lo, exec_lo, s2
	v_mov_b32_e32 v6, 0
	ds_load_b64 v[6:7], v6 offset:16
	s_waitcnt lgkmcnt(0)
	v_mul_f64 v[6:7], v[20:21], v[6:7]
.LBB8_130:
	s_or_b32 exec_lo, exec_lo, s1
	s_delay_alu instid0(SALU_CYCLE_1)
	s_mov_b32 s1, exec_lo
	ds_store_b64 v86, v[8:9]
	s_waitcnt lgkmcnt(0)
	s_barrier
	buffer_gl0_inv
	v_cmpx_gt_u32_e32 3, v0
	s_cbranch_execz .LBB8_140
; %bb.131:
	v_cmp_ne_u32_e32 vcc_lo, 1, v34
	s_cbranch_vccnz .LBB8_133
; %bb.132:
	v_cmp_eq_u32_e32 vcc_lo, 1, v0
	v_dual_cndmask_b32 v20, v3, v5 :: v_dual_cndmask_b32 v21, v2, v4
	v_cmp_eq_u32_e32 vcc_lo, 2, v0
	s_delay_alu instid0(VALU_DEP_2) | instskip(SKIP_1) | instid1(VALU_DEP_2)
	v_dual_cndmask_b32 v20, v20, v7 :: v_dual_cndmask_b32 v21, v21, v6
	v_cmp_eq_u32_e32 vcc_lo, 3, v0
	v_dual_cndmask_b32 v20, v20, v9 :: v_dual_cndmask_b32 v21, v21, v8
	v_cmp_eq_u32_e32 vcc_lo, 4, v0
	s_delay_alu instid0(VALU_DEP_2) | instskip(SKIP_1) | instid1(VALU_DEP_2)
	v_dual_cndmask_b32 v20, v20, v11 :: v_dual_cndmask_b32 v21, v21, v10
	v_cmp_eq_u32_e32 vcc_lo, 5, v0
	v_dual_cndmask_b32 v22, v20, v13 :: v_dual_cndmask_b32 v23, v21, v12
	v_cmp_eq_u32_e32 vcc_lo, 6, v0
	ds_load_b64 v[20:21], v86
	v_dual_cndmask_b32 v22, v22, v15 :: v_dual_cndmask_b32 v23, v23, v14
	v_cmp_eq_u32_e32 vcc_lo, 7, v0
	s_delay_alu instid0(VALU_DEP_2) | instskip(NEXT) | instid1(VALU_DEP_3)
	v_cndmask_b32_e32 v22, v22, v17, vcc_lo
	v_cndmask_b32_e32 v24, v23, v16, vcc_lo
	v_cmp_eq_u32_e32 vcc_lo, 8, v0
	s_delay_alu instid0(VALU_DEP_2) | instskip(SKIP_1) | instid1(VALU_DEP_1)
	v_dual_cndmask_b32 v23, v22, v19 :: v_dual_cndmask_b32 v22, v24, v18
	s_waitcnt lgkmcnt(0)
	v_mul_f64 v[20:21], v[22:23], v[20:21]
	s_cbranch_execz .LBB8_134
	s_branch .LBB8_135
.LBB8_133:
                                        ; implicit-def: $vgpr20_vgpr21
.LBB8_134:
	ds_load_b64 v[20:21], v86
.LBB8_135:
	s_mov_b32 s2, exec_lo
	v_cmpx_ne_u32_e32 2, v0
	s_cbranch_execz .LBB8_139
; %bb.136:
	v_cmp_eq_u32_e32 vcc_lo, 1, v35
	v_dual_cndmask_b32 v22, v3, v5 :: v_dual_cndmask_b32 v23, v2, v4
	v_cmp_eq_u32_e32 vcc_lo, 2, v35
	s_delay_alu instid0(VALU_DEP_2) | instskip(SKIP_1) | instid1(VALU_DEP_2)
	v_dual_cndmask_b32 v22, v22, v7 :: v_dual_cndmask_b32 v23, v23, v6
	v_cmp_eq_u32_e32 vcc_lo, 3, v35
	v_dual_cndmask_b32 v9, v22, v9 :: v_dual_cndmask_b32 v8, v23, v8
	v_cmp_eq_u32_e32 vcc_lo, 4, v35
	s_delay_alu instid0(VALU_DEP_2) | instskip(SKIP_1) | instid1(VALU_DEP_2)
	v_dual_cndmask_b32 v9, v9, v11 :: v_dual_cndmask_b32 v8, v8, v10
	v_cmp_eq_u32_e32 vcc_lo, 5, v35
	v_dual_cndmask_b32 v22, v9, v13 :: v_dual_cndmask_b32 v23, v8, v12
	v_cmp_eq_u32_e32 vcc_lo, 6, v35
	ds_load_b64 v[8:9], v86 offset:8
	v_dual_cndmask_b32 v22, v22, v15 :: v_dual_cndmask_b32 v23, v23, v14
	v_cmp_eq_u32_e32 vcc_lo, 7, v35
	s_delay_alu instid0(VALU_DEP_2) | instskip(NEXT) | instid1(VALU_DEP_3)
	v_cndmask_b32_e32 v22, v22, v17, vcc_lo
	v_cndmask_b32_e32 v24, v23, v16, vcc_lo
	v_cmp_eq_u32_e32 vcc_lo, 8, v35
	s_delay_alu instid0(VALU_DEP_2) | instskip(SKIP_1) | instid1(VALU_DEP_1)
	v_dual_cndmask_b32 v23, v22, v19 :: v_dual_cndmask_b32 v22, v24, v18
	s_waitcnt lgkmcnt(0)
	v_fma_f64 v[20:21], v[22:23], v[8:9], v[20:21]
	s_and_saveexec_b32 s3, s0
	s_cbranch_execz .LBB8_138
; %bb.137:
	v_mov_b32_e32 v8, 0
	ds_load_b64 v[8:9], v8 offset:96
	s_waitcnt lgkmcnt(0)
	v_fma_f64 v[20:21], v[6:7], v[8:9], v[20:21]
.LBB8_138:
	s_or_b32 exec_lo, exec_lo, s3
.LBB8_139:
	s_delay_alu instid0(SALU_CYCLE_1)
	s_or_b32 exec_lo, exec_lo, s2
	v_mov_b32_e32 v8, 0
	ds_load_b64 v[8:9], v8 offset:24
	s_waitcnt lgkmcnt(0)
	v_mul_f64 v[8:9], v[20:21], v[8:9]
.LBB8_140:
	s_or_b32 exec_lo, exec_lo, s1
	s_delay_alu instid0(SALU_CYCLE_1)
	s_mov_b32 s1, exec_lo
	ds_store_b64 v86, v[10:11]
	s_waitcnt lgkmcnt(0)
	s_barrier
	buffer_gl0_inv
	v_cmpx_gt_u32_e32 4, v0
	s_cbranch_execz .LBB8_150
; %bb.141:
	v_cmp_ne_u32_e32 vcc_lo, 1, v34
	s_cbranch_vccnz .LBB8_143
; %bb.142:
	v_cmp_eq_u32_e32 vcc_lo, 1, v0
	v_dual_cndmask_b32 v20, v3, v5 :: v_dual_cndmask_b32 v21, v2, v4
	v_cmp_eq_u32_e32 vcc_lo, 2, v0
	s_delay_alu instid0(VALU_DEP_2) | instskip(SKIP_1) | instid1(VALU_DEP_2)
	v_dual_cndmask_b32 v20, v20, v7 :: v_dual_cndmask_b32 v21, v21, v6
	v_cmp_eq_u32_e32 vcc_lo, 3, v0
	v_dual_cndmask_b32 v20, v20, v9 :: v_dual_cndmask_b32 v21, v21, v8
	v_cmp_eq_u32_e32 vcc_lo, 4, v0
	s_delay_alu instid0(VALU_DEP_2) | instskip(SKIP_1) | instid1(VALU_DEP_2)
	v_dual_cndmask_b32 v20, v20, v11 :: v_dual_cndmask_b32 v21, v21, v10
	v_cmp_eq_u32_e32 vcc_lo, 5, v0
	v_dual_cndmask_b32 v22, v20, v13 :: v_dual_cndmask_b32 v23, v21, v12
	v_cmp_eq_u32_e32 vcc_lo, 6, v0
	ds_load_b64 v[20:21], v86
	v_dual_cndmask_b32 v22, v22, v15 :: v_dual_cndmask_b32 v23, v23, v14
	v_cmp_eq_u32_e32 vcc_lo, 7, v0
	s_delay_alu instid0(VALU_DEP_2) | instskip(NEXT) | instid1(VALU_DEP_3)
	v_cndmask_b32_e32 v22, v22, v17, vcc_lo
	v_cndmask_b32_e32 v24, v23, v16, vcc_lo
	v_cmp_eq_u32_e32 vcc_lo, 8, v0
	s_delay_alu instid0(VALU_DEP_2) | instskip(SKIP_1) | instid1(VALU_DEP_1)
	v_dual_cndmask_b32 v23, v22, v19 :: v_dual_cndmask_b32 v22, v24, v18
	s_waitcnt lgkmcnt(0)
	v_mul_f64 v[20:21], v[22:23], v[20:21]
	s_cbranch_execz .LBB8_144
	s_branch .LBB8_145
.LBB8_143:
                                        ; implicit-def: $vgpr20_vgpr21
.LBB8_144:
	ds_load_b64 v[20:21], v86
.LBB8_145:
	s_mov_b32 s2, exec_lo
	v_cmpx_ne_u32_e32 3, v0
	s_cbranch_execz .LBB8_149
; %bb.146:
	v_lshl_add_u32 v24, v0, 3, 0x58
	v_dual_mov_b32 v23, v1 :: v_dual_mov_b32 v22, v0
	s_mov_b32 s3, 0
	s_set_inst_prefetch_distance 0x1
	.p2align	6
.LBB8_147:                              ; =>This Inner Loop Header: Depth=1
	s_delay_alu instid0(VALU_DEP_1) | instskip(NEXT) | instid1(VALU_DEP_2)
	v_add_co_u32 v22, vcc_lo, v22, 1
	v_add_co_ci_u32_e32 v23, vcc_lo, 0, v23, vcc_lo
	s_delay_alu instid0(VALU_DEP_2) | instskip(SKIP_3) | instid1(VALU_DEP_2)
	v_cmp_eq_u32_e32 vcc_lo, 1, v22
	v_cmp_eq_u32_e64 s0, 2, v22
	v_dual_cndmask_b32 v25, v3, v5 :: v_dual_cndmask_b32 v26, v2, v4
	v_cmp_eq_u32_e32 vcc_lo, 3, v22
	v_cndmask_b32_e64 v25, v25, v7, s0
	s_delay_alu instid0(VALU_DEP_3) | instskip(SKIP_1) | instid1(VALU_DEP_2)
	v_cndmask_b32_e64 v26, v26, v6, s0
	v_cmp_eq_u32_e64 s0, 4, v22
	v_dual_cndmask_b32 v25, v25, v9 :: v_dual_cndmask_b32 v26, v26, v8
	v_cmp_eq_u32_e32 vcc_lo, 5, v22
	s_delay_alu instid0(VALU_DEP_2) | instskip(NEXT) | instid1(VALU_DEP_3)
	v_cndmask_b32_e64 v27, v25, v11, s0
	v_cndmask_b32_e64 v28, v26, v10, s0
	ds_load_b64 v[25:26], v24
	v_cmp_eq_u32_e64 s0, 6, v22
	v_dual_cndmask_b32 v27, v27, v13 :: v_dual_add_nc_u32 v24, 8, v24
	v_cndmask_b32_e32 v28, v28, v12, vcc_lo
	v_cmp_eq_u32_e32 vcc_lo, 7, v22
	s_delay_alu instid0(VALU_DEP_3) | instskip(NEXT) | instid1(VALU_DEP_3)
	v_cndmask_b32_e64 v27, v27, v15, s0
	v_cndmask_b32_e64 v28, v28, v14, s0
	v_cmp_eq_u32_e64 s0, 8, v22
	s_delay_alu instid0(VALU_DEP_3) | instskip(NEXT) | instid1(VALU_DEP_3)
	v_cndmask_b32_e32 v27, v27, v17, vcc_lo
	v_cndmask_b32_e32 v29, v28, v16, vcc_lo
	v_cmp_lt_u32_e32 vcc_lo, 2, v22
	s_delay_alu instid0(VALU_DEP_3) | instskip(NEXT) | instid1(VALU_DEP_3)
	v_cndmask_b32_e64 v28, v27, v19, s0
	v_cndmask_b32_e64 v27, v29, v18, s0
	s_or_b32 s3, vcc_lo, s3
	s_waitcnt lgkmcnt(0)
	s_delay_alu instid0(VALU_DEP_1)
	v_fma_f64 v[20:21], v[27:28], v[25:26], v[20:21]
	s_and_not1_b32 exec_lo, exec_lo, s3
	s_cbranch_execnz .LBB8_147
; %bb.148:
	s_set_inst_prefetch_distance 0x2
	s_or_b32 exec_lo, exec_lo, s3
.LBB8_149:
	s_delay_alu instid0(SALU_CYCLE_1)
	s_or_b32 exec_lo, exec_lo, s2
	v_mov_b32_e32 v10, 0
	ds_load_b64 v[10:11], v10 offset:32
	s_waitcnt lgkmcnt(0)
	v_mul_f64 v[10:11], v[20:21], v[10:11]
.LBB8_150:
	s_or_b32 exec_lo, exec_lo, s1
	s_delay_alu instid0(SALU_CYCLE_1)
	s_mov_b32 s1, exec_lo
	ds_store_b64 v86, v[12:13]
	s_waitcnt lgkmcnt(0)
	s_barrier
	buffer_gl0_inv
	v_cmpx_gt_u32_e32 5, v0
	s_cbranch_execz .LBB8_160
; %bb.151:
	v_cmp_ne_u32_e32 vcc_lo, 1, v34
	s_cbranch_vccnz .LBB8_153
; %bb.152:
	v_cmp_eq_u32_e32 vcc_lo, 1, v0
	v_dual_cndmask_b32 v20, v3, v5 :: v_dual_cndmask_b32 v21, v2, v4
	v_cmp_eq_u32_e32 vcc_lo, 2, v0
	s_delay_alu instid0(VALU_DEP_2) | instskip(SKIP_1) | instid1(VALU_DEP_2)
	v_dual_cndmask_b32 v20, v20, v7 :: v_dual_cndmask_b32 v21, v21, v6
	v_cmp_eq_u32_e32 vcc_lo, 3, v0
	v_dual_cndmask_b32 v20, v20, v9 :: v_dual_cndmask_b32 v21, v21, v8
	v_cmp_eq_u32_e32 vcc_lo, 4, v0
	s_delay_alu instid0(VALU_DEP_2) | instskip(SKIP_1) | instid1(VALU_DEP_2)
	v_dual_cndmask_b32 v20, v20, v11 :: v_dual_cndmask_b32 v21, v21, v10
	v_cmp_eq_u32_e32 vcc_lo, 5, v0
	v_dual_cndmask_b32 v22, v20, v13 :: v_dual_cndmask_b32 v23, v21, v12
	v_cmp_eq_u32_e32 vcc_lo, 6, v0
	ds_load_b64 v[20:21], v86
	v_dual_cndmask_b32 v22, v22, v15 :: v_dual_cndmask_b32 v23, v23, v14
	v_cmp_eq_u32_e32 vcc_lo, 7, v0
	s_delay_alu instid0(VALU_DEP_2) | instskip(NEXT) | instid1(VALU_DEP_3)
	v_cndmask_b32_e32 v22, v22, v17, vcc_lo
	v_cndmask_b32_e32 v24, v23, v16, vcc_lo
	v_cmp_eq_u32_e32 vcc_lo, 8, v0
	s_delay_alu instid0(VALU_DEP_2) | instskip(SKIP_1) | instid1(VALU_DEP_1)
	v_dual_cndmask_b32 v23, v22, v19 :: v_dual_cndmask_b32 v22, v24, v18
	s_waitcnt lgkmcnt(0)
	v_mul_f64 v[20:21], v[22:23], v[20:21]
	s_cbranch_execz .LBB8_154
	s_branch .LBB8_155
.LBB8_153:
                                        ; implicit-def: $vgpr20_vgpr21
.LBB8_154:
	ds_load_b64 v[20:21], v86
.LBB8_155:
	s_mov_b32 s2, exec_lo
	v_cmpx_ne_u32_e32 4, v0
	s_cbranch_execz .LBB8_159
; %bb.156:
	v_lshl_add_u32 v24, v0, 3, 0x58
	v_dual_mov_b32 v23, v1 :: v_dual_mov_b32 v22, v0
	s_mov_b32 s3, 0
	s_set_inst_prefetch_distance 0x1
	.p2align	6
.LBB8_157:                              ; =>This Inner Loop Header: Depth=1
	s_delay_alu instid0(VALU_DEP_1) | instskip(NEXT) | instid1(VALU_DEP_2)
	v_add_co_u32 v22, vcc_lo, v22, 1
	v_add_co_ci_u32_e32 v23, vcc_lo, 0, v23, vcc_lo
	s_delay_alu instid0(VALU_DEP_2) | instskip(SKIP_3) | instid1(VALU_DEP_2)
	v_cmp_eq_u32_e32 vcc_lo, 1, v22
	v_cmp_eq_u32_e64 s0, 2, v22
	v_dual_cndmask_b32 v25, v3, v5 :: v_dual_cndmask_b32 v26, v2, v4
	v_cmp_eq_u32_e32 vcc_lo, 3, v22
	v_cndmask_b32_e64 v25, v25, v7, s0
	s_delay_alu instid0(VALU_DEP_3) | instskip(SKIP_1) | instid1(VALU_DEP_2)
	v_cndmask_b32_e64 v26, v26, v6, s0
	v_cmp_eq_u32_e64 s0, 4, v22
	v_dual_cndmask_b32 v25, v25, v9 :: v_dual_cndmask_b32 v26, v26, v8
	v_cmp_eq_u32_e32 vcc_lo, 5, v22
	s_delay_alu instid0(VALU_DEP_2) | instskip(NEXT) | instid1(VALU_DEP_3)
	v_cndmask_b32_e64 v27, v25, v11, s0
	v_cndmask_b32_e64 v28, v26, v10, s0
	ds_load_b64 v[25:26], v24
	v_cmp_eq_u32_e64 s0, 6, v22
	v_dual_cndmask_b32 v27, v27, v13 :: v_dual_add_nc_u32 v24, 8, v24
	v_cndmask_b32_e32 v28, v28, v12, vcc_lo
	v_cmp_eq_u32_e32 vcc_lo, 7, v22
	s_delay_alu instid0(VALU_DEP_3) | instskip(NEXT) | instid1(VALU_DEP_3)
	v_cndmask_b32_e64 v27, v27, v15, s0
	v_cndmask_b32_e64 v28, v28, v14, s0
	v_cmp_eq_u32_e64 s0, 8, v22
	s_delay_alu instid0(VALU_DEP_3) | instskip(NEXT) | instid1(VALU_DEP_3)
	v_cndmask_b32_e32 v27, v27, v17, vcc_lo
	v_cndmask_b32_e32 v29, v28, v16, vcc_lo
	v_cmp_lt_u32_e32 vcc_lo, 3, v22
	s_delay_alu instid0(VALU_DEP_3) | instskip(NEXT) | instid1(VALU_DEP_3)
	v_cndmask_b32_e64 v28, v27, v19, s0
	v_cndmask_b32_e64 v27, v29, v18, s0
	s_or_b32 s3, vcc_lo, s3
	s_waitcnt lgkmcnt(0)
	s_delay_alu instid0(VALU_DEP_1)
	v_fma_f64 v[20:21], v[27:28], v[25:26], v[20:21]
	s_and_not1_b32 exec_lo, exec_lo, s3
	s_cbranch_execnz .LBB8_157
; %bb.158:
	s_set_inst_prefetch_distance 0x2
	s_or_b32 exec_lo, exec_lo, s3
.LBB8_159:
	s_delay_alu instid0(SALU_CYCLE_1)
	s_or_b32 exec_lo, exec_lo, s2
	v_mov_b32_e32 v12, 0
	ds_load_b64 v[12:13], v12 offset:40
	s_waitcnt lgkmcnt(0)
	v_mul_f64 v[12:13], v[20:21], v[12:13]
.LBB8_160:
	s_or_b32 exec_lo, exec_lo, s1
	s_delay_alu instid0(SALU_CYCLE_1)
	s_mov_b32 s1, exec_lo
	ds_store_b64 v86, v[14:15]
	s_waitcnt lgkmcnt(0)
	s_barrier
	buffer_gl0_inv
	v_cmpx_gt_u32_e32 6, v0
	s_cbranch_execz .LBB8_170
; %bb.161:
	v_cmp_ne_u32_e32 vcc_lo, 1, v34
	s_cbranch_vccnz .LBB8_163
; %bb.162:
	v_cmp_eq_u32_e32 vcc_lo, 1, v0
	v_dual_cndmask_b32 v20, v3, v5 :: v_dual_cndmask_b32 v21, v2, v4
	v_cmp_eq_u32_e32 vcc_lo, 2, v0
	s_delay_alu instid0(VALU_DEP_2) | instskip(SKIP_1) | instid1(VALU_DEP_2)
	v_dual_cndmask_b32 v20, v20, v7 :: v_dual_cndmask_b32 v21, v21, v6
	v_cmp_eq_u32_e32 vcc_lo, 3, v0
	v_dual_cndmask_b32 v20, v20, v9 :: v_dual_cndmask_b32 v21, v21, v8
	v_cmp_eq_u32_e32 vcc_lo, 4, v0
	s_delay_alu instid0(VALU_DEP_2) | instskip(SKIP_1) | instid1(VALU_DEP_2)
	v_dual_cndmask_b32 v20, v20, v11 :: v_dual_cndmask_b32 v21, v21, v10
	v_cmp_eq_u32_e32 vcc_lo, 5, v0
	v_dual_cndmask_b32 v22, v20, v13 :: v_dual_cndmask_b32 v23, v21, v12
	v_cmp_eq_u32_e32 vcc_lo, 6, v0
	ds_load_b64 v[20:21], v86
	v_dual_cndmask_b32 v22, v22, v15 :: v_dual_cndmask_b32 v23, v23, v14
	v_cmp_eq_u32_e32 vcc_lo, 7, v0
	s_delay_alu instid0(VALU_DEP_2) | instskip(NEXT) | instid1(VALU_DEP_3)
	v_cndmask_b32_e32 v22, v22, v17, vcc_lo
	v_cndmask_b32_e32 v24, v23, v16, vcc_lo
	v_cmp_eq_u32_e32 vcc_lo, 8, v0
	s_delay_alu instid0(VALU_DEP_2) | instskip(SKIP_1) | instid1(VALU_DEP_1)
	v_dual_cndmask_b32 v23, v22, v19 :: v_dual_cndmask_b32 v22, v24, v18
	s_waitcnt lgkmcnt(0)
	v_mul_f64 v[20:21], v[22:23], v[20:21]
	s_cbranch_execz .LBB8_164
	s_branch .LBB8_165
.LBB8_163:
                                        ; implicit-def: $vgpr20_vgpr21
.LBB8_164:
	ds_load_b64 v[20:21], v86
.LBB8_165:
	s_mov_b32 s2, exec_lo
	v_cmpx_ne_u32_e32 5, v0
	s_cbranch_execz .LBB8_169
; %bb.166:
	v_lshl_add_u32 v24, v0, 3, 0x58
	v_dual_mov_b32 v23, v1 :: v_dual_mov_b32 v22, v0
	s_mov_b32 s3, 0
	s_set_inst_prefetch_distance 0x1
	.p2align	6
.LBB8_167:                              ; =>This Inner Loop Header: Depth=1
	s_delay_alu instid0(VALU_DEP_1) | instskip(NEXT) | instid1(VALU_DEP_2)
	v_add_co_u32 v22, vcc_lo, v22, 1
	v_add_co_ci_u32_e32 v23, vcc_lo, 0, v23, vcc_lo
	s_delay_alu instid0(VALU_DEP_2) | instskip(SKIP_3) | instid1(VALU_DEP_2)
	v_cmp_eq_u32_e32 vcc_lo, 1, v22
	v_cmp_eq_u32_e64 s0, 2, v22
	v_dual_cndmask_b32 v25, v3, v5 :: v_dual_cndmask_b32 v26, v2, v4
	v_cmp_eq_u32_e32 vcc_lo, 3, v22
	v_cndmask_b32_e64 v25, v25, v7, s0
	s_delay_alu instid0(VALU_DEP_3) | instskip(SKIP_1) | instid1(VALU_DEP_2)
	v_cndmask_b32_e64 v26, v26, v6, s0
	v_cmp_eq_u32_e64 s0, 4, v22
	v_dual_cndmask_b32 v25, v25, v9 :: v_dual_cndmask_b32 v26, v26, v8
	v_cmp_eq_u32_e32 vcc_lo, 5, v22
	s_delay_alu instid0(VALU_DEP_2) | instskip(NEXT) | instid1(VALU_DEP_3)
	v_cndmask_b32_e64 v27, v25, v11, s0
	v_cndmask_b32_e64 v28, v26, v10, s0
	ds_load_b64 v[25:26], v24
	v_cmp_eq_u32_e64 s0, 6, v22
	v_dual_cndmask_b32 v27, v27, v13 :: v_dual_add_nc_u32 v24, 8, v24
	v_cndmask_b32_e32 v28, v28, v12, vcc_lo
	v_cmp_eq_u32_e32 vcc_lo, 7, v22
	s_delay_alu instid0(VALU_DEP_3) | instskip(NEXT) | instid1(VALU_DEP_3)
	v_cndmask_b32_e64 v27, v27, v15, s0
	v_cndmask_b32_e64 v28, v28, v14, s0
	v_cmp_eq_u32_e64 s0, 8, v22
	s_delay_alu instid0(VALU_DEP_3) | instskip(NEXT) | instid1(VALU_DEP_3)
	v_cndmask_b32_e32 v27, v27, v17, vcc_lo
	v_cndmask_b32_e32 v29, v28, v16, vcc_lo
	v_cmp_lt_u32_e32 vcc_lo, 4, v22
	s_delay_alu instid0(VALU_DEP_3) | instskip(NEXT) | instid1(VALU_DEP_3)
	v_cndmask_b32_e64 v28, v27, v19, s0
	v_cndmask_b32_e64 v27, v29, v18, s0
	s_or_b32 s3, vcc_lo, s3
	s_waitcnt lgkmcnt(0)
	s_delay_alu instid0(VALU_DEP_1)
	v_fma_f64 v[20:21], v[27:28], v[25:26], v[20:21]
	s_and_not1_b32 exec_lo, exec_lo, s3
	s_cbranch_execnz .LBB8_167
; %bb.168:
	s_set_inst_prefetch_distance 0x2
	s_or_b32 exec_lo, exec_lo, s3
.LBB8_169:
	s_delay_alu instid0(SALU_CYCLE_1)
	s_or_b32 exec_lo, exec_lo, s2
	v_mov_b32_e32 v14, 0
	ds_load_b64 v[14:15], v14 offset:48
	s_waitcnt lgkmcnt(0)
	v_mul_f64 v[14:15], v[20:21], v[14:15]
.LBB8_170:
	s_or_b32 exec_lo, exec_lo, s1
	v_cmp_gt_u32_e64 s0, 7, v0
	ds_store_b64 v86, v[16:17]
	s_waitcnt lgkmcnt(0)
	s_barrier
	buffer_gl0_inv
	s_and_saveexec_b32 s2, s0
	s_cbranch_execz .LBB8_180
; %bb.171:
	v_cmp_ne_u32_e32 vcc_lo, 1, v34
	s_cbranch_vccnz .LBB8_173
; %bb.172:
	v_cmp_eq_u32_e32 vcc_lo, 1, v0
	v_dual_cndmask_b32 v20, v3, v5 :: v_dual_cndmask_b32 v21, v2, v4
	v_cmp_eq_u32_e32 vcc_lo, 2, v0
	s_delay_alu instid0(VALU_DEP_2) | instskip(SKIP_1) | instid1(VALU_DEP_2)
	v_dual_cndmask_b32 v20, v20, v7 :: v_dual_cndmask_b32 v21, v21, v6
	v_cmp_eq_u32_e32 vcc_lo, 3, v0
	v_dual_cndmask_b32 v20, v20, v9 :: v_dual_cndmask_b32 v21, v21, v8
	v_cmp_eq_u32_e32 vcc_lo, 4, v0
	s_delay_alu instid0(VALU_DEP_2) | instskip(SKIP_1) | instid1(VALU_DEP_2)
	v_dual_cndmask_b32 v20, v20, v11 :: v_dual_cndmask_b32 v21, v21, v10
	v_cmp_eq_u32_e32 vcc_lo, 5, v0
	v_dual_cndmask_b32 v22, v20, v13 :: v_dual_cndmask_b32 v23, v21, v12
	v_cmp_eq_u32_e32 vcc_lo, 6, v0
	ds_load_b64 v[20:21], v86
	v_dual_cndmask_b32 v22, v22, v15 :: v_dual_cndmask_b32 v23, v23, v14
	v_cmp_eq_u32_e32 vcc_lo, 7, v0
	s_delay_alu instid0(VALU_DEP_2) | instskip(NEXT) | instid1(VALU_DEP_3)
	v_cndmask_b32_e32 v22, v22, v17, vcc_lo
	v_cndmask_b32_e32 v24, v23, v16, vcc_lo
	v_cmp_eq_u32_e32 vcc_lo, 8, v0
	s_delay_alu instid0(VALU_DEP_2) | instskip(SKIP_1) | instid1(VALU_DEP_1)
	v_dual_cndmask_b32 v23, v22, v19 :: v_dual_cndmask_b32 v22, v24, v18
	s_waitcnt lgkmcnt(0)
	v_mul_f64 v[20:21], v[22:23], v[20:21]
	s_cbranch_execz .LBB8_174
	s_branch .LBB8_175
.LBB8_173:
                                        ; implicit-def: $vgpr20_vgpr21
.LBB8_174:
	ds_load_b64 v[20:21], v86
.LBB8_175:
	s_mov_b32 s3, exec_lo
	v_cmpx_ne_u32_e32 6, v0
	s_cbranch_execz .LBB8_179
; %bb.176:
	v_lshl_add_u32 v24, v0, 3, 0x58
	v_dual_mov_b32 v23, v1 :: v_dual_mov_b32 v22, v0
	s_mov_b32 s4, 0
	s_set_inst_prefetch_distance 0x1
	.p2align	6
.LBB8_177:                              ; =>This Inner Loop Header: Depth=1
	s_delay_alu instid0(VALU_DEP_1) | instskip(NEXT) | instid1(VALU_DEP_2)
	v_add_co_u32 v22, vcc_lo, v22, 1
	v_add_co_ci_u32_e32 v23, vcc_lo, 0, v23, vcc_lo
	s_delay_alu instid0(VALU_DEP_2) | instskip(SKIP_3) | instid1(VALU_DEP_2)
	v_cmp_eq_u32_e32 vcc_lo, 1, v22
	v_cmp_eq_u32_e64 s1, 2, v22
	v_dual_cndmask_b32 v25, v3, v5 :: v_dual_cndmask_b32 v26, v2, v4
	v_cmp_eq_u32_e32 vcc_lo, 3, v22
	v_cndmask_b32_e64 v25, v25, v7, s1
	s_delay_alu instid0(VALU_DEP_3) | instskip(SKIP_1) | instid1(VALU_DEP_2)
	v_cndmask_b32_e64 v26, v26, v6, s1
	v_cmp_eq_u32_e64 s1, 4, v22
	v_dual_cndmask_b32 v25, v25, v9 :: v_dual_cndmask_b32 v26, v26, v8
	v_cmp_eq_u32_e32 vcc_lo, 5, v22
	s_delay_alu instid0(VALU_DEP_2) | instskip(NEXT) | instid1(VALU_DEP_3)
	v_cndmask_b32_e64 v27, v25, v11, s1
	v_cndmask_b32_e64 v28, v26, v10, s1
	ds_load_b64 v[25:26], v24
	v_cmp_eq_u32_e64 s1, 6, v22
	v_dual_cndmask_b32 v27, v27, v13 :: v_dual_add_nc_u32 v24, 8, v24
	v_cndmask_b32_e32 v28, v28, v12, vcc_lo
	v_cmp_eq_u32_e32 vcc_lo, 7, v22
	s_delay_alu instid0(VALU_DEP_3) | instskip(NEXT) | instid1(VALU_DEP_3)
	v_cndmask_b32_e64 v27, v27, v15, s1
	v_cndmask_b32_e64 v28, v28, v14, s1
	v_cmp_eq_u32_e64 s1, 8, v22
	s_delay_alu instid0(VALU_DEP_3) | instskip(NEXT) | instid1(VALU_DEP_3)
	v_cndmask_b32_e32 v27, v27, v17, vcc_lo
	v_cndmask_b32_e32 v29, v28, v16, vcc_lo
	v_cmp_lt_u32_e32 vcc_lo, 5, v22
	s_delay_alu instid0(VALU_DEP_3) | instskip(NEXT) | instid1(VALU_DEP_3)
	v_cndmask_b32_e64 v28, v27, v19, s1
	v_cndmask_b32_e64 v27, v29, v18, s1
	s_or_b32 s4, vcc_lo, s4
	s_waitcnt lgkmcnt(0)
	s_delay_alu instid0(VALU_DEP_1)
	v_fma_f64 v[20:21], v[27:28], v[25:26], v[20:21]
	s_and_not1_b32 exec_lo, exec_lo, s4
	s_cbranch_execnz .LBB8_177
; %bb.178:
	s_set_inst_prefetch_distance 0x2
	s_or_b32 exec_lo, exec_lo, s4
.LBB8_179:
	s_delay_alu instid0(SALU_CYCLE_1)
	s_or_b32 exec_lo, exec_lo, s3
	v_mov_b32_e32 v16, 0
	ds_load_b64 v[16:17], v16 offset:56
	s_waitcnt lgkmcnt(0)
	v_mul_f64 v[16:17], v[20:21], v[16:17]
.LBB8_180:
	s_or_b32 exec_lo, exec_lo, s2
	s_delay_alu instid0(SALU_CYCLE_1)
	s_mov_b32 s1, exec_lo
	ds_store_b64 v86, v[18:19]
	s_waitcnt lgkmcnt(0)
	s_barrier
	buffer_gl0_inv
	v_cmpx_ne_u32_e32 8, v0
	s_cbranch_execz .LBB8_190
; %bb.181:
	v_cmp_ne_u32_e32 vcc_lo, 1, v34
	s_cbranch_vccnz .LBB8_183
; %bb.182:
	v_cmp_eq_u32_e32 vcc_lo, 1, v0
	v_dual_cndmask_b32 v20, v3, v5 :: v_dual_cndmask_b32 v21, v2, v4
	v_cmp_eq_u32_e32 vcc_lo, 2, v0
	s_delay_alu instid0(VALU_DEP_2) | instskip(SKIP_1) | instid1(VALU_DEP_2)
	v_dual_cndmask_b32 v20, v20, v7 :: v_dual_cndmask_b32 v21, v21, v6
	v_cmp_eq_u32_e32 vcc_lo, 3, v0
	v_dual_cndmask_b32 v20, v20, v9 :: v_dual_cndmask_b32 v21, v21, v8
	v_cmp_eq_u32_e32 vcc_lo, 4, v0
	s_delay_alu instid0(VALU_DEP_2) | instskip(SKIP_1) | instid1(VALU_DEP_2)
	v_dual_cndmask_b32 v20, v20, v11 :: v_dual_cndmask_b32 v21, v21, v10
	v_cmp_eq_u32_e32 vcc_lo, 5, v0
	v_dual_cndmask_b32 v22, v20, v13 :: v_dual_cndmask_b32 v23, v21, v12
	v_cmp_eq_u32_e32 vcc_lo, 6, v0
	ds_load_b64 v[20:21], v86
	v_dual_cndmask_b32 v22, v22, v15 :: v_dual_cndmask_b32 v23, v23, v14
	v_cmp_eq_u32_e32 vcc_lo, 7, v0
	s_delay_alu instid0(VALU_DEP_2) | instskip(NEXT) | instid1(VALU_DEP_3)
	v_cndmask_b32_e32 v22, v22, v17, vcc_lo
	v_cndmask_b32_e32 v24, v23, v16, vcc_lo
	v_cmp_eq_u32_e32 vcc_lo, 8, v0
	s_delay_alu instid0(VALU_DEP_2) | instskip(SKIP_1) | instid1(VALU_DEP_1)
	v_dual_cndmask_b32 v23, v22, v19 :: v_dual_cndmask_b32 v22, v24, v18
	s_waitcnt lgkmcnt(0)
	v_mul_f64 v[20:21], v[22:23], v[20:21]
	s_cbranch_execz .LBB8_184
	s_branch .LBB8_185
.LBB8_183:
                                        ; implicit-def: $vgpr20_vgpr21
.LBB8_184:
	ds_load_b64 v[20:21], v86
.LBB8_185:
	s_and_saveexec_b32 s2, s0
	s_cbranch_execz .LBB8_189
; %bb.186:
	v_lshl_add_u32 v22, v0, 3, 0x58
	s_mov_b32 s3, 0
	s_set_inst_prefetch_distance 0x1
	.p2align	6
.LBB8_187:                              ; =>This Inner Loop Header: Depth=1
	v_add_co_u32 v0, vcc_lo, v0, 1
	v_add_co_ci_u32_e32 v1, vcc_lo, 0, v1, vcc_lo
	s_delay_alu instid0(VALU_DEP_2) | instskip(SKIP_3) | instid1(VALU_DEP_2)
	v_cmp_eq_u32_e32 vcc_lo, 1, v0
	v_cmp_eq_u32_e64 s0, 2, v0
	v_dual_cndmask_b32 v23, v3, v5 :: v_dual_cndmask_b32 v24, v2, v4
	v_cmp_eq_u32_e32 vcc_lo, 3, v0
	v_cndmask_b32_e64 v23, v23, v7, s0
	s_delay_alu instid0(VALU_DEP_3) | instskip(SKIP_1) | instid1(VALU_DEP_2)
	v_cndmask_b32_e64 v24, v24, v6, s0
	v_cmp_eq_u32_e64 s0, 4, v0
	v_dual_cndmask_b32 v23, v23, v9 :: v_dual_cndmask_b32 v24, v24, v8
	v_cmp_eq_u32_e32 vcc_lo, 5, v0
	s_delay_alu instid0(VALU_DEP_2) | instskip(NEXT) | instid1(VALU_DEP_3)
	v_cndmask_b32_e64 v25, v23, v11, s0
	v_cndmask_b32_e64 v26, v24, v10, s0
	ds_load_b64 v[23:24], v22
	v_cmp_eq_u32_e64 s0, 6, v0
	v_dual_cndmask_b32 v25, v25, v13 :: v_dual_add_nc_u32 v22, 8, v22
	v_cndmask_b32_e32 v26, v26, v12, vcc_lo
	v_cmp_eq_u32_e32 vcc_lo, 7, v0
	s_delay_alu instid0(VALU_DEP_3) | instskip(NEXT) | instid1(VALU_DEP_3)
	v_cndmask_b32_e64 v25, v25, v15, s0
	v_cndmask_b32_e64 v26, v26, v14, s0
	v_cmp_eq_u32_e64 s0, 8, v0
	s_delay_alu instid0(VALU_DEP_3) | instskip(NEXT) | instid1(VALU_DEP_3)
	v_cndmask_b32_e32 v25, v25, v17, vcc_lo
	v_cndmask_b32_e32 v27, v26, v16, vcc_lo
	v_cmp_lt_u32_e32 vcc_lo, 6, v0
	s_delay_alu instid0(VALU_DEP_3) | instskip(NEXT) | instid1(VALU_DEP_3)
	v_cndmask_b32_e64 v26, v25, v19, s0
	v_cndmask_b32_e64 v25, v27, v18, s0
	s_or_b32 s3, vcc_lo, s3
	s_waitcnt lgkmcnt(0)
	s_delay_alu instid0(VALU_DEP_1)
	v_fma_f64 v[20:21], v[25:26], v[23:24], v[20:21]
	s_and_not1_b32 exec_lo, exec_lo, s3
	s_cbranch_execnz .LBB8_187
; %bb.188:
	s_set_inst_prefetch_distance 0x2
	s_or_b32 exec_lo, exec_lo, s3
.LBB8_189:
	s_delay_alu instid0(SALU_CYCLE_1)
	s_or_b32 exec_lo, exec_lo, s2
	v_mov_b32_e32 v0, 0
	ds_load_b64 v[0:1], v0 offset:64
	s_waitcnt lgkmcnt(0)
	v_mul_f64 v[18:19], v[20:21], v[0:1]
.LBB8_190:
	s_or_b32 exec_lo, exec_lo, s1
	v_dual_mov_b32 v65, v33 :: v_dual_mov_b32 v64, v32
	v_dual_mov_b32 v63, v31 :: v_dual_mov_b32 v62, v30
	;; [unrolled: 1-line block ×16, first 2 shown]
.LBB8_191:
	s_clause 0x8
	global_store_b64 v[66:67], v[34:35], off
	global_store_b64 v[70:71], v[36:37], off
	;; [unrolled: 1-line block ×9, first 2 shown]
.LBB8_192:
	s_nop 0
	s_sendmsg sendmsg(MSG_DEALLOC_VGPRS)
	s_endpgm
	.section	.rodata,"a",@progbits
	.p2align	6, 0x0
	.amdhsa_kernel _ZN9rocsolver6v33100L18trti2_kernel_smallILi9EdPdEEv13rocblas_fill_17rocblas_diagonal_T1_iil
		.amdhsa_group_segment_fixed_size 152
		.amdhsa_private_segment_fixed_size 0
		.amdhsa_kernarg_size 32
		.amdhsa_user_sgpr_count 15
		.amdhsa_user_sgpr_dispatch_ptr 0
		.amdhsa_user_sgpr_queue_ptr 0
		.amdhsa_user_sgpr_kernarg_segment_ptr 1
		.amdhsa_user_sgpr_dispatch_id 0
		.amdhsa_user_sgpr_private_segment_size 0
		.amdhsa_wavefront_size32 1
		.amdhsa_uses_dynamic_stack 0
		.amdhsa_enable_private_segment 0
		.amdhsa_system_sgpr_workgroup_id_x 1
		.amdhsa_system_sgpr_workgroup_id_y 0
		.amdhsa_system_sgpr_workgroup_id_z 0
		.amdhsa_system_sgpr_workgroup_info 0
		.amdhsa_system_vgpr_workitem_id 0
		.amdhsa_next_free_vgpr 100
		.amdhsa_next_free_sgpr 24
		.amdhsa_reserve_vcc 1
		.amdhsa_float_round_mode_32 0
		.amdhsa_float_round_mode_16_64 0
		.amdhsa_float_denorm_mode_32 3
		.amdhsa_float_denorm_mode_16_64 3
		.amdhsa_dx10_clamp 1
		.amdhsa_ieee_mode 1
		.amdhsa_fp16_overflow 0
		.amdhsa_workgroup_processor_mode 1
		.amdhsa_memory_ordered 1
		.amdhsa_forward_progress 0
		.amdhsa_shared_vgpr_count 0
		.amdhsa_exception_fp_ieee_invalid_op 0
		.amdhsa_exception_fp_denorm_src 0
		.amdhsa_exception_fp_ieee_div_zero 0
		.amdhsa_exception_fp_ieee_overflow 0
		.amdhsa_exception_fp_ieee_underflow 0
		.amdhsa_exception_fp_ieee_inexact 0
		.amdhsa_exception_int_div_zero 0
	.end_amdhsa_kernel
	.section	.text._ZN9rocsolver6v33100L18trti2_kernel_smallILi9EdPdEEv13rocblas_fill_17rocblas_diagonal_T1_iil,"axG",@progbits,_ZN9rocsolver6v33100L18trti2_kernel_smallILi9EdPdEEv13rocblas_fill_17rocblas_diagonal_T1_iil,comdat
.Lfunc_end8:
	.size	_ZN9rocsolver6v33100L18trti2_kernel_smallILi9EdPdEEv13rocblas_fill_17rocblas_diagonal_T1_iil, .Lfunc_end8-_ZN9rocsolver6v33100L18trti2_kernel_smallILi9EdPdEEv13rocblas_fill_17rocblas_diagonal_T1_iil
                                        ; -- End function
	.section	.AMDGPU.csdata,"",@progbits
; Kernel info:
; codeLenInByte = 10876
; NumSgprs: 26
; NumVgprs: 100
; ScratchSize: 0
; MemoryBound: 0
; FloatMode: 240
; IeeeMode: 1
; LDSByteSize: 152 bytes/workgroup (compile time only)
; SGPRBlocks: 3
; VGPRBlocks: 12
; NumSGPRsForWavesPerEU: 26
; NumVGPRsForWavesPerEU: 100
; Occupancy: 12
; WaveLimiterHint : 0
; COMPUTE_PGM_RSRC2:SCRATCH_EN: 0
; COMPUTE_PGM_RSRC2:USER_SGPR: 15
; COMPUTE_PGM_RSRC2:TRAP_HANDLER: 0
; COMPUTE_PGM_RSRC2:TGID_X_EN: 1
; COMPUTE_PGM_RSRC2:TGID_Y_EN: 0
; COMPUTE_PGM_RSRC2:TGID_Z_EN: 0
; COMPUTE_PGM_RSRC2:TIDIG_COMP_CNT: 0
	.section	.text._ZN9rocsolver6v33100L18trti2_kernel_smallILi10EdPdEEv13rocblas_fill_17rocblas_diagonal_T1_iil,"axG",@progbits,_ZN9rocsolver6v33100L18trti2_kernel_smallILi10EdPdEEv13rocblas_fill_17rocblas_diagonal_T1_iil,comdat
	.globl	_ZN9rocsolver6v33100L18trti2_kernel_smallILi10EdPdEEv13rocblas_fill_17rocblas_diagonal_T1_iil ; -- Begin function _ZN9rocsolver6v33100L18trti2_kernel_smallILi10EdPdEEv13rocblas_fill_17rocblas_diagonal_T1_iil
	.p2align	8
	.type	_ZN9rocsolver6v33100L18trti2_kernel_smallILi10EdPdEEv13rocblas_fill_17rocblas_diagonal_T1_iil,@function
_ZN9rocsolver6v33100L18trti2_kernel_smallILi10EdPdEEv13rocblas_fill_17rocblas_diagonal_T1_iil: ; @_ZN9rocsolver6v33100L18trti2_kernel_smallILi10EdPdEEv13rocblas_fill_17rocblas_diagonal_T1_iil
; %bb.0:
	s_mov_b32 s2, exec_lo
	v_cmpx_gt_u32_e32 10, v0
	s_cbranch_execz .LBB9_230
; %bb.1:
	s_load_b256 s[16:23], s[0:1], 0x0
	s_ashr_i32 s2, s15, 31
	v_lshlrev_b32_e32 v36, 3, v0
	v_mov_b32_e32 v34, 0
	v_mov_b32_e32 v35, 0xbff00000
	s_waitcnt lgkmcnt(0)
	v_add3_u32 v1, s21, s21, v0
	s_mul_i32 s3, s15, s23
	s_mul_hi_u32 s4, s15, s22
	s_mul_i32 s5, s2, s22
	s_add_i32 s3, s4, s3
	v_add_nc_u32_e32 v3, s21, v1
	v_ashrrev_i32_e32 v2, 31, v1
	s_mul_i32 s2, s15, s22
	s_add_i32 s3, s3, s5
	s_ashr_i32 s1, s20, 31
	v_add_nc_u32_e32 v5, s21, v3
	s_lshl_b64 s[2:3], s[2:3], 3
	s_mov_b32 s0, s20
	v_lshlrev_b64 v[1:2], 3, v[1:2]
	s_add_u32 s2, s18, s2
	s_addc_u32 s3, s19, s3
	s_lshl_b64 s[0:1], s[0:1], 3
	v_ashrrev_i32_e32 v6, 31, v5
	v_ashrrev_i32_e32 v4, 31, v3
	s_add_u32 s0, s2, s0
	s_addc_u32 s1, s3, s1
	v_add_co_u32 v66, vcc_lo, s0, v1
	v_add_co_u32 v68, s2, s0, v36
	s_mov_b32 s4, s21
	s_ashr_i32 s5, s21, 31
	v_add_co_ci_u32_e32 v67, vcc_lo, s1, v2, vcc_lo
	v_lshlrev_b64 v[1:2], 3, v[5:6]
	v_add_nc_u32_e32 v5, s21, v5
	v_add_co_ci_u32_e64 v69, null, s1, 0, s2
	v_lshlrev_b64 v[3:4], 3, v[3:4]
	s_lshl_b64 s[2:3], s[4:5], 3
	s_delay_alu instid0(VALU_DEP_3) | instskip(SKIP_2) | instid1(VALU_DEP_4)
	v_add_nc_u32_e32 v12, s21, v5
	v_add_co_u32 v70, vcc_lo, v68, s2
	v_add_co_ci_u32_e32 v71, vcc_lo, s3, v69, vcc_lo
	v_add_co_u32 v72, vcc_lo, s0, v3
	v_ashrrev_i32_e32 v6, 31, v5
	v_add_co_ci_u32_e32 v73, vcc_lo, s1, v4, vcc_lo
	v_add_co_u32 v74, vcc_lo, s0, v1
	v_add_nc_u32_e32 v14, s21, v12
	v_add_co_ci_u32_e32 v75, vcc_lo, s1, v2, vcc_lo
	v_lshlrev_b64 v[1:2], 3, v[5:6]
	v_ashrrev_i32_e32 v13, 31, v12
	s_delay_alu instid0(VALU_DEP_4)
	v_ashrrev_i32_e32 v15, 31, v14
	v_add_nc_u32_e32 v16, s21, v14
	s_clause 0x3
	global_load_b64 v[4:5], v[70:71], off
	global_load_b64 v[6:7], v[66:67], off
	;; [unrolled: 1-line block ×4, first 2 shown]
	s_cmpk_lg_i32 s17, 0x84
	v_add_co_u32 v76, vcc_lo, s0, v1
	v_lshlrev_b64 v[12:13], 3, v[12:13]
	v_add_co_ci_u32_e32 v77, vcc_lo, s1, v2, vcc_lo
	v_lshlrev_b64 v[1:2], 3, v[14:15]
	v_add_nc_u32_e32 v14, s21, v16
	v_ashrrev_i32_e32 v17, 31, v16
	v_add_co_u32 v84, vcc_lo, s0, v12
	v_add_co_ci_u32_e32 v85, vcc_lo, s1, v13, vcc_lo
	s_delay_alu instid0(VALU_DEP_4) | instskip(NEXT) | instid1(VALU_DEP_4)
	v_ashrrev_i32_e32 v15, 31, v14
	v_lshlrev_b64 v[12:13], 3, v[16:17]
	v_add_co_u32 v80, vcc_lo, s0, v1
	v_add_co_ci_u32_e32 v81, vcc_lo, s1, v2, vcc_lo
	s_delay_alu instid0(VALU_DEP_4) | instskip(NEXT) | instid1(VALU_DEP_4)
	v_lshlrev_b64 v[1:2], 3, v[14:15]
	v_add_co_u32 v82, vcc_lo, s0, v12
	v_add_co_ci_u32_e32 v83, vcc_lo, s1, v13, vcc_lo
	s_cselect_b32 s10, -1, 0
	s_delay_alu instid0(VALU_DEP_3) | instskip(NEXT) | instid1(VALU_DEP_4)
	v_add_co_u32 v78, vcc_lo, s0, v1
	v_add_co_ci_u32_e32 v79, vcc_lo, s1, v2, vcc_lo
	v_mov_b32_e32 v1, 0
	s_clause 0x5
	global_load_b64 v[12:13], v[76:77], off
	global_load_b64 v[14:15], v[84:85], off
	;; [unrolled: 1-line block ×4, first 2 shown]
	global_load_b64 v[2:3], v36, s[0:1]
	global_load_b64 v[20:21], v[78:79], off
	v_cmp_eq_u32_e64 s0, 0, v0
	s_cmpk_eq_i32 s17, 0x84
	s_cbranch_scc1 .LBB9_3
; %bb.2:
	v_cmp_eq_u32_e64 s1, 1, v0
	v_cmp_eq_u32_e64 s2, 2, v0
	;; [unrolled: 1-line block ×5, first 2 shown]
	s_waitcnt vmcnt(1)
	v_cndmask_b32_e64 v22, v3, v5, s1
	v_cndmask_b32_e64 v23, v2, v4, s1
	v_cmp_eq_u32_e64 s6, 6, v0
	v_cmp_eq_u32_e64 s7, 7, v0
	;; [unrolled: 1-line block ×3, first 2 shown]
	v_cndmask_b32_e64 v22, v22, v7, s2
	v_cndmask_b32_e64 v23, v23, v6, s2
	v_cmp_eq_u32_e64 s9, 9, v0
	s_delay_alu instid0(VALU_DEP_3) | instskip(NEXT) | instid1(VALU_DEP_3)
	v_cndmask_b32_e64 v22, v22, v9, s3
	v_cndmask_b32_e64 v23, v23, v8, s3
	s_delay_alu instid0(VALU_DEP_2) | instskip(NEXT) | instid1(VALU_DEP_2)
	v_cndmask_b32_e64 v22, v22, v11, s4
	v_cndmask_b32_e64 v23, v23, v10, s4
	s_delay_alu instid0(VALU_DEP_2) | instskip(NEXT) | instid1(VALU_DEP_2)
	;; [unrolled: 3-line block ×5, first 2 shown]
	v_cndmask_b32_e64 v22, v22, v19, s8
	v_cndmask_b32_e64 v24, v23, v18, s8
	s_waitcnt vmcnt(0)
	s_delay_alu instid0(VALU_DEP_2) | instskip(NEXT) | instid1(VALU_DEP_2)
	v_cndmask_b32_e64 v23, v22, v21, s9
	v_cndmask_b32_e64 v22, v24, v20, s9
	s_delay_alu instid0(VALU_DEP_1) | instskip(SKIP_1) | instid1(VALU_DEP_2)
	v_div_scale_f64 v[24:25], null, v[22:23], v[22:23], 1.0
	v_div_scale_f64 v[30:31], vcc_lo, 1.0, v[22:23], 1.0
	v_rcp_f64_e32 v[26:27], v[24:25]
	s_waitcnt_depctr 0xfff
	v_fma_f64 v[28:29], -v[24:25], v[26:27], 1.0
	s_delay_alu instid0(VALU_DEP_1) | instskip(NEXT) | instid1(VALU_DEP_1)
	v_fma_f64 v[26:27], v[26:27], v[28:29], v[26:27]
	v_fma_f64 v[28:29], -v[24:25], v[26:27], 1.0
	s_delay_alu instid0(VALU_DEP_1) | instskip(NEXT) | instid1(VALU_DEP_1)
	v_fma_f64 v[26:27], v[26:27], v[28:29], v[26:27]
	v_mul_f64 v[28:29], v[30:31], v[26:27]
	s_delay_alu instid0(VALU_DEP_1) | instskip(NEXT) | instid1(VALU_DEP_1)
	v_fma_f64 v[24:25], -v[24:25], v[28:29], v[30:31]
	v_div_fmas_f64 v[24:25], v[24:25], v[26:27], v[28:29]
	s_delay_alu instid0(VALU_DEP_1) | instskip(NEXT) | instid1(VALU_DEP_1)
	v_div_fixup_f64 v[34:35], v[24:25], v[22:23], 1.0
	v_cndmask_b32_e64 v21, v21, v35, s9
	s_delay_alu instid0(VALU_DEP_2)
	v_cndmask_b32_e64 v20, v20, v34, s9
	v_cndmask_b32_e64 v19, v19, v35, s8
	;; [unrolled: 1-line block ×19, first 2 shown]
	v_xor_b32_e32 v35, 0x80000000, v35
.LBB9_3:
	v_add_nc_u32_e32 v88, 0x50, v36
	s_cmpk_eq_i32 s16, 0x79
	ds_store_b64 v36, v[34:35]
	s_cbranch_scc1 .LBB9_7
; %bb.4:
	s_waitcnt vmcnt(0)
	v_dual_mov_b32 v65, v33 :: v_dual_mov_b32 v64, v32
	v_dual_mov_b32 v63, v31 :: v_dual_mov_b32 v62, v30
	;; [unrolled: 1-line block ×16, first 2 shown]
	v_cmp_eq_u32_e64 s0, 9, v0
	ds_store_b64 v88, v[18:19]
	s_waitcnt lgkmcnt(0)
	s_barrier
	buffer_gl0_inv
	s_and_saveexec_b32 s1, s0
	s_cbranch_execz .LBB9_11
; %bb.5:
	s_and_b32 vcc_lo, exec_lo, s10
	s_cbranch_vccz .LBB9_8
; %bb.6:
	v_cmp_eq_u32_e32 vcc_lo, 1, v0
	v_dual_cndmask_b32 v34, v3, v5 :: v_dual_cndmask_b32 v35, v2, v4
	v_cmp_eq_u32_e32 vcc_lo, 2, v0
	s_delay_alu instid0(VALU_DEP_2) | instskip(SKIP_1) | instid1(VALU_DEP_2)
	v_dual_cndmask_b32 v34, v34, v7 :: v_dual_cndmask_b32 v35, v35, v6
	v_cmp_eq_u32_e32 vcc_lo, 3, v0
	v_dual_cndmask_b32 v34, v34, v9 :: v_dual_cndmask_b32 v35, v35, v8
	v_cmp_eq_u32_e32 vcc_lo, 4, v0
	s_delay_alu instid0(VALU_DEP_2) | instskip(SKIP_1) | instid1(VALU_DEP_2)
	v_dual_cndmask_b32 v34, v34, v11 :: v_dual_cndmask_b32 v35, v35, v10
	v_cmp_eq_u32_e32 vcc_lo, 5, v0
	v_dual_cndmask_b32 v34, v34, v13 :: v_dual_cndmask_b32 v35, v35, v12
	v_cmp_eq_u32_e32 vcc_lo, 6, v0
	s_delay_alu instid0(VALU_DEP_2) | instskip(SKIP_4) | instid1(VALU_DEP_2)
	v_dual_cndmask_b32 v36, v34, v15 :: v_dual_cndmask_b32 v37, v35, v14
	v_cmp_eq_u32_e32 vcc_lo, 7, v0
	ds_load_b64 v[34:35], v88
	v_dual_cndmask_b32 v36, v36, v17 :: v_dual_cndmask_b32 v37, v37, v16
	v_cmp_eq_u32_e32 vcc_lo, 8, v0
	v_cndmask_b32_e32 v36, v36, v19, vcc_lo
	s_delay_alu instid0(VALU_DEP_3) | instskip(SKIP_1) | instid1(VALU_DEP_2)
	v_cndmask_b32_e32 v38, v37, v18, vcc_lo
	v_cmp_eq_u32_e32 vcc_lo, 9, v0
	v_dual_cndmask_b32 v37, v36, v21 :: v_dual_cndmask_b32 v36, v38, v20
	s_waitcnt lgkmcnt(0)
	s_delay_alu instid0(VALU_DEP_1)
	v_mul_f64 v[34:35], v[36:37], v[34:35]
	s_cbranch_execz .LBB9_9
	s_branch .LBB9_10
.LBB9_7:
                                        ; implicit-def: $vgpr34_vgpr35_vgpr36_vgpr37_vgpr38_vgpr39_vgpr40_vgpr41_vgpr42_vgpr43_vgpr44_vgpr45_vgpr46_vgpr47_vgpr48_vgpr49_vgpr50_vgpr51_vgpr52_vgpr53_vgpr54_vgpr55_vgpr56_vgpr57_vgpr58_vgpr59_vgpr60_vgpr61_vgpr62_vgpr63_vgpr64_vgpr65
	s_cbranch_execnz .LBB9_132
	s_branch .LBB9_229
.LBB9_8:
                                        ; implicit-def: $vgpr34_vgpr35
.LBB9_9:
	ds_load_b64 v[34:35], v88
.LBB9_10:
	v_mov_b32_e32 v36, 0
	v_dual_mov_b32 v38, v6 :: v_dual_mov_b32 v41, v9
	v_dual_mov_b32 v40, v8 :: v_dual_mov_b32 v43, v11
	ds_load_b64 v[36:37], v36 offset:64
	v_dual_mov_b32 v42, v10 :: v_dual_mov_b32 v45, v13
	v_dual_mov_b32 v44, v12 :: v_dual_mov_b32 v47, v15
	;; [unrolled: 1-line block ×5, first 2 shown]
	s_waitcnt lgkmcnt(0)
	v_mul_f64 v[50:51], v[34:35], v[36:37]
	v_dual_mov_b32 v34, v2 :: v_dual_mov_b32 v37, v5
	v_dual_mov_b32 v35, v3 :: v_dual_mov_b32 v36, v4
.LBB9_11:
	s_or_b32 exec_lo, exec_lo, s1
	v_cmp_lt_u32_e64 s1, 7, v0
	ds_store_b64 v88, v[48:49]
	s_waitcnt lgkmcnt(0)
	s_barrier
	buffer_gl0_inv
	s_and_saveexec_b32 s2, s1
	s_cbranch_execz .LBB9_19
; %bb.12:
	s_and_not1_b32 vcc_lo, exec_lo, s10
	s_cbranch_vccnz .LBB9_14
; %bb.13:
	v_cmp_eq_u32_e32 vcc_lo, 1, v0
	v_dual_cndmask_b32 v54, v35, v37 :: v_dual_cndmask_b32 v55, v34, v36
	v_cmp_eq_u32_e32 vcc_lo, 2, v0
	s_delay_alu instid0(VALU_DEP_2) | instskip(SKIP_1) | instid1(VALU_DEP_2)
	v_dual_cndmask_b32 v54, v54, v39 :: v_dual_cndmask_b32 v55, v55, v38
	v_cmp_eq_u32_e32 vcc_lo, 3, v0
	v_dual_cndmask_b32 v54, v54, v41 :: v_dual_cndmask_b32 v55, v55, v40
	v_cmp_eq_u32_e32 vcc_lo, 4, v0
	s_delay_alu instid0(VALU_DEP_2) | instskip(SKIP_1) | instid1(VALU_DEP_2)
	v_dual_cndmask_b32 v54, v54, v43 :: v_dual_cndmask_b32 v55, v55, v42
	v_cmp_eq_u32_e32 vcc_lo, 5, v0
	v_dual_cndmask_b32 v54, v54, v45 :: v_dual_cndmask_b32 v55, v55, v44
	v_cmp_eq_u32_e32 vcc_lo, 6, v0
	s_delay_alu instid0(VALU_DEP_2) | instskip(SKIP_4) | instid1(VALU_DEP_2)
	v_dual_cndmask_b32 v56, v54, v47 :: v_dual_cndmask_b32 v57, v55, v46
	v_cmp_eq_u32_e32 vcc_lo, 7, v0
	ds_load_b64 v[54:55], v88
	v_dual_cndmask_b32 v49, v56, v49 :: v_dual_cndmask_b32 v48, v57, v48
	v_cmp_eq_u32_e32 vcc_lo, 8, v0
	v_dual_cndmask_b32 v49, v49, v51 :: v_dual_cndmask_b32 v48, v48, v50
	v_cmp_eq_u32_e32 vcc_lo, 9, v0
	s_delay_alu instid0(VALU_DEP_2) | instskip(SKIP_1) | instid1(VALU_DEP_1)
	v_dual_cndmask_b32 v49, v49, v53 :: v_dual_cndmask_b32 v48, v48, v52
	s_waitcnt lgkmcnt(0)
	v_mul_f64 v[48:49], v[48:49], v[54:55]
	s_cbranch_execz .LBB9_15
	s_branch .LBB9_16
.LBB9_14:
                                        ; implicit-def: $vgpr48_vgpr49
.LBB9_15:
	ds_load_b64 v[48:49], v88
.LBB9_16:
	s_and_saveexec_b32 s3, s0
	s_cbranch_execz .LBB9_18
; %bb.17:
	v_mov_b32_e32 v54, 0
	ds_load_b64 v[54:55], v54 offset:144
	s_waitcnt lgkmcnt(0)
	v_fma_f64 v[48:49], v[50:51], v[54:55], v[48:49]
.LBB9_18:
	s_or_b32 exec_lo, exec_lo, s3
	v_mov_b32_e32 v54, 0
	ds_load_b64 v[54:55], v54 offset:56
	s_waitcnt lgkmcnt(0)
	v_mul_f64 v[48:49], v[48:49], v[54:55]
.LBB9_19:
	s_or_b32 exec_lo, exec_lo, s2
	v_cmp_lt_u32_e64 s0, 6, v0
	ds_store_b64 v88, v[46:47]
	s_waitcnt lgkmcnt(0)
	s_barrier
	buffer_gl0_inv
	s_and_saveexec_b32 s4, s0
	s_cbranch_execz .LBB9_35
; %bb.20:
	s_and_not1_b32 vcc_lo, exec_lo, s10
	s_cbranch_vccnz .LBB9_22
; %bb.21:
	v_cmp_eq_u32_e32 vcc_lo, 1, v0
	v_dual_cndmask_b32 v86, v35, v37 :: v_dual_cndmask_b32 v87, v34, v36
	v_cmp_eq_u32_e32 vcc_lo, 2, v0
	s_delay_alu instid0(VALU_DEP_2) | instskip(SKIP_1) | instid1(VALU_DEP_2)
	v_dual_cndmask_b32 v86, v86, v39 :: v_dual_cndmask_b32 v87, v87, v38
	v_cmp_eq_u32_e32 vcc_lo, 3, v0
	v_dual_cndmask_b32 v86, v86, v41 :: v_dual_cndmask_b32 v87, v87, v40
	v_cmp_eq_u32_e32 vcc_lo, 4, v0
	s_delay_alu instid0(VALU_DEP_2) | instskip(SKIP_1) | instid1(VALU_DEP_2)
	v_dual_cndmask_b32 v86, v86, v43 :: v_dual_cndmask_b32 v87, v87, v42
	v_cmp_eq_u32_e32 vcc_lo, 5, v0
	v_dual_cndmask_b32 v86, v86, v45 :: v_dual_cndmask_b32 v87, v87, v44
	v_cmp_eq_u32_e32 vcc_lo, 6, v0
	s_delay_alu instid0(VALU_DEP_2) | instskip(SKIP_4) | instid1(VALU_DEP_2)
	v_dual_cndmask_b32 v89, v86, v47 :: v_dual_cndmask_b32 v90, v87, v46
	v_cmp_eq_u32_e32 vcc_lo, 7, v0
	ds_load_b64 v[86:87], v88
	v_dual_cndmask_b32 v89, v89, v49 :: v_dual_cndmask_b32 v90, v90, v48
	v_cmp_eq_u32_e32 vcc_lo, 8, v0
	v_cndmask_b32_e32 v89, v89, v51, vcc_lo
	s_delay_alu instid0(VALU_DEP_3) | instskip(SKIP_1) | instid1(VALU_DEP_2)
	v_cndmask_b32_e32 v91, v90, v50, vcc_lo
	v_cmp_eq_u32_e32 vcc_lo, 9, v0
	v_dual_cndmask_b32 v90, v89, v53 :: v_dual_cndmask_b32 v89, v91, v52
	s_waitcnt lgkmcnt(0)
	s_delay_alu instid0(VALU_DEP_1)
	v_mul_f64 v[86:87], v[89:90], v[86:87]
	s_cbranch_execz .LBB9_23
	s_branch .LBB9_24
.LBB9_22:
                                        ; implicit-def: $vgpr86_vgpr87
.LBB9_23:
	ds_load_b64 v[86:87], v88
.LBB9_24:
	s_and_saveexec_b32 s5, s1
	s_cbranch_execz .LBB9_34
; %bb.25:
	v_dual_mov_b32 v91, 7 :: v_dual_add_nc_u32 v90, -8, v0
	v_add_nc_u32_e32 v89, -7, v0
	s_mov_b32 s1, exec_lo
	s_delay_alu instid0(VALU_DEP_2)
	v_cmpx_lt_u32_e32 6, v90
	s_cbranch_execz .LBB9_29
; %bb.26:
	s_delay_alu instid0(VALU_DEP_2) | instskip(SKIP_3) | instid1(VALU_DEP_1)
	v_and_b32_e32 v90, -8, v89
	s_mov_b32 s6, 0
	s_mov_b64 s[2:3], 14
	s_movk_i32 s7, 0x88
	v_sub_nc_u32_e32 v90, 0, v90
.LBB9_27:                               ; =>This Inner Loop Header: Depth=1
	v_mov_b32_e32 v101, s7
	s_lshl_b32 s8, s2, 1
	s_delay_alu instid0(SALU_CYCLE_1)
	s_add_i32 m0, s8, -13
	v_movrels_b32_e32 v100, v34
	ds_load_2addr_b64 v[91:94], v101 offset1:1
	ds_load_2addr_b64 v[95:98], v101 offset0:2 offset1:3
	s_add_i32 m0, s8, -14
	v_movrels_b32_e32 v99, v34
	s_add_i32 m0, s8, -11
	s_waitcnt lgkmcnt(1)
	s_delay_alu instid0(VALU_DEP_1) | instskip(SKIP_4) | instid1(VALU_DEP_1)
	v_fma_f64 v[86:87], v[99:100], v[91:92], v[86:87]
	v_movrels_b32_e32 v92, v34
	s_add_i32 m0, s8, -12
	v_movrels_b32_e32 v91, v34
	s_add_i32 m0, s8, -9
	v_fma_f64 v[86:87], v[91:92], v[93:94], v[86:87]
	v_movrels_b32_e32 v92, v34
	s_add_i32 m0, s8, -10
	v_movrels_b32_e32 v91, v34
	s_add_i32 m0, s8, -7
	s_waitcnt lgkmcnt(0)
	s_delay_alu instid0(VALU_DEP_1)
	v_fma_f64 v[86:87], v[91:92], v[95:96], v[86:87]
	v_movrels_b32_e32 v92, v34
	s_add_i32 m0, s8, -8
	v_movrels_b32_e32 v91, v34
	s_add_i32 m0, s8, -5
	;; [unrolled: 2-line block ×4, first 2 shown]
	v_fma_f64 v[86:87], v[91:92], v[97:98], v[86:87]
	ds_load_2addr_b64 v[91:94], v101 offset0:4 offset1:5
	ds_load_2addr_b64 v[95:98], v101 offset0:6 offset1:7
	s_waitcnt lgkmcnt(1)
	v_fma_f64 v[86:87], v[99:100], v[91:92], v[86:87]
	v_movrels_b32_e32 v92, v34
	s_add_i32 m0, s8, -4
	v_movrels_b32_e32 v91, v34
	s_add_i32 m0, s8, -1
	s_delay_alu instid0(VALU_DEP_1)
	v_fma_f64 v[86:87], v[91:92], v[93:94], v[86:87]
	v_movrels_b32_e32 v92, v34
	s_add_i32 m0, s8, -2
	s_add_u32 s2, s2, 8
	v_movrels_b32_e32 v91, v34
	s_mov_b32 m0, s8
	s_addc_u32 s3, s3, 0
	s_add_i32 s8, s2, -7
	s_add_i32 s7, s7, 64
	s_waitcnt lgkmcnt(0)
	s_delay_alu instid0(VALU_DEP_3) | instskip(SKIP_2) | instid1(VALU_DEP_1)
	v_fma_f64 v[86:87], v[91:92], v[95:96], v[86:87]
	v_movrels_b32_e32 v92, v35
	v_movrels_b32_e32 v91, v34
	v_fma_f64 v[86:87], v[91:92], v[97:98], v[86:87]
	v_add_nc_u32_e32 v91, s2, v90
	s_delay_alu instid0(VALU_DEP_1) | instskip(SKIP_2) | instid1(SALU_CYCLE_1)
	v_cmp_eq_u32_e32 vcc_lo, 14, v91
	v_mov_b32_e32 v91, s8
	s_or_b32 s6, vcc_lo, s6
	s_and_not1_b32 exec_lo, exec_lo, s6
	s_cbranch_execnz .LBB9_27
; %bb.28:
	s_or_b32 exec_lo, exec_lo, s6
.LBB9_29:
	s_delay_alu instid0(SALU_CYCLE_1) | instskip(SKIP_3) | instid1(VALU_DEP_1)
	s_or_b32 exec_lo, exec_lo, s1
	v_and_b32_e32 v54, 7, v89
	s_mov_b32 s3, 0
	s_mov_b32 s2, exec_lo
	v_cmpx_ne_u32_e32 0, v54
	s_cbranch_execz .LBB9_33
; %bb.30:
	v_lshl_add_u32 v55, v91, 3, 0x50
	v_mov_b32_e32 v56, 0
.LBB9_31:                               ; =>This Inner Loop Header: Depth=1
	v_cmp_eq_u32_e32 vcc_lo, 1, v91
	v_cmp_eq_u32_e64 s1, 2, v91
	v_dual_cndmask_b32 v57, v35, v37 :: v_dual_add_nc_u32 v54, -1, v54
	v_cndmask_b32_e32 v58, v34, v36, vcc_lo
	v_cmp_eq_u32_e32 vcc_lo, 3, v91
	s_delay_alu instid0(VALU_DEP_3) | instskip(NEXT) | instid1(VALU_DEP_3)
	v_cndmask_b32_e64 v57, v57, v39, s1
	v_cndmask_b32_e64 v58, v58, v38, s1
	v_cmp_eq_u32_e64 s1, 4, v91
	s_delay_alu instid0(VALU_DEP_2) | instskip(SKIP_1) | instid1(VALU_DEP_2)
	v_dual_cndmask_b32 v57, v57, v41 :: v_dual_cndmask_b32 v58, v58, v40
	v_cmp_eq_u32_e32 vcc_lo, 5, v91
	v_cndmask_b32_e64 v57, v57, v43, s1
	s_delay_alu instid0(VALU_DEP_3) | instskip(SKIP_1) | instid1(VALU_DEP_2)
	v_cndmask_b32_e64 v58, v58, v42, s1
	v_cmp_eq_u32_e64 s1, 6, v91
	v_dual_cndmask_b32 v59, v57, v45 :: v_dual_cndmask_b32 v60, v58, v44
	ds_load_b64 v[57:58], v55
	v_cmp_eq_u32_e32 vcc_lo, 7, v91
	v_add_nc_u32_e32 v55, 8, v55
	v_cndmask_b32_e64 v59, v59, v47, s1
	v_cndmask_b32_e64 v60, v60, v46, s1
	v_cmp_eq_u32_e64 s1, 8, v91
	s_delay_alu instid0(VALU_DEP_2) | instskip(SKIP_1) | instid1(VALU_DEP_2)
	v_dual_cndmask_b32 v59, v59, v49 :: v_dual_cndmask_b32 v60, v60, v48
	v_cmp_eq_u32_e32 vcc_lo, 9, v91
	v_cndmask_b32_e64 v59, v59, v51, s1
	s_delay_alu instid0(VALU_DEP_3) | instskip(SKIP_1) | instid1(VALU_DEP_1)
	v_cndmask_b32_e64 v61, v60, v50, s1
	v_add_co_u32 v91, s1, v91, 1
	v_add_co_ci_u32_e64 v56, s1, 0, v56, s1
	s_delay_alu instid0(VALU_DEP_3) | instskip(SKIP_2) | instid1(VALU_DEP_2)
	v_dual_cndmask_b32 v60, v59, v53 :: v_dual_cndmask_b32 v59, v61, v52
	v_cmp_eq_u32_e32 vcc_lo, 0, v54
	s_waitcnt lgkmcnt(0)
	v_fma_f64 v[86:87], v[59:60], v[57:58], v[86:87]
	s_or_b32 s3, vcc_lo, s3
	s_delay_alu instid0(SALU_CYCLE_1)
	s_and_not1_b32 exec_lo, exec_lo, s3
	s_cbranch_execnz .LBB9_31
; %bb.32:
	s_or_b32 exec_lo, exec_lo, s3
.LBB9_33:
	s_delay_alu instid0(SALU_CYCLE_1)
	s_or_b32 exec_lo, exec_lo, s2
.LBB9_34:
	s_delay_alu instid0(SALU_CYCLE_1)
	s_or_b32 exec_lo, exec_lo, s5
	v_mov_b32_e32 v46, 0
	ds_load_b64 v[46:47], v46 offset:48
	s_waitcnt lgkmcnt(0)
	v_mul_f64 v[46:47], v[86:87], v[46:47]
.LBB9_35:
	s_or_b32 exec_lo, exec_lo, s4
	v_cmp_lt_u32_e64 s2, 5, v0
	ds_store_b64 v88, v[44:45]
	s_waitcnt lgkmcnt(0)
	s_barrier
	buffer_gl0_inv
	s_and_saveexec_b32 s3, s2
	s_cbranch_execz .LBB9_51
; %bb.36:
	s_and_not1_b32 vcc_lo, exec_lo, s10
	s_cbranch_vccnz .LBB9_38
; %bb.37:
	v_cmp_eq_u32_e32 vcc_lo, 1, v0
	v_dual_cndmask_b32 v86, v35, v37 :: v_dual_cndmask_b32 v87, v34, v36
	v_cmp_eq_u32_e32 vcc_lo, 2, v0
	s_delay_alu instid0(VALU_DEP_2) | instskip(SKIP_1) | instid1(VALU_DEP_2)
	v_dual_cndmask_b32 v86, v86, v39 :: v_dual_cndmask_b32 v87, v87, v38
	v_cmp_eq_u32_e32 vcc_lo, 3, v0
	v_dual_cndmask_b32 v86, v86, v41 :: v_dual_cndmask_b32 v87, v87, v40
	v_cmp_eq_u32_e32 vcc_lo, 4, v0
	s_delay_alu instid0(VALU_DEP_2) | instskip(SKIP_1) | instid1(VALU_DEP_2)
	v_dual_cndmask_b32 v86, v86, v43 :: v_dual_cndmask_b32 v87, v87, v42
	v_cmp_eq_u32_e32 vcc_lo, 5, v0
	v_dual_cndmask_b32 v86, v86, v45 :: v_dual_cndmask_b32 v87, v87, v44
	v_cmp_eq_u32_e32 vcc_lo, 6, v0
	s_delay_alu instid0(VALU_DEP_2) | instskip(SKIP_4) | instid1(VALU_DEP_2)
	v_dual_cndmask_b32 v89, v86, v47 :: v_dual_cndmask_b32 v90, v87, v46
	v_cmp_eq_u32_e32 vcc_lo, 7, v0
	ds_load_b64 v[86:87], v88
	v_dual_cndmask_b32 v89, v89, v49 :: v_dual_cndmask_b32 v90, v90, v48
	v_cmp_eq_u32_e32 vcc_lo, 8, v0
	v_cndmask_b32_e32 v89, v89, v51, vcc_lo
	s_delay_alu instid0(VALU_DEP_3) | instskip(SKIP_1) | instid1(VALU_DEP_2)
	v_cndmask_b32_e32 v91, v90, v50, vcc_lo
	v_cmp_eq_u32_e32 vcc_lo, 9, v0
	v_dual_cndmask_b32 v90, v89, v53 :: v_dual_cndmask_b32 v89, v91, v52
	s_waitcnt lgkmcnt(0)
	s_delay_alu instid0(VALU_DEP_1)
	v_mul_f64 v[86:87], v[89:90], v[86:87]
	s_cbranch_execz .LBB9_39
	s_branch .LBB9_40
.LBB9_38:
                                        ; implicit-def: $vgpr86_vgpr87
.LBB9_39:
	ds_load_b64 v[86:87], v88
.LBB9_40:
	s_and_saveexec_b32 s4, s0
	s_cbranch_execz .LBB9_50
; %bb.41:
	v_dual_mov_b32 v91, 6 :: v_dual_add_nc_u32 v90, -7, v0
	v_add_nc_u32_e32 v89, -6, v0
	s_mov_b32 s5, exec_lo
	s_delay_alu instid0(VALU_DEP_2)
	v_cmpx_lt_u32_e32 6, v90
	s_cbranch_execz .LBB9_45
; %bb.42:
	s_delay_alu instid0(VALU_DEP_2) | instskip(SKIP_3) | instid1(VALU_DEP_1)
	v_and_b32_e32 v90, -8, v89
	s_mov_b32 s6, 0
	s_mov_b64 s[0:1], 13
	s_movk_i32 s7, 0x80
	v_sub_nc_u32_e32 v90, 0, v90
.LBB9_43:                               ; =>This Inner Loop Header: Depth=1
	v_mov_b32_e32 v101, s7
	s_lshl_b32 s8, s0, 1
	s_delay_alu instid0(SALU_CYCLE_1)
	s_add_i32 m0, s8, -13
	v_movrels_b32_e32 v100, v34
	ds_load_b128 v[91:94], v101
	ds_load_b128 v[95:98], v101 offset:16
	s_add_i32 m0, s8, -14
	v_movrels_b32_e32 v99, v34
	s_add_i32 m0, s8, -11
	s_waitcnt lgkmcnt(1)
	s_delay_alu instid0(VALU_DEP_1) | instskip(SKIP_4) | instid1(VALU_DEP_1)
	v_fma_f64 v[86:87], v[99:100], v[91:92], v[86:87]
	v_movrels_b32_e32 v92, v34
	s_add_i32 m0, s8, -12
	v_movrels_b32_e32 v91, v34
	s_add_i32 m0, s8, -9
	v_fma_f64 v[86:87], v[91:92], v[93:94], v[86:87]
	v_movrels_b32_e32 v92, v34
	s_add_i32 m0, s8, -10
	v_movrels_b32_e32 v91, v34
	s_add_i32 m0, s8, -7
	s_waitcnt lgkmcnt(0)
	s_delay_alu instid0(VALU_DEP_1)
	v_fma_f64 v[86:87], v[91:92], v[95:96], v[86:87]
	v_movrels_b32_e32 v92, v34
	s_add_i32 m0, s8, -8
	v_movrels_b32_e32 v91, v34
	s_add_i32 m0, s8, -5
	;; [unrolled: 2-line block ×4, first 2 shown]
	v_fma_f64 v[86:87], v[91:92], v[97:98], v[86:87]
	ds_load_b128 v[91:94], v101 offset:32
	ds_load_b128 v[95:98], v101 offset:48
	s_waitcnt lgkmcnt(1)
	v_fma_f64 v[86:87], v[99:100], v[91:92], v[86:87]
	v_movrels_b32_e32 v92, v34
	s_add_i32 m0, s8, -4
	v_movrels_b32_e32 v91, v34
	s_add_i32 m0, s8, -1
	s_delay_alu instid0(VALU_DEP_1)
	v_fma_f64 v[86:87], v[91:92], v[93:94], v[86:87]
	v_movrels_b32_e32 v92, v34
	s_add_i32 m0, s8, -2
	s_add_u32 s0, s0, 8
	v_movrels_b32_e32 v91, v34
	s_mov_b32 m0, s8
	s_addc_u32 s1, s1, 0
	s_add_i32 s8, s0, -7
	s_add_i32 s7, s7, 64
	s_waitcnt lgkmcnt(0)
	s_delay_alu instid0(VALU_DEP_3) | instskip(SKIP_2) | instid1(VALU_DEP_1)
	v_fma_f64 v[86:87], v[91:92], v[95:96], v[86:87]
	v_movrels_b32_e32 v92, v35
	v_movrels_b32_e32 v91, v34
	v_fma_f64 v[86:87], v[91:92], v[97:98], v[86:87]
	v_add_nc_u32_e32 v91, s0, v90
	s_delay_alu instid0(VALU_DEP_1) | instskip(SKIP_2) | instid1(SALU_CYCLE_1)
	v_cmp_eq_u32_e32 vcc_lo, 13, v91
	v_mov_b32_e32 v91, s8
	s_or_b32 s6, vcc_lo, s6
	s_and_not1_b32 exec_lo, exec_lo, s6
	s_cbranch_execnz .LBB9_43
; %bb.44:
	s_or_b32 exec_lo, exec_lo, s6
.LBB9_45:
	s_delay_alu instid0(SALU_CYCLE_1) | instskip(SKIP_3) | instid1(VALU_DEP_1)
	s_or_b32 exec_lo, exec_lo, s5
	v_and_b32_e32 v54, 7, v89
	s_mov_b32 s5, 0
	s_mov_b32 s1, exec_lo
	v_cmpx_ne_u32_e32 0, v54
	s_cbranch_execz .LBB9_49
; %bb.46:
	v_lshl_add_u32 v55, v91, 3, 0x50
	v_mov_b32_e32 v56, 0
.LBB9_47:                               ; =>This Inner Loop Header: Depth=1
	v_cmp_eq_u32_e32 vcc_lo, 1, v91
	v_cmp_eq_u32_e64 s0, 2, v91
	v_dual_cndmask_b32 v57, v35, v37 :: v_dual_add_nc_u32 v54, -1, v54
	v_cndmask_b32_e32 v58, v34, v36, vcc_lo
	v_cmp_eq_u32_e32 vcc_lo, 3, v91
	s_delay_alu instid0(VALU_DEP_3) | instskip(NEXT) | instid1(VALU_DEP_3)
	v_cndmask_b32_e64 v57, v57, v39, s0
	v_cndmask_b32_e64 v58, v58, v38, s0
	v_cmp_eq_u32_e64 s0, 4, v91
	s_delay_alu instid0(VALU_DEP_2) | instskip(SKIP_1) | instid1(VALU_DEP_2)
	v_dual_cndmask_b32 v57, v57, v41 :: v_dual_cndmask_b32 v58, v58, v40
	v_cmp_eq_u32_e32 vcc_lo, 5, v91
	v_cndmask_b32_e64 v57, v57, v43, s0
	s_delay_alu instid0(VALU_DEP_3) | instskip(SKIP_1) | instid1(VALU_DEP_2)
	v_cndmask_b32_e64 v58, v58, v42, s0
	v_cmp_eq_u32_e64 s0, 6, v91
	v_dual_cndmask_b32 v59, v57, v45 :: v_dual_cndmask_b32 v60, v58, v44
	ds_load_b64 v[57:58], v55
	v_cmp_eq_u32_e32 vcc_lo, 7, v91
	v_add_nc_u32_e32 v55, 8, v55
	v_cndmask_b32_e64 v59, v59, v47, s0
	v_cndmask_b32_e64 v60, v60, v46, s0
	v_cmp_eq_u32_e64 s0, 8, v91
	s_delay_alu instid0(VALU_DEP_2) | instskip(SKIP_1) | instid1(VALU_DEP_2)
	v_dual_cndmask_b32 v59, v59, v49 :: v_dual_cndmask_b32 v60, v60, v48
	v_cmp_eq_u32_e32 vcc_lo, 9, v91
	v_cndmask_b32_e64 v59, v59, v51, s0
	s_delay_alu instid0(VALU_DEP_3) | instskip(SKIP_1) | instid1(VALU_DEP_1)
	v_cndmask_b32_e64 v61, v60, v50, s0
	v_add_co_u32 v91, s0, v91, 1
	v_add_co_ci_u32_e64 v56, s0, 0, v56, s0
	s_delay_alu instid0(VALU_DEP_3) | instskip(SKIP_2) | instid1(VALU_DEP_2)
	v_dual_cndmask_b32 v60, v59, v53 :: v_dual_cndmask_b32 v59, v61, v52
	v_cmp_eq_u32_e32 vcc_lo, 0, v54
	s_waitcnt lgkmcnt(0)
	v_fma_f64 v[86:87], v[59:60], v[57:58], v[86:87]
	s_or_b32 s5, vcc_lo, s5
	s_delay_alu instid0(SALU_CYCLE_1)
	s_and_not1_b32 exec_lo, exec_lo, s5
	s_cbranch_execnz .LBB9_47
; %bb.48:
	s_or_b32 exec_lo, exec_lo, s5
.LBB9_49:
	s_delay_alu instid0(SALU_CYCLE_1)
	s_or_b32 exec_lo, exec_lo, s1
.LBB9_50:
	s_delay_alu instid0(SALU_CYCLE_1)
	s_or_b32 exec_lo, exec_lo, s4
	v_mov_b32_e32 v44, 0
	ds_load_b64 v[44:45], v44 offset:40
	s_waitcnt lgkmcnt(0)
	v_mul_f64 v[44:45], v[86:87], v[44:45]
.LBB9_51:
	s_or_b32 exec_lo, exec_lo, s3
	v_cmp_lt_u32_e64 s1, 4, v0
	ds_store_b64 v88, v[42:43]
	s_waitcnt lgkmcnt(0)
	s_barrier
	buffer_gl0_inv
	s_and_saveexec_b32 s4, s1
	s_cbranch_execz .LBB9_67
; %bb.52:
	s_and_not1_b32 vcc_lo, exec_lo, s10
	s_cbranch_vccnz .LBB9_54
; %bb.53:
	v_cmp_eq_u32_e32 vcc_lo, 1, v0
	v_dual_cndmask_b32 v86, v35, v37 :: v_dual_cndmask_b32 v87, v34, v36
	v_cmp_eq_u32_e32 vcc_lo, 2, v0
	s_delay_alu instid0(VALU_DEP_2) | instskip(SKIP_1) | instid1(VALU_DEP_2)
	v_dual_cndmask_b32 v86, v86, v39 :: v_dual_cndmask_b32 v87, v87, v38
	v_cmp_eq_u32_e32 vcc_lo, 3, v0
	v_dual_cndmask_b32 v86, v86, v41 :: v_dual_cndmask_b32 v87, v87, v40
	v_cmp_eq_u32_e32 vcc_lo, 4, v0
	s_delay_alu instid0(VALU_DEP_2) | instskip(SKIP_1) | instid1(VALU_DEP_2)
	v_dual_cndmask_b32 v86, v86, v43 :: v_dual_cndmask_b32 v87, v87, v42
	v_cmp_eq_u32_e32 vcc_lo, 5, v0
	v_dual_cndmask_b32 v86, v86, v45 :: v_dual_cndmask_b32 v87, v87, v44
	v_cmp_eq_u32_e32 vcc_lo, 6, v0
	s_delay_alu instid0(VALU_DEP_2) | instskip(SKIP_4) | instid1(VALU_DEP_2)
	v_dual_cndmask_b32 v89, v86, v47 :: v_dual_cndmask_b32 v90, v87, v46
	v_cmp_eq_u32_e32 vcc_lo, 7, v0
	ds_load_b64 v[86:87], v88
	v_dual_cndmask_b32 v89, v89, v49 :: v_dual_cndmask_b32 v90, v90, v48
	v_cmp_eq_u32_e32 vcc_lo, 8, v0
	v_cndmask_b32_e32 v89, v89, v51, vcc_lo
	s_delay_alu instid0(VALU_DEP_3) | instskip(SKIP_1) | instid1(VALU_DEP_2)
	v_cndmask_b32_e32 v91, v90, v50, vcc_lo
	v_cmp_eq_u32_e32 vcc_lo, 9, v0
	v_dual_cndmask_b32 v90, v89, v53 :: v_dual_cndmask_b32 v89, v91, v52
	s_waitcnt lgkmcnt(0)
	s_delay_alu instid0(VALU_DEP_1)
	v_mul_f64 v[86:87], v[89:90], v[86:87]
	s_cbranch_execz .LBB9_55
	s_branch .LBB9_56
.LBB9_54:
                                        ; implicit-def: $vgpr86_vgpr87
.LBB9_55:
	ds_load_b64 v[86:87], v88
.LBB9_56:
	s_and_saveexec_b32 s5, s2
	s_cbranch_execz .LBB9_66
; %bb.57:
	v_dual_mov_b32 v91, 5 :: v_dual_add_nc_u32 v90, -6, v0
	v_add_nc_u32_e32 v89, -5, v0
	s_mov_b32 s0, exec_lo
	s_delay_alu instid0(VALU_DEP_2)
	v_cmpx_lt_u32_e32 6, v90
	s_cbranch_execz .LBB9_61
; %bb.58:
	s_delay_alu instid0(VALU_DEP_2) | instskip(SKIP_3) | instid1(VALU_DEP_1)
	v_and_b32_e32 v90, -8, v89
	s_mov_b32 s6, 0
	s_mov_b64 s[2:3], 12
	s_movk_i32 s7, 0x78
	v_sub_nc_u32_e32 v90, 0, v90
.LBB9_59:                               ; =>This Inner Loop Header: Depth=1
	v_mov_b32_e32 v101, s7
	s_lshl_b32 s8, s2, 1
	s_delay_alu instid0(SALU_CYCLE_1)
	s_add_i32 m0, s8, -13
	v_movrels_b32_e32 v100, v34
	ds_load_2addr_b64 v[91:94], v101 offset1:1
	ds_load_2addr_b64 v[95:98], v101 offset0:2 offset1:3
	s_add_i32 m0, s8, -14
	v_movrels_b32_e32 v99, v34
	s_add_i32 m0, s8, -11
	s_waitcnt lgkmcnt(1)
	s_delay_alu instid0(VALU_DEP_1) | instskip(SKIP_4) | instid1(VALU_DEP_1)
	v_fma_f64 v[86:87], v[99:100], v[91:92], v[86:87]
	v_movrels_b32_e32 v92, v34
	s_add_i32 m0, s8, -12
	v_movrels_b32_e32 v91, v34
	s_add_i32 m0, s8, -9
	v_fma_f64 v[86:87], v[91:92], v[93:94], v[86:87]
	v_movrels_b32_e32 v92, v34
	s_add_i32 m0, s8, -10
	v_movrels_b32_e32 v91, v34
	s_add_i32 m0, s8, -7
	s_waitcnt lgkmcnt(0)
	s_delay_alu instid0(VALU_DEP_1)
	v_fma_f64 v[86:87], v[91:92], v[95:96], v[86:87]
	v_movrels_b32_e32 v92, v34
	s_add_i32 m0, s8, -8
	v_movrels_b32_e32 v91, v34
	s_add_i32 m0, s8, -5
	;; [unrolled: 2-line block ×4, first 2 shown]
	v_fma_f64 v[86:87], v[91:92], v[97:98], v[86:87]
	ds_load_2addr_b64 v[91:94], v101 offset0:4 offset1:5
	ds_load_2addr_b64 v[95:98], v101 offset0:6 offset1:7
	s_waitcnt lgkmcnt(1)
	v_fma_f64 v[86:87], v[99:100], v[91:92], v[86:87]
	v_movrels_b32_e32 v92, v34
	s_add_i32 m0, s8, -4
	v_movrels_b32_e32 v91, v34
	s_add_i32 m0, s8, -1
	s_delay_alu instid0(VALU_DEP_1)
	v_fma_f64 v[86:87], v[91:92], v[93:94], v[86:87]
	v_movrels_b32_e32 v92, v34
	s_add_i32 m0, s8, -2
	s_add_u32 s2, s2, 8
	v_movrels_b32_e32 v91, v34
	s_mov_b32 m0, s8
	s_addc_u32 s3, s3, 0
	s_add_i32 s8, s2, -7
	s_add_i32 s7, s7, 64
	s_waitcnt lgkmcnt(0)
	s_delay_alu instid0(VALU_DEP_3) | instskip(SKIP_2) | instid1(VALU_DEP_1)
	v_fma_f64 v[86:87], v[91:92], v[95:96], v[86:87]
	v_movrels_b32_e32 v92, v35
	v_movrels_b32_e32 v91, v34
	v_fma_f64 v[86:87], v[91:92], v[97:98], v[86:87]
	v_add_nc_u32_e32 v91, s2, v90
	s_delay_alu instid0(VALU_DEP_1) | instskip(SKIP_2) | instid1(SALU_CYCLE_1)
	v_cmp_eq_u32_e32 vcc_lo, 12, v91
	v_mov_b32_e32 v91, s8
	s_or_b32 s6, vcc_lo, s6
	s_and_not1_b32 exec_lo, exec_lo, s6
	s_cbranch_execnz .LBB9_59
; %bb.60:
	s_or_b32 exec_lo, exec_lo, s6
.LBB9_61:
	s_delay_alu instid0(SALU_CYCLE_1) | instskip(SKIP_3) | instid1(VALU_DEP_1)
	s_or_b32 exec_lo, exec_lo, s0
	v_and_b32_e32 v54, 7, v89
	s_mov_b32 s3, 0
	s_mov_b32 s2, exec_lo
	v_cmpx_ne_u32_e32 0, v54
	s_cbranch_execz .LBB9_65
; %bb.62:
	v_lshl_add_u32 v55, v91, 3, 0x50
	v_mov_b32_e32 v56, 0
.LBB9_63:                               ; =>This Inner Loop Header: Depth=1
	v_cmp_eq_u32_e32 vcc_lo, 1, v91
	v_cmp_eq_u32_e64 s0, 2, v91
	v_dual_cndmask_b32 v57, v35, v37 :: v_dual_add_nc_u32 v54, -1, v54
	v_cndmask_b32_e32 v58, v34, v36, vcc_lo
	v_cmp_eq_u32_e32 vcc_lo, 3, v91
	s_delay_alu instid0(VALU_DEP_3) | instskip(NEXT) | instid1(VALU_DEP_3)
	v_cndmask_b32_e64 v57, v57, v39, s0
	v_cndmask_b32_e64 v58, v58, v38, s0
	v_cmp_eq_u32_e64 s0, 4, v91
	s_delay_alu instid0(VALU_DEP_2) | instskip(SKIP_1) | instid1(VALU_DEP_2)
	v_dual_cndmask_b32 v57, v57, v41 :: v_dual_cndmask_b32 v58, v58, v40
	v_cmp_eq_u32_e32 vcc_lo, 5, v91
	v_cndmask_b32_e64 v57, v57, v43, s0
	s_delay_alu instid0(VALU_DEP_3) | instskip(SKIP_1) | instid1(VALU_DEP_2)
	v_cndmask_b32_e64 v58, v58, v42, s0
	v_cmp_eq_u32_e64 s0, 6, v91
	v_dual_cndmask_b32 v59, v57, v45 :: v_dual_cndmask_b32 v60, v58, v44
	ds_load_b64 v[57:58], v55
	v_cmp_eq_u32_e32 vcc_lo, 7, v91
	v_add_nc_u32_e32 v55, 8, v55
	v_cndmask_b32_e64 v59, v59, v47, s0
	v_cndmask_b32_e64 v60, v60, v46, s0
	v_cmp_eq_u32_e64 s0, 8, v91
	s_delay_alu instid0(VALU_DEP_2) | instskip(SKIP_1) | instid1(VALU_DEP_2)
	v_dual_cndmask_b32 v59, v59, v49 :: v_dual_cndmask_b32 v60, v60, v48
	v_cmp_eq_u32_e32 vcc_lo, 9, v91
	v_cndmask_b32_e64 v59, v59, v51, s0
	s_delay_alu instid0(VALU_DEP_3) | instskip(SKIP_1) | instid1(VALU_DEP_1)
	v_cndmask_b32_e64 v61, v60, v50, s0
	v_add_co_u32 v91, s0, v91, 1
	v_add_co_ci_u32_e64 v56, s0, 0, v56, s0
	s_delay_alu instid0(VALU_DEP_3) | instskip(SKIP_2) | instid1(VALU_DEP_2)
	v_dual_cndmask_b32 v60, v59, v53 :: v_dual_cndmask_b32 v59, v61, v52
	v_cmp_eq_u32_e32 vcc_lo, 0, v54
	s_waitcnt lgkmcnt(0)
	v_fma_f64 v[86:87], v[59:60], v[57:58], v[86:87]
	s_or_b32 s3, vcc_lo, s3
	s_delay_alu instid0(SALU_CYCLE_1)
	s_and_not1_b32 exec_lo, exec_lo, s3
	s_cbranch_execnz .LBB9_63
; %bb.64:
	s_or_b32 exec_lo, exec_lo, s3
.LBB9_65:
	s_delay_alu instid0(SALU_CYCLE_1)
	s_or_b32 exec_lo, exec_lo, s2
.LBB9_66:
	s_delay_alu instid0(SALU_CYCLE_1)
	s_or_b32 exec_lo, exec_lo, s5
	v_mov_b32_e32 v42, 0
	ds_load_b64 v[42:43], v42 offset:32
	s_waitcnt lgkmcnt(0)
	v_mul_f64 v[42:43], v[86:87], v[42:43]
.LBB9_67:
	s_or_b32 exec_lo, exec_lo, s4
	v_cmp_lt_u32_e64 s0, 3, v0
	ds_store_b64 v88, v[40:41]
	s_waitcnt lgkmcnt(0)
	s_barrier
	buffer_gl0_inv
	s_and_saveexec_b32 s4, s0
	s_cbranch_execz .LBB9_83
; %bb.68:
	s_and_not1_b32 vcc_lo, exec_lo, s10
	s_cbranch_vccnz .LBB9_70
; %bb.69:
	v_cmp_eq_u32_e32 vcc_lo, 1, v0
	v_dual_cndmask_b32 v86, v35, v37 :: v_dual_cndmask_b32 v87, v34, v36
	v_cmp_eq_u32_e32 vcc_lo, 2, v0
	s_delay_alu instid0(VALU_DEP_2) | instskip(SKIP_1) | instid1(VALU_DEP_2)
	v_dual_cndmask_b32 v86, v86, v39 :: v_dual_cndmask_b32 v87, v87, v38
	v_cmp_eq_u32_e32 vcc_lo, 3, v0
	v_dual_cndmask_b32 v86, v86, v41 :: v_dual_cndmask_b32 v87, v87, v40
	v_cmp_eq_u32_e32 vcc_lo, 4, v0
	s_delay_alu instid0(VALU_DEP_2) | instskip(SKIP_1) | instid1(VALU_DEP_2)
	v_dual_cndmask_b32 v86, v86, v43 :: v_dual_cndmask_b32 v87, v87, v42
	v_cmp_eq_u32_e32 vcc_lo, 5, v0
	v_dual_cndmask_b32 v86, v86, v45 :: v_dual_cndmask_b32 v87, v87, v44
	v_cmp_eq_u32_e32 vcc_lo, 6, v0
	s_delay_alu instid0(VALU_DEP_2) | instskip(SKIP_4) | instid1(VALU_DEP_2)
	v_dual_cndmask_b32 v89, v86, v47 :: v_dual_cndmask_b32 v90, v87, v46
	v_cmp_eq_u32_e32 vcc_lo, 7, v0
	ds_load_b64 v[86:87], v88
	v_dual_cndmask_b32 v89, v89, v49 :: v_dual_cndmask_b32 v90, v90, v48
	v_cmp_eq_u32_e32 vcc_lo, 8, v0
	v_cndmask_b32_e32 v89, v89, v51, vcc_lo
	s_delay_alu instid0(VALU_DEP_3) | instskip(SKIP_1) | instid1(VALU_DEP_2)
	v_cndmask_b32_e32 v91, v90, v50, vcc_lo
	v_cmp_eq_u32_e32 vcc_lo, 9, v0
	v_dual_cndmask_b32 v90, v89, v53 :: v_dual_cndmask_b32 v89, v91, v52
	s_waitcnt lgkmcnt(0)
	s_delay_alu instid0(VALU_DEP_1)
	v_mul_f64 v[86:87], v[89:90], v[86:87]
	s_cbranch_execz .LBB9_71
	s_branch .LBB9_72
.LBB9_70:
                                        ; implicit-def: $vgpr86_vgpr87
.LBB9_71:
	ds_load_b64 v[86:87], v88
.LBB9_72:
	s_and_saveexec_b32 s5, s1
	s_cbranch_execz .LBB9_82
; %bb.73:
	v_dual_mov_b32 v91, 4 :: v_dual_add_nc_u32 v90, -5, v0
	v_add_nc_u32_e32 v89, -4, v0
	s_mov_b32 s1, exec_lo
	s_delay_alu instid0(VALU_DEP_2)
	v_cmpx_lt_u32_e32 6, v90
	s_cbranch_execz .LBB9_77
; %bb.74:
	s_delay_alu instid0(VALU_DEP_2) | instskip(SKIP_3) | instid1(VALU_DEP_1)
	v_and_b32_e32 v90, -8, v89
	s_mov_b32 s6, 0
	s_mov_b64 s[2:3], 5
	s_movk_i32 s7, 0x70
	v_sub_nc_u32_e32 v90, 0, v90
.LBB9_75:                               ; =>This Inner Loop Header: Depth=1
	v_mov_b32_e32 v101, s7
	s_lshl_b32 s8, s2, 1
	s_delay_alu instid0(SALU_CYCLE_1)
	s_add_i32 m0, s8, -1
	s_add_i32 s9, s8, 3
	ds_load_b128 v[91:94], v101
	ds_load_b128 v[95:98], v101 offset:16
	v_movrels_b32_e32 v100, v34
	s_add_i32 m0, s8, -2
	s_add_i32 s11, s8, 2
	v_movrels_b32_e32 v99, v34
	s_mov_b32 m0, s8
	s_waitcnt lgkmcnt(1)
	s_delay_alu instid0(VALU_DEP_1) | instskip(SKIP_4) | instid1(VALU_DEP_1)
	v_fma_f64 v[86:87], v[99:100], v[91:92], v[86:87]
	v_movrels_b32_e32 v92, v35
	v_movrels_b32_e32 v91, v34
	s_mov_b32 m0, s9
	s_add_i32 s9, s8, 5
	v_fma_f64 v[86:87], v[91:92], v[93:94], v[86:87]
	v_movrels_b32_e32 v92, v34
	s_mov_b32 m0, s11
	s_add_i32 s11, s8, 4
	v_movrels_b32_e32 v91, v34
	s_mov_b32 m0, s9
	s_add_i32 s9, s8, 7
	s_waitcnt lgkmcnt(0)
	s_delay_alu instid0(VALU_DEP_1)
	v_fma_f64 v[86:87], v[91:92], v[95:96], v[86:87]
	v_movrels_b32_e32 v92, v34
	s_mov_b32 m0, s11
	s_add_i32 s11, s8, 6
	v_movrels_b32_e32 v91, v34
	s_mov_b32 m0, s9
	s_add_i32 s9, s8, 9
	;; [unrolled: 3-line block ×4, first 2 shown]
	v_fma_f64 v[86:87], v[91:92], v[97:98], v[86:87]
	ds_load_b128 v[91:94], v101 offset:32
	ds_load_b128 v[95:98], v101 offset:48
	s_waitcnt lgkmcnt(1)
	v_fma_f64 v[86:87], v[99:100], v[91:92], v[86:87]
	v_movrels_b32_e32 v92, v34
	s_mov_b32 m0, s11
	s_add_i32 s11, s8, 10
	v_movrels_b32_e32 v91, v34
	s_mov_b32 m0, s9
	s_add_i32 s9, s8, 13
	s_add_i32 s8, s8, 12
	s_add_u32 s2, s2, 8
	s_addc_u32 s3, s3, 0
	s_add_i32 s7, s7, 64
	s_delay_alu instid0(VALU_DEP_3)
	v_fma_f64 v[86:87], v[91:92], v[93:94], v[86:87]
	v_movrels_b32_e32 v92, v34
	s_mov_b32 m0, s11
	v_movrels_b32_e32 v91, v34
	s_mov_b32 m0, s9
	s_waitcnt lgkmcnt(0)
	s_delay_alu instid0(VALU_DEP_1) | instskip(SKIP_4) | instid1(VALU_DEP_1)
	v_fma_f64 v[86:87], v[91:92], v[95:96], v[86:87]
	v_movrels_b32_e32 v92, v34
	s_mov_b32 m0, s8
	s_add_i32 s8, s2, -1
	v_movrels_b32_e32 v91, v34
	v_fma_f64 v[86:87], v[91:92], v[97:98], v[86:87]
	v_add_nc_u32_e32 v91, s2, v90
	s_delay_alu instid0(VALU_DEP_1) | instskip(SKIP_2) | instid1(SALU_CYCLE_1)
	v_cmp_eq_u32_e32 vcc_lo, 5, v91
	v_mov_b32_e32 v91, s8
	s_or_b32 s6, vcc_lo, s6
	s_and_not1_b32 exec_lo, exec_lo, s6
	s_cbranch_execnz .LBB9_75
; %bb.76:
	s_or_b32 exec_lo, exec_lo, s6
.LBB9_77:
	s_delay_alu instid0(SALU_CYCLE_1) | instskip(SKIP_3) | instid1(VALU_DEP_1)
	s_or_b32 exec_lo, exec_lo, s1
	v_and_b32_e32 v54, 7, v89
	s_mov_b32 s3, 0
	s_mov_b32 s2, exec_lo
	v_cmpx_ne_u32_e32 0, v54
	s_cbranch_execz .LBB9_81
; %bb.78:
	v_lshl_add_u32 v55, v91, 3, 0x50
	v_mov_b32_e32 v56, 0
.LBB9_79:                               ; =>This Inner Loop Header: Depth=1
	v_cmp_eq_u32_e32 vcc_lo, 1, v91
	v_cmp_eq_u32_e64 s1, 2, v91
	v_dual_cndmask_b32 v57, v35, v37 :: v_dual_add_nc_u32 v54, -1, v54
	v_cndmask_b32_e32 v58, v34, v36, vcc_lo
	v_cmp_eq_u32_e32 vcc_lo, 3, v91
	s_delay_alu instid0(VALU_DEP_3) | instskip(NEXT) | instid1(VALU_DEP_3)
	v_cndmask_b32_e64 v57, v57, v39, s1
	v_cndmask_b32_e64 v58, v58, v38, s1
	v_cmp_eq_u32_e64 s1, 4, v91
	s_delay_alu instid0(VALU_DEP_2) | instskip(SKIP_1) | instid1(VALU_DEP_2)
	v_dual_cndmask_b32 v57, v57, v41 :: v_dual_cndmask_b32 v58, v58, v40
	v_cmp_eq_u32_e32 vcc_lo, 5, v91
	v_cndmask_b32_e64 v57, v57, v43, s1
	s_delay_alu instid0(VALU_DEP_3) | instskip(SKIP_1) | instid1(VALU_DEP_2)
	v_cndmask_b32_e64 v58, v58, v42, s1
	v_cmp_eq_u32_e64 s1, 6, v91
	v_dual_cndmask_b32 v59, v57, v45 :: v_dual_cndmask_b32 v60, v58, v44
	ds_load_b64 v[57:58], v55
	v_cmp_eq_u32_e32 vcc_lo, 7, v91
	v_add_nc_u32_e32 v55, 8, v55
	v_cndmask_b32_e64 v59, v59, v47, s1
	v_cndmask_b32_e64 v60, v60, v46, s1
	v_cmp_eq_u32_e64 s1, 8, v91
	s_delay_alu instid0(VALU_DEP_2) | instskip(SKIP_1) | instid1(VALU_DEP_2)
	v_dual_cndmask_b32 v59, v59, v49 :: v_dual_cndmask_b32 v60, v60, v48
	v_cmp_eq_u32_e32 vcc_lo, 9, v91
	v_cndmask_b32_e64 v59, v59, v51, s1
	s_delay_alu instid0(VALU_DEP_3) | instskip(SKIP_1) | instid1(VALU_DEP_1)
	v_cndmask_b32_e64 v61, v60, v50, s1
	v_add_co_u32 v91, s1, v91, 1
	v_add_co_ci_u32_e64 v56, s1, 0, v56, s1
	s_delay_alu instid0(VALU_DEP_3) | instskip(SKIP_2) | instid1(VALU_DEP_2)
	v_dual_cndmask_b32 v60, v59, v53 :: v_dual_cndmask_b32 v59, v61, v52
	v_cmp_eq_u32_e32 vcc_lo, 0, v54
	s_waitcnt lgkmcnt(0)
	v_fma_f64 v[86:87], v[59:60], v[57:58], v[86:87]
	s_or_b32 s3, vcc_lo, s3
	s_delay_alu instid0(SALU_CYCLE_1)
	s_and_not1_b32 exec_lo, exec_lo, s3
	s_cbranch_execnz .LBB9_79
; %bb.80:
	s_or_b32 exec_lo, exec_lo, s3
.LBB9_81:
	s_delay_alu instid0(SALU_CYCLE_1)
	s_or_b32 exec_lo, exec_lo, s2
.LBB9_82:
	s_delay_alu instid0(SALU_CYCLE_1)
	s_or_b32 exec_lo, exec_lo, s5
	v_mov_b32_e32 v40, 0
	ds_load_b64 v[40:41], v40 offset:24
	s_waitcnt lgkmcnt(0)
	v_mul_f64 v[40:41], v[86:87], v[40:41]
.LBB9_83:
	s_or_b32 exec_lo, exec_lo, s4
	v_cmp_lt_u32_e64 s1, 2, v0
	ds_store_b64 v88, v[38:39]
	s_waitcnt lgkmcnt(0)
	s_barrier
	buffer_gl0_inv
	s_and_saveexec_b32 s4, s1
	s_cbranch_execz .LBB9_99
; %bb.84:
	s_and_not1_b32 vcc_lo, exec_lo, s10
	s_cbranch_vccnz .LBB9_86
; %bb.85:
	v_cmp_eq_u32_e32 vcc_lo, 1, v0
	v_dual_cndmask_b32 v86, v35, v37 :: v_dual_cndmask_b32 v87, v34, v36
	v_cmp_eq_u32_e32 vcc_lo, 2, v0
	s_delay_alu instid0(VALU_DEP_2) | instskip(SKIP_1) | instid1(VALU_DEP_2)
	v_dual_cndmask_b32 v86, v86, v39 :: v_dual_cndmask_b32 v87, v87, v38
	v_cmp_eq_u32_e32 vcc_lo, 3, v0
	v_dual_cndmask_b32 v86, v86, v41 :: v_dual_cndmask_b32 v87, v87, v40
	v_cmp_eq_u32_e32 vcc_lo, 4, v0
	s_delay_alu instid0(VALU_DEP_2) | instskip(SKIP_1) | instid1(VALU_DEP_2)
	v_dual_cndmask_b32 v86, v86, v43 :: v_dual_cndmask_b32 v87, v87, v42
	v_cmp_eq_u32_e32 vcc_lo, 5, v0
	v_dual_cndmask_b32 v86, v86, v45 :: v_dual_cndmask_b32 v87, v87, v44
	v_cmp_eq_u32_e32 vcc_lo, 6, v0
	s_delay_alu instid0(VALU_DEP_2) | instskip(SKIP_4) | instid1(VALU_DEP_2)
	v_dual_cndmask_b32 v89, v86, v47 :: v_dual_cndmask_b32 v90, v87, v46
	v_cmp_eq_u32_e32 vcc_lo, 7, v0
	ds_load_b64 v[86:87], v88
	v_dual_cndmask_b32 v89, v89, v49 :: v_dual_cndmask_b32 v90, v90, v48
	v_cmp_eq_u32_e32 vcc_lo, 8, v0
	v_cndmask_b32_e32 v89, v89, v51, vcc_lo
	s_delay_alu instid0(VALU_DEP_3) | instskip(SKIP_1) | instid1(VALU_DEP_2)
	v_cndmask_b32_e32 v91, v90, v50, vcc_lo
	v_cmp_eq_u32_e32 vcc_lo, 9, v0
	v_dual_cndmask_b32 v90, v89, v53 :: v_dual_cndmask_b32 v89, v91, v52
	s_waitcnt lgkmcnt(0)
	s_delay_alu instid0(VALU_DEP_1)
	v_mul_f64 v[86:87], v[89:90], v[86:87]
	s_cbranch_execz .LBB9_87
	s_branch .LBB9_88
.LBB9_86:
                                        ; implicit-def: $vgpr86_vgpr87
.LBB9_87:
	ds_load_b64 v[86:87], v88
.LBB9_88:
	s_and_saveexec_b32 s5, s0
	s_cbranch_execz .LBB9_98
; %bb.89:
	v_dual_mov_b32 v91, 3 :: v_dual_add_nc_u32 v90, -4, v0
	v_add_nc_u32_e32 v89, -3, v0
	s_mov_b32 s0, exec_lo
	s_delay_alu instid0(VALU_DEP_2)
	v_cmpx_lt_u32_e32 6, v90
	s_cbranch_execz .LBB9_93
; %bb.90:
	s_delay_alu instid0(VALU_DEP_2) | instskip(SKIP_3) | instid1(VALU_DEP_1)
	v_and_b32_e32 v90, -8, v89
	s_mov_b32 s6, 0
	s_mov_b64 s[2:3], 10
	s_movk_i32 s7, 0x68
	v_sub_nc_u32_e32 v90, 0, v90
.LBB9_91:                               ; =>This Inner Loop Header: Depth=1
	v_mov_b32_e32 v101, s7
	s_lshl_b32 s8, s2, 1
	s_delay_alu instid0(SALU_CYCLE_1)
	s_add_i32 m0, s8, -13
	v_movrels_b32_e32 v100, v34
	ds_load_2addr_b64 v[91:94], v101 offset1:1
	ds_load_2addr_b64 v[95:98], v101 offset0:2 offset1:3
	s_add_i32 m0, s8, -14
	v_movrels_b32_e32 v99, v34
	s_add_i32 m0, s8, -11
	s_waitcnt lgkmcnt(1)
	s_delay_alu instid0(VALU_DEP_1) | instskip(SKIP_4) | instid1(VALU_DEP_1)
	v_fma_f64 v[86:87], v[99:100], v[91:92], v[86:87]
	v_movrels_b32_e32 v92, v34
	s_add_i32 m0, s8, -12
	v_movrels_b32_e32 v91, v34
	s_add_i32 m0, s8, -9
	v_fma_f64 v[86:87], v[91:92], v[93:94], v[86:87]
	v_movrels_b32_e32 v92, v34
	s_add_i32 m0, s8, -10
	v_movrels_b32_e32 v91, v34
	s_add_i32 m0, s8, -7
	s_waitcnt lgkmcnt(0)
	s_delay_alu instid0(VALU_DEP_1)
	v_fma_f64 v[86:87], v[91:92], v[95:96], v[86:87]
	v_movrels_b32_e32 v92, v34
	s_add_i32 m0, s8, -8
	v_movrels_b32_e32 v91, v34
	s_add_i32 m0, s8, -5
	;; [unrolled: 2-line block ×4, first 2 shown]
	v_fma_f64 v[86:87], v[91:92], v[97:98], v[86:87]
	ds_load_2addr_b64 v[91:94], v101 offset0:4 offset1:5
	ds_load_2addr_b64 v[95:98], v101 offset0:6 offset1:7
	s_waitcnt lgkmcnt(1)
	v_fma_f64 v[86:87], v[99:100], v[91:92], v[86:87]
	v_movrels_b32_e32 v92, v34
	s_add_i32 m0, s8, -4
	v_movrels_b32_e32 v91, v34
	s_add_i32 m0, s8, -1
	s_delay_alu instid0(VALU_DEP_1)
	v_fma_f64 v[86:87], v[91:92], v[93:94], v[86:87]
	v_movrels_b32_e32 v92, v34
	s_add_i32 m0, s8, -2
	s_add_u32 s2, s2, 8
	v_movrels_b32_e32 v91, v34
	s_mov_b32 m0, s8
	s_addc_u32 s3, s3, 0
	s_add_i32 s8, s2, -7
	s_add_i32 s7, s7, 64
	s_waitcnt lgkmcnt(0)
	s_delay_alu instid0(VALU_DEP_3) | instskip(SKIP_2) | instid1(VALU_DEP_1)
	v_fma_f64 v[86:87], v[91:92], v[95:96], v[86:87]
	v_movrels_b32_e32 v92, v35
	v_movrels_b32_e32 v91, v34
	v_fma_f64 v[86:87], v[91:92], v[97:98], v[86:87]
	v_add_nc_u32_e32 v91, s2, v90
	s_delay_alu instid0(VALU_DEP_1) | instskip(SKIP_2) | instid1(SALU_CYCLE_1)
	v_cmp_eq_u32_e32 vcc_lo, 10, v91
	v_mov_b32_e32 v91, s8
	s_or_b32 s6, vcc_lo, s6
	s_and_not1_b32 exec_lo, exec_lo, s6
	s_cbranch_execnz .LBB9_91
; %bb.92:
	s_or_b32 exec_lo, exec_lo, s6
.LBB9_93:
	s_delay_alu instid0(SALU_CYCLE_1) | instskip(SKIP_3) | instid1(VALU_DEP_1)
	s_or_b32 exec_lo, exec_lo, s0
	v_and_b32_e32 v54, 7, v89
	s_mov_b32 s3, 0
	s_mov_b32 s2, exec_lo
	v_cmpx_ne_u32_e32 0, v54
	s_cbranch_execz .LBB9_97
; %bb.94:
	v_lshl_add_u32 v55, v91, 3, 0x50
	v_mov_b32_e32 v56, 0
.LBB9_95:                               ; =>This Inner Loop Header: Depth=1
	v_cmp_eq_u32_e32 vcc_lo, 1, v91
	v_cmp_eq_u32_e64 s0, 2, v91
	v_dual_cndmask_b32 v57, v35, v37 :: v_dual_add_nc_u32 v54, -1, v54
	v_cndmask_b32_e32 v58, v34, v36, vcc_lo
	v_cmp_eq_u32_e32 vcc_lo, 3, v91
	s_delay_alu instid0(VALU_DEP_3) | instskip(NEXT) | instid1(VALU_DEP_3)
	v_cndmask_b32_e64 v57, v57, v39, s0
	v_cndmask_b32_e64 v58, v58, v38, s0
	v_cmp_eq_u32_e64 s0, 4, v91
	s_delay_alu instid0(VALU_DEP_2) | instskip(SKIP_1) | instid1(VALU_DEP_2)
	v_dual_cndmask_b32 v57, v57, v41 :: v_dual_cndmask_b32 v58, v58, v40
	v_cmp_eq_u32_e32 vcc_lo, 5, v91
	v_cndmask_b32_e64 v57, v57, v43, s0
	s_delay_alu instid0(VALU_DEP_3) | instskip(SKIP_1) | instid1(VALU_DEP_2)
	v_cndmask_b32_e64 v58, v58, v42, s0
	v_cmp_eq_u32_e64 s0, 6, v91
	v_dual_cndmask_b32 v59, v57, v45 :: v_dual_cndmask_b32 v60, v58, v44
	ds_load_b64 v[57:58], v55
	v_cmp_eq_u32_e32 vcc_lo, 7, v91
	v_add_nc_u32_e32 v55, 8, v55
	v_cndmask_b32_e64 v59, v59, v47, s0
	v_cndmask_b32_e64 v60, v60, v46, s0
	v_cmp_eq_u32_e64 s0, 8, v91
	s_delay_alu instid0(VALU_DEP_2) | instskip(SKIP_1) | instid1(VALU_DEP_2)
	v_dual_cndmask_b32 v59, v59, v49 :: v_dual_cndmask_b32 v60, v60, v48
	v_cmp_eq_u32_e32 vcc_lo, 9, v91
	v_cndmask_b32_e64 v59, v59, v51, s0
	s_delay_alu instid0(VALU_DEP_3) | instskip(SKIP_1) | instid1(VALU_DEP_1)
	v_cndmask_b32_e64 v61, v60, v50, s0
	v_add_co_u32 v91, s0, v91, 1
	v_add_co_ci_u32_e64 v56, s0, 0, v56, s0
	s_delay_alu instid0(VALU_DEP_3) | instskip(SKIP_2) | instid1(VALU_DEP_2)
	v_dual_cndmask_b32 v60, v59, v53 :: v_dual_cndmask_b32 v59, v61, v52
	v_cmp_eq_u32_e32 vcc_lo, 0, v54
	s_waitcnt lgkmcnt(0)
	v_fma_f64 v[86:87], v[59:60], v[57:58], v[86:87]
	s_or_b32 s3, vcc_lo, s3
	s_delay_alu instid0(SALU_CYCLE_1)
	s_and_not1_b32 exec_lo, exec_lo, s3
	s_cbranch_execnz .LBB9_95
; %bb.96:
	s_or_b32 exec_lo, exec_lo, s3
.LBB9_97:
	s_delay_alu instid0(SALU_CYCLE_1)
	s_or_b32 exec_lo, exec_lo, s2
.LBB9_98:
	s_delay_alu instid0(SALU_CYCLE_1)
	s_or_b32 exec_lo, exec_lo, s5
	v_mov_b32_e32 v38, 0
	ds_load_b64 v[38:39], v38 offset:16
	s_waitcnt lgkmcnt(0)
	v_mul_f64 v[38:39], v[86:87], v[38:39]
.LBB9_99:
	s_or_b32 exec_lo, exec_lo, s4
	v_cmp_lt_u32_e64 s0, 1, v0
	ds_store_b64 v88, v[36:37]
	s_waitcnt lgkmcnt(0)
	s_barrier
	buffer_gl0_inv
	s_and_saveexec_b32 s4, s0
	s_cbranch_execz .LBB9_115
; %bb.100:
	s_and_not1_b32 vcc_lo, exec_lo, s10
	s_cbranch_vccnz .LBB9_102
; %bb.101:
	v_cmp_eq_u32_e32 vcc_lo, 1, v0
	v_dual_cndmask_b32 v86, v35, v37 :: v_dual_cndmask_b32 v87, v34, v36
	v_cmp_eq_u32_e32 vcc_lo, 2, v0
	s_delay_alu instid0(VALU_DEP_2) | instskip(SKIP_1) | instid1(VALU_DEP_2)
	v_dual_cndmask_b32 v86, v86, v39 :: v_dual_cndmask_b32 v87, v87, v38
	v_cmp_eq_u32_e32 vcc_lo, 3, v0
	v_dual_cndmask_b32 v86, v86, v41 :: v_dual_cndmask_b32 v87, v87, v40
	v_cmp_eq_u32_e32 vcc_lo, 4, v0
	s_delay_alu instid0(VALU_DEP_2) | instskip(SKIP_1) | instid1(VALU_DEP_2)
	v_dual_cndmask_b32 v86, v86, v43 :: v_dual_cndmask_b32 v87, v87, v42
	v_cmp_eq_u32_e32 vcc_lo, 5, v0
	v_dual_cndmask_b32 v86, v86, v45 :: v_dual_cndmask_b32 v87, v87, v44
	v_cmp_eq_u32_e32 vcc_lo, 6, v0
	s_delay_alu instid0(VALU_DEP_2) | instskip(SKIP_4) | instid1(VALU_DEP_2)
	v_dual_cndmask_b32 v89, v86, v47 :: v_dual_cndmask_b32 v90, v87, v46
	v_cmp_eq_u32_e32 vcc_lo, 7, v0
	ds_load_b64 v[86:87], v88
	v_dual_cndmask_b32 v89, v89, v49 :: v_dual_cndmask_b32 v90, v90, v48
	v_cmp_eq_u32_e32 vcc_lo, 8, v0
	v_cndmask_b32_e32 v89, v89, v51, vcc_lo
	s_delay_alu instid0(VALU_DEP_3) | instskip(SKIP_1) | instid1(VALU_DEP_2)
	v_cndmask_b32_e32 v91, v90, v50, vcc_lo
	v_cmp_eq_u32_e32 vcc_lo, 9, v0
	v_dual_cndmask_b32 v90, v89, v53 :: v_dual_cndmask_b32 v89, v91, v52
	s_waitcnt lgkmcnt(0)
	s_delay_alu instid0(VALU_DEP_1)
	v_mul_f64 v[86:87], v[89:90], v[86:87]
	s_cbranch_execz .LBB9_103
	s_branch .LBB9_104
.LBB9_102:
                                        ; implicit-def: $vgpr86_vgpr87
.LBB9_103:
	ds_load_b64 v[86:87], v88
.LBB9_104:
	s_and_saveexec_b32 s5, s1
	s_cbranch_execz .LBB9_114
; %bb.105:
	v_dual_mov_b32 v91, 2 :: v_dual_add_nc_u32 v90, -3, v0
	v_add_nc_u32_e32 v89, -2, v0
	s_mov_b32 s1, exec_lo
	s_delay_alu instid0(VALU_DEP_2)
	v_cmpx_lt_u32_e32 6, v90
	s_cbranch_execz .LBB9_109
; %bb.106:
	s_delay_alu instid0(VALU_DEP_2) | instskip(SKIP_3) | instid1(VALU_DEP_1)
	v_and_b32_e32 v90, -8, v89
	s_mov_b32 s6, 0
	s_mov_b64 s[2:3], 9
	s_movk_i32 s7, 0x60
	v_sub_nc_u32_e32 v90, 0, v90
.LBB9_107:                              ; =>This Inner Loop Header: Depth=1
	v_mov_b32_e32 v101, s7
	s_lshl_b32 s8, s2, 1
	s_delay_alu instid0(SALU_CYCLE_1)
	s_add_i32 m0, s8, -13
	v_movrels_b32_e32 v100, v34
	ds_load_b128 v[91:94], v101
	ds_load_b128 v[95:98], v101 offset:16
	s_add_i32 m0, s8, -14
	v_movrels_b32_e32 v99, v34
	s_add_i32 m0, s8, -11
	s_waitcnt lgkmcnt(1)
	s_delay_alu instid0(VALU_DEP_1) | instskip(SKIP_4) | instid1(VALU_DEP_1)
	v_fma_f64 v[86:87], v[99:100], v[91:92], v[86:87]
	v_movrels_b32_e32 v92, v34
	s_add_i32 m0, s8, -12
	v_movrels_b32_e32 v91, v34
	s_add_i32 m0, s8, -9
	v_fma_f64 v[86:87], v[91:92], v[93:94], v[86:87]
	v_movrels_b32_e32 v92, v34
	s_add_i32 m0, s8, -10
	v_movrels_b32_e32 v91, v34
	s_add_i32 m0, s8, -7
	s_waitcnt lgkmcnt(0)
	s_delay_alu instid0(VALU_DEP_1)
	v_fma_f64 v[86:87], v[91:92], v[95:96], v[86:87]
	v_movrels_b32_e32 v92, v34
	s_add_i32 m0, s8, -8
	v_movrels_b32_e32 v91, v34
	s_add_i32 m0, s8, -5
	;; [unrolled: 2-line block ×4, first 2 shown]
	v_fma_f64 v[86:87], v[91:92], v[97:98], v[86:87]
	ds_load_b128 v[91:94], v101 offset:32
	ds_load_b128 v[95:98], v101 offset:48
	s_waitcnt lgkmcnt(1)
	v_fma_f64 v[86:87], v[99:100], v[91:92], v[86:87]
	v_movrels_b32_e32 v92, v34
	s_add_i32 m0, s8, -4
	v_movrels_b32_e32 v91, v34
	s_add_i32 m0, s8, -1
	s_delay_alu instid0(VALU_DEP_1)
	v_fma_f64 v[86:87], v[91:92], v[93:94], v[86:87]
	v_movrels_b32_e32 v92, v34
	s_add_i32 m0, s8, -2
	s_add_u32 s2, s2, 8
	v_movrels_b32_e32 v91, v34
	s_mov_b32 m0, s8
	s_addc_u32 s3, s3, 0
	s_add_i32 s8, s2, -7
	s_add_i32 s7, s7, 64
	s_waitcnt lgkmcnt(0)
	s_delay_alu instid0(VALU_DEP_3) | instskip(SKIP_2) | instid1(VALU_DEP_1)
	v_fma_f64 v[86:87], v[91:92], v[95:96], v[86:87]
	v_movrels_b32_e32 v92, v35
	v_movrels_b32_e32 v91, v34
	v_fma_f64 v[86:87], v[91:92], v[97:98], v[86:87]
	v_add_nc_u32_e32 v91, s2, v90
	s_delay_alu instid0(VALU_DEP_1) | instskip(SKIP_2) | instid1(SALU_CYCLE_1)
	v_cmp_eq_u32_e32 vcc_lo, 9, v91
	v_mov_b32_e32 v91, s8
	s_or_b32 s6, vcc_lo, s6
	s_and_not1_b32 exec_lo, exec_lo, s6
	s_cbranch_execnz .LBB9_107
; %bb.108:
	s_or_b32 exec_lo, exec_lo, s6
.LBB9_109:
	s_delay_alu instid0(SALU_CYCLE_1) | instskip(SKIP_3) | instid1(VALU_DEP_1)
	s_or_b32 exec_lo, exec_lo, s1
	v_and_b32_e32 v54, 7, v89
	s_mov_b32 s3, 0
	s_mov_b32 s2, exec_lo
	v_cmpx_ne_u32_e32 0, v54
	s_cbranch_execz .LBB9_113
; %bb.110:
	v_lshl_add_u32 v55, v91, 3, 0x50
	v_mov_b32_e32 v56, 0
.LBB9_111:                              ; =>This Inner Loop Header: Depth=1
	v_cmp_eq_u32_e32 vcc_lo, 1, v91
	v_cmp_eq_u32_e64 s1, 2, v91
	v_dual_cndmask_b32 v57, v35, v37 :: v_dual_add_nc_u32 v54, -1, v54
	v_cndmask_b32_e32 v58, v34, v36, vcc_lo
	v_cmp_eq_u32_e32 vcc_lo, 3, v91
	s_delay_alu instid0(VALU_DEP_3) | instskip(NEXT) | instid1(VALU_DEP_3)
	v_cndmask_b32_e64 v57, v57, v39, s1
	v_cndmask_b32_e64 v58, v58, v38, s1
	v_cmp_eq_u32_e64 s1, 4, v91
	s_delay_alu instid0(VALU_DEP_2) | instskip(SKIP_1) | instid1(VALU_DEP_2)
	v_dual_cndmask_b32 v57, v57, v41 :: v_dual_cndmask_b32 v58, v58, v40
	v_cmp_eq_u32_e32 vcc_lo, 5, v91
	v_cndmask_b32_e64 v57, v57, v43, s1
	s_delay_alu instid0(VALU_DEP_3) | instskip(SKIP_1) | instid1(VALU_DEP_2)
	v_cndmask_b32_e64 v58, v58, v42, s1
	v_cmp_eq_u32_e64 s1, 6, v91
	v_dual_cndmask_b32 v59, v57, v45 :: v_dual_cndmask_b32 v60, v58, v44
	ds_load_b64 v[57:58], v55
	v_cmp_eq_u32_e32 vcc_lo, 7, v91
	v_add_nc_u32_e32 v55, 8, v55
	v_cndmask_b32_e64 v59, v59, v47, s1
	v_cndmask_b32_e64 v60, v60, v46, s1
	v_cmp_eq_u32_e64 s1, 8, v91
	s_delay_alu instid0(VALU_DEP_2) | instskip(SKIP_1) | instid1(VALU_DEP_2)
	v_dual_cndmask_b32 v59, v59, v49 :: v_dual_cndmask_b32 v60, v60, v48
	v_cmp_eq_u32_e32 vcc_lo, 9, v91
	v_cndmask_b32_e64 v59, v59, v51, s1
	s_delay_alu instid0(VALU_DEP_3) | instskip(SKIP_1) | instid1(VALU_DEP_1)
	v_cndmask_b32_e64 v61, v60, v50, s1
	v_add_co_u32 v91, s1, v91, 1
	v_add_co_ci_u32_e64 v56, s1, 0, v56, s1
	s_delay_alu instid0(VALU_DEP_3) | instskip(SKIP_2) | instid1(VALU_DEP_2)
	v_dual_cndmask_b32 v60, v59, v53 :: v_dual_cndmask_b32 v59, v61, v52
	v_cmp_eq_u32_e32 vcc_lo, 0, v54
	s_waitcnt lgkmcnt(0)
	v_fma_f64 v[86:87], v[59:60], v[57:58], v[86:87]
	s_or_b32 s3, vcc_lo, s3
	s_delay_alu instid0(SALU_CYCLE_1)
	s_and_not1_b32 exec_lo, exec_lo, s3
	s_cbranch_execnz .LBB9_111
; %bb.112:
	s_or_b32 exec_lo, exec_lo, s3
.LBB9_113:
	s_delay_alu instid0(SALU_CYCLE_1)
	s_or_b32 exec_lo, exec_lo, s2
.LBB9_114:
	s_delay_alu instid0(SALU_CYCLE_1)
	s_or_b32 exec_lo, exec_lo, s5
	v_mov_b32_e32 v36, 0
	ds_load_b64 v[36:37], v36 offset:8
	s_waitcnt lgkmcnt(0)
	v_mul_f64 v[36:37], v[86:87], v[36:37]
.LBB9_115:
	s_or_b32 exec_lo, exec_lo, s4
	s_mov_b32 s2, 0
	s_mov_b32 s3, exec_lo
	ds_store_b64 v88, v[34:35]
	s_waitcnt lgkmcnt(0)
	s_barrier
	buffer_gl0_inv
	v_cmpx_ne_u32_e32 0, v0
	s_cbranch_execz .LBB9_131
; %bb.116:
	s_and_not1_b32 vcc_lo, exec_lo, s10
	s_cbranch_vccnz .LBB9_118
; %bb.117:
	v_cmp_eq_u32_e32 vcc_lo, 1, v0
	v_dual_cndmask_b32 v86, v35, v37 :: v_dual_cndmask_b32 v87, v34, v36
	v_cmp_eq_u32_e32 vcc_lo, 2, v0
	s_delay_alu instid0(VALU_DEP_2) | instskip(SKIP_1) | instid1(VALU_DEP_2)
	v_dual_cndmask_b32 v86, v86, v39 :: v_dual_cndmask_b32 v87, v87, v38
	v_cmp_eq_u32_e32 vcc_lo, 3, v0
	v_dual_cndmask_b32 v86, v86, v41 :: v_dual_cndmask_b32 v87, v87, v40
	v_cmp_eq_u32_e32 vcc_lo, 4, v0
	s_delay_alu instid0(VALU_DEP_2) | instskip(SKIP_1) | instid1(VALU_DEP_2)
	v_dual_cndmask_b32 v86, v86, v43 :: v_dual_cndmask_b32 v87, v87, v42
	v_cmp_eq_u32_e32 vcc_lo, 5, v0
	v_dual_cndmask_b32 v86, v86, v45 :: v_dual_cndmask_b32 v87, v87, v44
	v_cmp_eq_u32_e32 vcc_lo, 6, v0
	s_delay_alu instid0(VALU_DEP_2) | instskip(SKIP_4) | instid1(VALU_DEP_2)
	v_dual_cndmask_b32 v89, v86, v47 :: v_dual_cndmask_b32 v90, v87, v46
	v_cmp_eq_u32_e32 vcc_lo, 7, v0
	ds_load_b64 v[86:87], v88
	v_dual_cndmask_b32 v89, v89, v49 :: v_dual_cndmask_b32 v90, v90, v48
	v_cmp_eq_u32_e32 vcc_lo, 8, v0
	v_cndmask_b32_e32 v89, v89, v51, vcc_lo
	s_delay_alu instid0(VALU_DEP_3) | instskip(SKIP_1) | instid1(VALU_DEP_2)
	v_cndmask_b32_e32 v91, v90, v50, vcc_lo
	v_cmp_eq_u32_e32 vcc_lo, 9, v0
	v_dual_cndmask_b32 v90, v89, v53 :: v_dual_cndmask_b32 v89, v91, v52
	s_waitcnt lgkmcnt(0)
	s_delay_alu instid0(VALU_DEP_1)
	v_mul_f64 v[86:87], v[89:90], v[86:87]
	s_cbranch_execz .LBB9_119
	s_branch .LBB9_120
.LBB9_118:
                                        ; implicit-def: $vgpr86_vgpr87
.LBB9_119:
	ds_load_b64 v[86:87], v88
.LBB9_120:
	s_and_saveexec_b32 s4, s0
	s_cbranch_execz .LBB9_130
; %bb.121:
	v_dual_mov_b32 v91, 1 :: v_dual_add_nc_u32 v90, -2, v0
	v_add_nc_u32_e32 v89, -1, v0
	s_mov_b32 s5, exec_lo
	s_delay_alu instid0(VALU_DEP_2)
	v_cmpx_lt_u32_e32 6, v90
	s_cbranch_execz .LBB9_125
; %bb.122:
	s_delay_alu instid0(VALU_DEP_2) | instskip(SKIP_3) | instid1(VALU_DEP_1)
	v_and_b32_e32 v90, -8, v89
	s_mov_b32 s6, 0
	s_mov_b64 s[0:1], 8
	s_movk_i32 s7, 0x58
	v_sub_nc_u32_e32 v90, 0, v90
.LBB9_123:                              ; =>This Inner Loop Header: Depth=1
	v_mov_b32_e32 v101, s7
	s_lshl_b32 s8, s0, 1
	s_delay_alu instid0(SALU_CYCLE_1)
	s_add_i32 m0, s8, -13
	v_movrels_b32_e32 v100, v34
	ds_load_2addr_b64 v[91:94], v101 offset1:1
	ds_load_2addr_b64 v[95:98], v101 offset0:2 offset1:3
	s_add_i32 m0, s8, -14
	v_movrels_b32_e32 v99, v34
	s_add_i32 m0, s8, -11
	s_waitcnt lgkmcnt(1)
	s_delay_alu instid0(VALU_DEP_1) | instskip(SKIP_4) | instid1(VALU_DEP_1)
	v_fma_f64 v[86:87], v[99:100], v[91:92], v[86:87]
	v_movrels_b32_e32 v92, v34
	s_add_i32 m0, s8, -12
	v_movrels_b32_e32 v91, v34
	s_add_i32 m0, s8, -9
	v_fma_f64 v[86:87], v[91:92], v[93:94], v[86:87]
	v_movrels_b32_e32 v92, v34
	s_add_i32 m0, s8, -10
	v_movrels_b32_e32 v91, v34
	s_add_i32 m0, s8, -7
	s_waitcnt lgkmcnt(0)
	s_delay_alu instid0(VALU_DEP_1)
	v_fma_f64 v[86:87], v[91:92], v[95:96], v[86:87]
	v_movrels_b32_e32 v92, v34
	s_add_i32 m0, s8, -8
	v_movrels_b32_e32 v91, v34
	s_add_i32 m0, s8, -5
	;; [unrolled: 2-line block ×4, first 2 shown]
	v_fma_f64 v[86:87], v[91:92], v[97:98], v[86:87]
	ds_load_2addr_b64 v[91:94], v101 offset0:4 offset1:5
	ds_load_2addr_b64 v[95:98], v101 offset0:6 offset1:7
	s_waitcnt lgkmcnt(1)
	v_fma_f64 v[86:87], v[99:100], v[91:92], v[86:87]
	v_movrels_b32_e32 v92, v34
	s_add_i32 m0, s8, -4
	v_movrels_b32_e32 v91, v34
	s_add_i32 m0, s8, -1
	s_delay_alu instid0(VALU_DEP_1)
	v_fma_f64 v[86:87], v[91:92], v[93:94], v[86:87]
	v_movrels_b32_e32 v92, v34
	s_add_i32 m0, s8, -2
	s_add_u32 s0, s0, 8
	v_movrels_b32_e32 v91, v34
	s_mov_b32 m0, s8
	s_addc_u32 s1, s1, 0
	s_add_i32 s8, s0, -7
	s_add_i32 s7, s7, 64
	s_waitcnt lgkmcnt(0)
	s_delay_alu instid0(VALU_DEP_3) | instskip(SKIP_2) | instid1(VALU_DEP_1)
	v_fma_f64 v[86:87], v[91:92], v[95:96], v[86:87]
	v_movrels_b32_e32 v92, v35
	v_movrels_b32_e32 v91, v34
	v_fma_f64 v[86:87], v[91:92], v[97:98], v[86:87]
	v_add_nc_u32_e32 v91, s0, v90
	s_delay_alu instid0(VALU_DEP_1) | instskip(SKIP_2) | instid1(SALU_CYCLE_1)
	v_cmp_eq_u32_e32 vcc_lo, 8, v91
	v_mov_b32_e32 v91, s8
	s_or_b32 s6, vcc_lo, s6
	s_and_not1_b32 exec_lo, exec_lo, s6
	s_cbranch_execnz .LBB9_123
; %bb.124:
	s_or_b32 exec_lo, exec_lo, s6
.LBB9_125:
	s_delay_alu instid0(SALU_CYCLE_1) | instskip(SKIP_3) | instid1(VALU_DEP_1)
	s_or_b32 exec_lo, exec_lo, s5
	v_and_b32_e32 v54, 7, v89
	s_mov_b32 s5, 0
	s_mov_b32 s1, exec_lo
	v_cmpx_ne_u32_e32 0, v54
	s_cbranch_execz .LBB9_129
; %bb.126:
	v_lshl_add_u32 v55, v91, 3, 0x50
	v_mov_b32_e32 v56, 0
.LBB9_127:                              ; =>This Inner Loop Header: Depth=1
	v_cmp_eq_u32_e32 vcc_lo, 1, v91
	v_cmp_eq_u32_e64 s0, 2, v91
	v_dual_cndmask_b32 v57, v35, v37 :: v_dual_add_nc_u32 v54, -1, v54
	v_cndmask_b32_e32 v58, v34, v36, vcc_lo
	v_cmp_eq_u32_e32 vcc_lo, 3, v91
	s_delay_alu instid0(VALU_DEP_3) | instskip(NEXT) | instid1(VALU_DEP_3)
	v_cndmask_b32_e64 v57, v57, v39, s0
	v_cndmask_b32_e64 v58, v58, v38, s0
	v_cmp_eq_u32_e64 s0, 4, v91
	s_delay_alu instid0(VALU_DEP_2) | instskip(SKIP_1) | instid1(VALU_DEP_2)
	v_dual_cndmask_b32 v57, v57, v41 :: v_dual_cndmask_b32 v58, v58, v40
	v_cmp_eq_u32_e32 vcc_lo, 5, v91
	v_cndmask_b32_e64 v57, v57, v43, s0
	s_delay_alu instid0(VALU_DEP_3) | instskip(SKIP_1) | instid1(VALU_DEP_2)
	v_cndmask_b32_e64 v58, v58, v42, s0
	v_cmp_eq_u32_e64 s0, 6, v91
	v_dual_cndmask_b32 v59, v57, v45 :: v_dual_cndmask_b32 v60, v58, v44
	ds_load_b64 v[57:58], v55
	v_cmp_eq_u32_e32 vcc_lo, 7, v91
	v_add_nc_u32_e32 v55, 8, v55
	v_cndmask_b32_e64 v59, v59, v47, s0
	v_cndmask_b32_e64 v60, v60, v46, s0
	v_cmp_eq_u32_e64 s0, 8, v91
	s_delay_alu instid0(VALU_DEP_2) | instskip(SKIP_1) | instid1(VALU_DEP_2)
	v_dual_cndmask_b32 v59, v59, v49 :: v_dual_cndmask_b32 v60, v60, v48
	v_cmp_eq_u32_e32 vcc_lo, 9, v91
	v_cndmask_b32_e64 v59, v59, v51, s0
	s_delay_alu instid0(VALU_DEP_3) | instskip(SKIP_1) | instid1(VALU_DEP_1)
	v_cndmask_b32_e64 v61, v60, v50, s0
	v_add_co_u32 v91, s0, v91, 1
	v_add_co_ci_u32_e64 v56, s0, 0, v56, s0
	s_delay_alu instid0(VALU_DEP_3) | instskip(SKIP_2) | instid1(VALU_DEP_2)
	v_dual_cndmask_b32 v60, v59, v53 :: v_dual_cndmask_b32 v59, v61, v52
	v_cmp_eq_u32_e32 vcc_lo, 0, v54
	s_waitcnt lgkmcnt(0)
	v_fma_f64 v[86:87], v[59:60], v[57:58], v[86:87]
	s_or_b32 s5, vcc_lo, s5
	s_delay_alu instid0(SALU_CYCLE_1)
	s_and_not1_b32 exec_lo, exec_lo, s5
	s_cbranch_execnz .LBB9_127
; %bb.128:
	s_or_b32 exec_lo, exec_lo, s5
.LBB9_129:
	s_delay_alu instid0(SALU_CYCLE_1)
	s_or_b32 exec_lo, exec_lo, s1
.LBB9_130:
	s_delay_alu instid0(SALU_CYCLE_1)
	s_or_b32 exec_lo, exec_lo, s4
	v_mov_b32_e32 v34, 0
	ds_load_b64 v[34:35], v34
	s_waitcnt lgkmcnt(0)
	v_mul_f64 v[34:35], v[86:87], v[34:35]
.LBB9_131:
	s_or_b32 exec_lo, exec_lo, s3
	s_delay_alu instid0(SALU_CYCLE_1)
	s_and_b32 vcc_lo, exec_lo, s2
	s_cbranch_vccz .LBB9_229
.LBB9_132:
	v_cmp_eq_u32_e64 s0, 0, v0
	s_waitcnt vmcnt(9)
	ds_store_b64 v88, v[4:5]
	s_waitcnt vmcnt(0) lgkmcnt(0)
	s_barrier
	buffer_gl0_inv
	s_and_saveexec_b32 s1, s0
	s_cbranch_execz .LBB9_138
; %bb.133:
	s_and_b32 vcc_lo, exec_lo, s10
	s_cbranch_vccz .LBB9_135
; %bb.134:
	v_cmp_eq_u32_e32 vcc_lo, 1, v0
	v_dual_cndmask_b32 v5, v3, v5 :: v_dual_cndmask_b32 v4, v2, v4
	v_cmp_eq_u32_e32 vcc_lo, 2, v0
	s_delay_alu instid0(VALU_DEP_2) | instskip(SKIP_1) | instid1(VALU_DEP_2)
	v_dual_cndmask_b32 v5, v5, v7 :: v_dual_cndmask_b32 v4, v4, v6
	v_cmp_eq_u32_e32 vcc_lo, 3, v0
	v_dual_cndmask_b32 v5, v5, v9 :: v_dual_cndmask_b32 v4, v4, v8
	v_cmp_eq_u32_e32 vcc_lo, 4, v0
	s_delay_alu instid0(VALU_DEP_2) | instskip(SKIP_1) | instid1(VALU_DEP_2)
	v_dual_cndmask_b32 v5, v5, v11 :: v_dual_cndmask_b32 v4, v4, v10
	v_cmp_eq_u32_e32 vcc_lo, 5, v0
	v_dual_cndmask_b32 v5, v5, v13 :: v_dual_cndmask_b32 v4, v4, v12
	v_cmp_eq_u32_e32 vcc_lo, 6, v0
	s_delay_alu instid0(VALU_DEP_2) | instskip(SKIP_4) | instid1(VALU_DEP_2)
	v_dual_cndmask_b32 v22, v5, v15 :: v_dual_cndmask_b32 v23, v4, v14
	v_cmp_eq_u32_e32 vcc_lo, 7, v0
	ds_load_b64 v[4:5], v88
	v_dual_cndmask_b32 v22, v22, v17 :: v_dual_cndmask_b32 v23, v23, v16
	v_cmp_eq_u32_e32 vcc_lo, 8, v0
	v_cndmask_b32_e32 v22, v22, v19, vcc_lo
	s_delay_alu instid0(VALU_DEP_3) | instskip(SKIP_1) | instid1(VALU_DEP_2)
	v_cndmask_b32_e32 v24, v23, v18, vcc_lo
	v_cmp_eq_u32_e32 vcc_lo, 9, v0
	v_dual_cndmask_b32 v23, v22, v21 :: v_dual_cndmask_b32 v22, v24, v20
	s_waitcnt lgkmcnt(0)
	s_delay_alu instid0(VALU_DEP_1)
	v_mul_f64 v[4:5], v[22:23], v[4:5]
	s_cbranch_execz .LBB9_136
	s_branch .LBB9_137
.LBB9_135:
                                        ; implicit-def: $vgpr4_vgpr5
.LBB9_136:
	ds_load_b64 v[4:5], v88
.LBB9_137:
	v_mov_b32_e32 v22, 0
	ds_load_b64 v[22:23], v22 offset:8
	s_waitcnt lgkmcnt(0)
	v_mul_f64 v[4:5], v[4:5], v[22:23]
.LBB9_138:
	s_or_b32 exec_lo, exec_lo, s1
	v_add_nc_u32_e32 v34, 1, v0
	v_cmp_gt_u32_e64 s1, 2, v0
	v_cndmask_b32_e64 v35, 0, 1, s10
	ds_store_b64 v88, v[6:7]
	s_waitcnt lgkmcnt(0)
	s_barrier
	buffer_gl0_inv
	s_and_saveexec_b32 s2, s1
	s_cbranch_execz .LBB9_146
; %bb.139:
	s_and_not1_b32 vcc_lo, exec_lo, s10
	s_cbranch_vccnz .LBB9_141
; %bb.140:
	v_cmp_eq_u32_e32 vcc_lo, 1, v0
	v_dual_cndmask_b32 v22, v3, v5 :: v_dual_cndmask_b32 v23, v2, v4
	v_cmp_eq_u32_e32 vcc_lo, 2, v0
	s_delay_alu instid0(VALU_DEP_2) | instskip(SKIP_1) | instid1(VALU_DEP_2)
	v_dual_cndmask_b32 v22, v22, v7 :: v_dual_cndmask_b32 v23, v23, v6
	v_cmp_eq_u32_e32 vcc_lo, 3, v0
	v_dual_cndmask_b32 v22, v22, v9 :: v_dual_cndmask_b32 v23, v23, v8
	v_cmp_eq_u32_e32 vcc_lo, 4, v0
	s_delay_alu instid0(VALU_DEP_2) | instskip(SKIP_1) | instid1(VALU_DEP_2)
	v_dual_cndmask_b32 v22, v22, v11 :: v_dual_cndmask_b32 v23, v23, v10
	v_cmp_eq_u32_e32 vcc_lo, 5, v0
	v_dual_cndmask_b32 v22, v22, v13 :: v_dual_cndmask_b32 v23, v23, v12
	v_cmp_eq_u32_e32 vcc_lo, 6, v0
	s_delay_alu instid0(VALU_DEP_2) | instskip(SKIP_4) | instid1(VALU_DEP_2)
	v_dual_cndmask_b32 v24, v22, v15 :: v_dual_cndmask_b32 v25, v23, v14
	v_cmp_eq_u32_e32 vcc_lo, 7, v0
	ds_load_b64 v[22:23], v88
	v_dual_cndmask_b32 v24, v24, v17 :: v_dual_cndmask_b32 v25, v25, v16
	v_cmp_eq_u32_e32 vcc_lo, 8, v0
	v_cndmask_b32_e32 v24, v24, v19, vcc_lo
	s_delay_alu instid0(VALU_DEP_3) | instskip(SKIP_1) | instid1(VALU_DEP_2)
	v_cndmask_b32_e32 v26, v25, v18, vcc_lo
	v_cmp_eq_u32_e32 vcc_lo, 9, v0
	v_dual_cndmask_b32 v25, v24, v21 :: v_dual_cndmask_b32 v24, v26, v20
	s_waitcnt lgkmcnt(0)
	s_delay_alu instid0(VALU_DEP_1)
	v_mul_f64 v[22:23], v[24:25], v[22:23]
	s_cbranch_execz .LBB9_142
	s_branch .LBB9_143
.LBB9_141:
                                        ; implicit-def: $vgpr22_vgpr23
.LBB9_142:
	ds_load_b64 v[22:23], v88
.LBB9_143:
	s_and_saveexec_b32 s3, s0
	s_cbranch_execz .LBB9_145
; %bb.144:
	v_cmp_eq_u32_e32 vcc_lo, 1, v34
	v_dual_cndmask_b32 v24, v3, v5 :: v_dual_cndmask_b32 v25, v2, v4
	v_cmp_eq_u32_e32 vcc_lo, 2, v34
	s_delay_alu instid0(VALU_DEP_2) | instskip(SKIP_1) | instid1(VALU_DEP_2)
	v_dual_cndmask_b32 v7, v24, v7 :: v_dual_cndmask_b32 v6, v25, v6
	v_cmp_eq_u32_e32 vcc_lo, 3, v34
	v_dual_cndmask_b32 v7, v7, v9 :: v_dual_cndmask_b32 v6, v6, v8
	v_cmp_eq_u32_e32 vcc_lo, 4, v34
	s_delay_alu instid0(VALU_DEP_2) | instskip(SKIP_1) | instid1(VALU_DEP_2)
	v_dual_cndmask_b32 v7, v7, v11 :: v_dual_cndmask_b32 v6, v6, v10
	v_cmp_eq_u32_e32 vcc_lo, 5, v34
	v_dual_cndmask_b32 v7, v7, v13 :: v_dual_cndmask_b32 v6, v6, v12
	v_cmp_eq_u32_e32 vcc_lo, 6, v34
	s_delay_alu instid0(VALU_DEP_2) | instskip(SKIP_4) | instid1(VALU_DEP_2)
	v_dual_cndmask_b32 v24, v7, v15 :: v_dual_cndmask_b32 v25, v6, v14
	v_cmp_eq_u32_e32 vcc_lo, 7, v34
	ds_load_b64 v[6:7], v88 offset:8
	v_dual_cndmask_b32 v24, v24, v17 :: v_dual_cndmask_b32 v25, v25, v16
	v_cmp_eq_u32_e32 vcc_lo, 8, v34
	v_cndmask_b32_e32 v24, v24, v19, vcc_lo
	s_delay_alu instid0(VALU_DEP_3) | instskip(SKIP_1) | instid1(VALU_DEP_2)
	v_cndmask_b32_e32 v26, v25, v18, vcc_lo
	v_cmp_eq_u32_e32 vcc_lo, 9, v34
	v_dual_cndmask_b32 v25, v24, v21 :: v_dual_cndmask_b32 v24, v26, v20
	s_waitcnt lgkmcnt(0)
	s_delay_alu instid0(VALU_DEP_1)
	v_fma_f64 v[22:23], v[24:25], v[6:7], v[22:23]
.LBB9_145:
	s_or_b32 exec_lo, exec_lo, s3
	v_mov_b32_e32 v6, 0
	ds_load_b64 v[6:7], v6 offset:16
	s_waitcnt lgkmcnt(0)
	v_mul_f64 v[6:7], v[22:23], v[6:7]
.LBB9_146:
	s_or_b32 exec_lo, exec_lo, s2
	s_delay_alu instid0(SALU_CYCLE_1)
	s_mov_b32 s2, exec_lo
	ds_store_b64 v88, v[8:9]
	s_waitcnt lgkmcnt(0)
	s_barrier
	buffer_gl0_inv
	v_cmpx_gt_u32_e32 3, v0
	s_cbranch_execz .LBB9_156
; %bb.147:
	v_cmp_ne_u32_e32 vcc_lo, 1, v35
	s_cbranch_vccnz .LBB9_149
; %bb.148:
	v_cmp_eq_u32_e32 vcc_lo, 1, v0
	v_dual_cndmask_b32 v22, v3, v5 :: v_dual_cndmask_b32 v23, v2, v4
	v_cmp_eq_u32_e32 vcc_lo, 2, v0
	s_delay_alu instid0(VALU_DEP_2) | instskip(SKIP_1) | instid1(VALU_DEP_2)
	v_dual_cndmask_b32 v22, v22, v7 :: v_dual_cndmask_b32 v23, v23, v6
	v_cmp_eq_u32_e32 vcc_lo, 3, v0
	v_dual_cndmask_b32 v22, v22, v9 :: v_dual_cndmask_b32 v23, v23, v8
	v_cmp_eq_u32_e32 vcc_lo, 4, v0
	s_delay_alu instid0(VALU_DEP_2) | instskip(SKIP_1) | instid1(VALU_DEP_2)
	v_dual_cndmask_b32 v22, v22, v11 :: v_dual_cndmask_b32 v23, v23, v10
	v_cmp_eq_u32_e32 vcc_lo, 5, v0
	v_dual_cndmask_b32 v22, v22, v13 :: v_dual_cndmask_b32 v23, v23, v12
	v_cmp_eq_u32_e32 vcc_lo, 6, v0
	s_delay_alu instid0(VALU_DEP_2) | instskip(SKIP_4) | instid1(VALU_DEP_2)
	v_dual_cndmask_b32 v24, v22, v15 :: v_dual_cndmask_b32 v25, v23, v14
	v_cmp_eq_u32_e32 vcc_lo, 7, v0
	ds_load_b64 v[22:23], v88
	v_dual_cndmask_b32 v24, v24, v17 :: v_dual_cndmask_b32 v25, v25, v16
	v_cmp_eq_u32_e32 vcc_lo, 8, v0
	v_cndmask_b32_e32 v24, v24, v19, vcc_lo
	s_delay_alu instid0(VALU_DEP_3) | instskip(SKIP_1) | instid1(VALU_DEP_2)
	v_cndmask_b32_e32 v26, v25, v18, vcc_lo
	v_cmp_eq_u32_e32 vcc_lo, 9, v0
	v_dual_cndmask_b32 v25, v24, v21 :: v_dual_cndmask_b32 v24, v26, v20
	s_waitcnt lgkmcnt(0)
	s_delay_alu instid0(VALU_DEP_1)
	v_mul_f64 v[22:23], v[24:25], v[22:23]
	s_cbranch_execz .LBB9_150
	s_branch .LBB9_151
.LBB9_149:
                                        ; implicit-def: $vgpr22_vgpr23
.LBB9_150:
	ds_load_b64 v[22:23], v88
.LBB9_151:
	s_mov_b32 s3, exec_lo
	v_cmpx_ne_u32_e32 2, v0
	s_cbranch_execz .LBB9_155
; %bb.152:
	v_cmp_eq_u32_e32 vcc_lo, 1, v34
	v_dual_cndmask_b32 v24, v3, v5 :: v_dual_cndmask_b32 v25, v2, v4
	v_cmp_eq_u32_e32 vcc_lo, 2, v34
	s_delay_alu instid0(VALU_DEP_2) | instskip(SKIP_1) | instid1(VALU_DEP_2)
	v_dual_cndmask_b32 v24, v24, v7 :: v_dual_cndmask_b32 v25, v25, v6
	v_cmp_eq_u32_e32 vcc_lo, 3, v34
	v_dual_cndmask_b32 v9, v24, v9 :: v_dual_cndmask_b32 v8, v25, v8
	v_cmp_eq_u32_e32 vcc_lo, 4, v34
	s_delay_alu instid0(VALU_DEP_2) | instskip(SKIP_1) | instid1(VALU_DEP_2)
	v_dual_cndmask_b32 v9, v9, v11 :: v_dual_cndmask_b32 v8, v8, v10
	v_cmp_eq_u32_e32 vcc_lo, 5, v34
	v_dual_cndmask_b32 v9, v9, v13 :: v_dual_cndmask_b32 v8, v8, v12
	v_cmp_eq_u32_e32 vcc_lo, 6, v34
	s_delay_alu instid0(VALU_DEP_2) | instskip(SKIP_4) | instid1(VALU_DEP_2)
	v_dual_cndmask_b32 v24, v9, v15 :: v_dual_cndmask_b32 v25, v8, v14
	v_cmp_eq_u32_e32 vcc_lo, 7, v34
	ds_load_b64 v[8:9], v88 offset:8
	v_dual_cndmask_b32 v24, v24, v17 :: v_dual_cndmask_b32 v25, v25, v16
	v_cmp_eq_u32_e32 vcc_lo, 8, v34
	v_cndmask_b32_e32 v24, v24, v19, vcc_lo
	s_delay_alu instid0(VALU_DEP_3) | instskip(SKIP_1) | instid1(VALU_DEP_2)
	v_cndmask_b32_e32 v26, v25, v18, vcc_lo
	v_cmp_eq_u32_e32 vcc_lo, 9, v34
	v_dual_cndmask_b32 v25, v24, v21 :: v_dual_cndmask_b32 v24, v26, v20
	s_waitcnt lgkmcnt(0)
	s_delay_alu instid0(VALU_DEP_1)
	v_fma_f64 v[22:23], v[24:25], v[8:9], v[22:23]
	s_and_saveexec_b32 s4, s0
	s_cbranch_execz .LBB9_154
; %bb.153:
	v_mov_b32_e32 v8, 0
	ds_load_b64 v[8:9], v8 offset:96
	s_waitcnt lgkmcnt(0)
	v_fma_f64 v[22:23], v[6:7], v[8:9], v[22:23]
.LBB9_154:
	s_or_b32 exec_lo, exec_lo, s4
.LBB9_155:
	s_delay_alu instid0(SALU_CYCLE_1)
	s_or_b32 exec_lo, exec_lo, s3
	v_mov_b32_e32 v8, 0
	ds_load_b64 v[8:9], v8 offset:24
	s_waitcnt lgkmcnt(0)
	v_mul_f64 v[8:9], v[22:23], v[8:9]
.LBB9_156:
	s_or_b32 exec_lo, exec_lo, s2
	v_cmp_gt_u32_e64 s2, 4, v0
	ds_store_b64 v88, v[10:11]
	s_waitcnt lgkmcnt(0)
	s_barrier
	buffer_gl0_inv
	s_and_saveexec_b32 s4, s2
	s_cbranch_execz .LBB9_166
; %bb.157:
	v_cmp_ne_u32_e32 vcc_lo, 1, v35
	s_cbranch_vccnz .LBB9_159
; %bb.158:
	v_cmp_eq_u32_e32 vcc_lo, 1, v0
	v_dual_cndmask_b32 v22, v3, v5 :: v_dual_cndmask_b32 v23, v2, v4
	v_cmp_eq_u32_e32 vcc_lo, 2, v0
	s_delay_alu instid0(VALU_DEP_2) | instskip(SKIP_1) | instid1(VALU_DEP_2)
	v_dual_cndmask_b32 v22, v22, v7 :: v_dual_cndmask_b32 v23, v23, v6
	v_cmp_eq_u32_e32 vcc_lo, 3, v0
	v_dual_cndmask_b32 v22, v22, v9 :: v_dual_cndmask_b32 v23, v23, v8
	v_cmp_eq_u32_e32 vcc_lo, 4, v0
	s_delay_alu instid0(VALU_DEP_2) | instskip(SKIP_1) | instid1(VALU_DEP_2)
	v_dual_cndmask_b32 v22, v22, v11 :: v_dual_cndmask_b32 v23, v23, v10
	v_cmp_eq_u32_e32 vcc_lo, 5, v0
	v_dual_cndmask_b32 v22, v22, v13 :: v_dual_cndmask_b32 v23, v23, v12
	v_cmp_eq_u32_e32 vcc_lo, 6, v0
	s_delay_alu instid0(VALU_DEP_2) | instskip(SKIP_4) | instid1(VALU_DEP_2)
	v_dual_cndmask_b32 v24, v22, v15 :: v_dual_cndmask_b32 v25, v23, v14
	v_cmp_eq_u32_e32 vcc_lo, 7, v0
	ds_load_b64 v[22:23], v88
	v_dual_cndmask_b32 v24, v24, v17 :: v_dual_cndmask_b32 v25, v25, v16
	v_cmp_eq_u32_e32 vcc_lo, 8, v0
	v_cndmask_b32_e32 v24, v24, v19, vcc_lo
	s_delay_alu instid0(VALU_DEP_3) | instskip(SKIP_1) | instid1(VALU_DEP_2)
	v_cndmask_b32_e32 v26, v25, v18, vcc_lo
	v_cmp_eq_u32_e32 vcc_lo, 9, v0
	v_dual_cndmask_b32 v25, v24, v21 :: v_dual_cndmask_b32 v24, v26, v20
	s_waitcnt lgkmcnt(0)
	s_delay_alu instid0(VALU_DEP_1)
	v_mul_f64 v[22:23], v[24:25], v[22:23]
	s_cbranch_execz .LBB9_160
	s_branch .LBB9_161
.LBB9_159:
                                        ; implicit-def: $vgpr22_vgpr23
.LBB9_160:
	ds_load_b64 v[22:23], v88
.LBB9_161:
	s_mov_b32 s5, exec_lo
	v_cmpx_ne_u32_e32 3, v0
	s_cbranch_execz .LBB9_165
; %bb.162:
	v_lshl_add_u32 v26, v0, 3, 0x58
	v_dual_mov_b32 v25, v1 :: v_dual_mov_b32 v24, v0
	s_mov_b32 s6, 0
.LBB9_163:                              ; =>This Inner Loop Header: Depth=1
	s_delay_alu instid0(VALU_DEP_1) | instskip(NEXT) | instid1(VALU_DEP_2)
	v_add_co_u32 v24, vcc_lo, v24, 1
	v_add_co_ci_u32_e32 v25, vcc_lo, 0, v25, vcc_lo
	s_delay_alu instid0(VALU_DEP_2) | instskip(SKIP_3) | instid1(VALU_DEP_2)
	v_cmp_eq_u32_e32 vcc_lo, 1, v24
	v_cmp_eq_u32_e64 s3, 2, v24
	v_dual_cndmask_b32 v27, v3, v5 :: v_dual_cndmask_b32 v28, v2, v4
	v_cmp_eq_u32_e32 vcc_lo, 3, v24
	v_cndmask_b32_e64 v27, v27, v7, s3
	s_delay_alu instid0(VALU_DEP_3) | instskip(SKIP_1) | instid1(VALU_DEP_2)
	v_cndmask_b32_e64 v28, v28, v6, s3
	v_cmp_eq_u32_e64 s3, 4, v24
	v_dual_cndmask_b32 v27, v27, v9 :: v_dual_cndmask_b32 v28, v28, v8
	v_cmp_eq_u32_e32 vcc_lo, 5, v24
	s_delay_alu instid0(VALU_DEP_2) | instskip(NEXT) | instid1(VALU_DEP_3)
	v_cndmask_b32_e64 v27, v27, v11, s3
	v_cndmask_b32_e64 v28, v28, v10, s3
	v_cmp_eq_u32_e64 s3, 6, v24
	s_delay_alu instid0(VALU_DEP_2)
	v_dual_cndmask_b32 v29, v27, v13 :: v_dual_cndmask_b32 v30, v28, v12
	ds_load_b64 v[27:28], v26
	v_cmp_eq_u32_e32 vcc_lo, 7, v24
	v_add_nc_u32_e32 v26, 8, v26
	v_cndmask_b32_e64 v29, v29, v15, s3
	v_cndmask_b32_e64 v30, v30, v14, s3
	v_cmp_eq_u32_e64 s3, 8, v24
	s_delay_alu instid0(VALU_DEP_2) | instskip(SKIP_1) | instid1(VALU_DEP_2)
	v_dual_cndmask_b32 v29, v29, v17 :: v_dual_cndmask_b32 v30, v30, v16
	v_cmp_eq_u32_e32 vcc_lo, 9, v24
	v_cndmask_b32_e64 v29, v29, v19, s3
	s_delay_alu instid0(VALU_DEP_3) | instskip(NEXT) | instid1(VALU_DEP_1)
	v_cndmask_b32_e64 v31, v30, v18, s3
	v_dual_cndmask_b32 v30, v29, v21 :: v_dual_cndmask_b32 v29, v31, v20
	v_cmp_lt_u32_e32 vcc_lo, 2, v24
	s_waitcnt lgkmcnt(0)
	s_delay_alu instid0(VALU_DEP_2) | instskip(SKIP_1) | instid1(SALU_CYCLE_1)
	v_fma_f64 v[22:23], v[29:30], v[27:28], v[22:23]
	s_or_b32 s6, vcc_lo, s6
	s_and_not1_b32 exec_lo, exec_lo, s6
	s_cbranch_execnz .LBB9_163
; %bb.164:
	s_or_b32 exec_lo, exec_lo, s6
.LBB9_165:
	s_delay_alu instid0(SALU_CYCLE_1)
	s_or_b32 exec_lo, exec_lo, s5
	v_mov_b32_e32 v10, 0
	ds_load_b64 v[10:11], v10 offset:32
	s_waitcnt lgkmcnt(0)
	v_mul_f64 v[10:11], v[22:23], v[10:11]
.LBB9_166:
	s_or_b32 exec_lo, exec_lo, s4
	s_delay_alu instid0(SALU_CYCLE_1)
	s_mov_b32 s4, exec_lo
	ds_store_b64 v88, v[12:13]
	s_waitcnt lgkmcnt(0)
	s_barrier
	buffer_gl0_inv
	v_cmpx_gt_u32_e32 5, v0
	s_cbranch_execz .LBB9_176
; %bb.167:
	v_cmp_ne_u32_e32 vcc_lo, 1, v35
	s_cbranch_vccnz .LBB9_169
; %bb.168:
	v_cmp_eq_u32_e32 vcc_lo, 1, v0
	v_dual_cndmask_b32 v22, v3, v5 :: v_dual_cndmask_b32 v23, v2, v4
	v_cmp_eq_u32_e32 vcc_lo, 2, v0
	s_delay_alu instid0(VALU_DEP_2) | instskip(SKIP_1) | instid1(VALU_DEP_2)
	v_dual_cndmask_b32 v22, v22, v7 :: v_dual_cndmask_b32 v23, v23, v6
	v_cmp_eq_u32_e32 vcc_lo, 3, v0
	v_dual_cndmask_b32 v22, v22, v9 :: v_dual_cndmask_b32 v23, v23, v8
	v_cmp_eq_u32_e32 vcc_lo, 4, v0
	s_delay_alu instid0(VALU_DEP_2) | instskip(SKIP_1) | instid1(VALU_DEP_2)
	v_dual_cndmask_b32 v22, v22, v11 :: v_dual_cndmask_b32 v23, v23, v10
	v_cmp_eq_u32_e32 vcc_lo, 5, v0
	v_dual_cndmask_b32 v22, v22, v13 :: v_dual_cndmask_b32 v23, v23, v12
	v_cmp_eq_u32_e32 vcc_lo, 6, v0
	s_delay_alu instid0(VALU_DEP_2) | instskip(SKIP_4) | instid1(VALU_DEP_2)
	v_dual_cndmask_b32 v24, v22, v15 :: v_dual_cndmask_b32 v25, v23, v14
	v_cmp_eq_u32_e32 vcc_lo, 7, v0
	ds_load_b64 v[22:23], v88
	v_dual_cndmask_b32 v24, v24, v17 :: v_dual_cndmask_b32 v25, v25, v16
	v_cmp_eq_u32_e32 vcc_lo, 8, v0
	v_cndmask_b32_e32 v24, v24, v19, vcc_lo
	s_delay_alu instid0(VALU_DEP_3) | instskip(SKIP_1) | instid1(VALU_DEP_2)
	v_cndmask_b32_e32 v26, v25, v18, vcc_lo
	v_cmp_eq_u32_e32 vcc_lo, 9, v0
	v_dual_cndmask_b32 v25, v24, v21 :: v_dual_cndmask_b32 v24, v26, v20
	s_waitcnt lgkmcnt(0)
	s_delay_alu instid0(VALU_DEP_1)
	v_mul_f64 v[22:23], v[24:25], v[22:23]
	s_cbranch_execz .LBB9_170
	s_branch .LBB9_171
.LBB9_169:
                                        ; implicit-def: $vgpr22_vgpr23
.LBB9_170:
	ds_load_b64 v[22:23], v88
.LBB9_171:
	s_mov_b32 s5, exec_lo
	v_cmpx_ne_u32_e32 4, v0
	s_cbranch_execz .LBB9_175
; %bb.172:
	v_lshl_add_u32 v26, v0, 3, 0x58
	v_dual_mov_b32 v25, v1 :: v_dual_mov_b32 v24, v0
	s_mov_b32 s6, 0
.LBB9_173:                              ; =>This Inner Loop Header: Depth=1
	s_delay_alu instid0(VALU_DEP_1) | instskip(NEXT) | instid1(VALU_DEP_2)
	v_add_co_u32 v24, vcc_lo, v24, 1
	v_add_co_ci_u32_e32 v25, vcc_lo, 0, v25, vcc_lo
	s_delay_alu instid0(VALU_DEP_2) | instskip(SKIP_3) | instid1(VALU_DEP_2)
	v_cmp_eq_u32_e32 vcc_lo, 1, v24
	v_cmp_eq_u32_e64 s3, 2, v24
	v_dual_cndmask_b32 v27, v3, v5 :: v_dual_cndmask_b32 v28, v2, v4
	v_cmp_eq_u32_e32 vcc_lo, 3, v24
	v_cndmask_b32_e64 v27, v27, v7, s3
	s_delay_alu instid0(VALU_DEP_3) | instskip(SKIP_1) | instid1(VALU_DEP_2)
	v_cndmask_b32_e64 v28, v28, v6, s3
	v_cmp_eq_u32_e64 s3, 4, v24
	v_dual_cndmask_b32 v27, v27, v9 :: v_dual_cndmask_b32 v28, v28, v8
	v_cmp_eq_u32_e32 vcc_lo, 5, v24
	s_delay_alu instid0(VALU_DEP_2) | instskip(NEXT) | instid1(VALU_DEP_3)
	v_cndmask_b32_e64 v27, v27, v11, s3
	v_cndmask_b32_e64 v28, v28, v10, s3
	v_cmp_eq_u32_e64 s3, 6, v24
	s_delay_alu instid0(VALU_DEP_2)
	v_dual_cndmask_b32 v29, v27, v13 :: v_dual_cndmask_b32 v30, v28, v12
	ds_load_b64 v[27:28], v26
	v_cmp_eq_u32_e32 vcc_lo, 7, v24
	v_add_nc_u32_e32 v26, 8, v26
	v_cndmask_b32_e64 v29, v29, v15, s3
	v_cndmask_b32_e64 v30, v30, v14, s3
	v_cmp_eq_u32_e64 s3, 8, v24
	s_delay_alu instid0(VALU_DEP_2) | instskip(SKIP_1) | instid1(VALU_DEP_2)
	v_dual_cndmask_b32 v29, v29, v17 :: v_dual_cndmask_b32 v30, v30, v16
	v_cmp_eq_u32_e32 vcc_lo, 9, v24
	v_cndmask_b32_e64 v29, v29, v19, s3
	s_delay_alu instid0(VALU_DEP_3) | instskip(NEXT) | instid1(VALU_DEP_1)
	v_cndmask_b32_e64 v31, v30, v18, s3
	v_dual_cndmask_b32 v30, v29, v21 :: v_dual_cndmask_b32 v29, v31, v20
	v_cmp_lt_u32_e32 vcc_lo, 3, v24
	s_waitcnt lgkmcnt(0)
	s_delay_alu instid0(VALU_DEP_2) | instskip(SKIP_1) | instid1(SALU_CYCLE_1)
	v_fma_f64 v[22:23], v[29:30], v[27:28], v[22:23]
	s_or_b32 s6, vcc_lo, s6
	s_and_not1_b32 exec_lo, exec_lo, s6
	s_cbranch_execnz .LBB9_173
; %bb.174:
	s_or_b32 exec_lo, exec_lo, s6
.LBB9_175:
	s_delay_alu instid0(SALU_CYCLE_1)
	s_or_b32 exec_lo, exec_lo, s5
	v_mov_b32_e32 v12, 0
	ds_load_b64 v[12:13], v12 offset:40
	s_waitcnt lgkmcnt(0)
	v_mul_f64 v[12:13], v[22:23], v[12:13]
.LBB9_176:
	s_or_b32 exec_lo, exec_lo, s4
	v_cmp_gt_u32_e64 s3, 6, v0
	ds_store_b64 v88, v[14:15]
	s_waitcnt lgkmcnt(0)
	s_barrier
	buffer_gl0_inv
	s_and_saveexec_b32 s5, s3
	s_cbranch_execz .LBB9_186
; %bb.177:
	v_cmp_ne_u32_e32 vcc_lo, 1, v35
	s_cbranch_vccnz .LBB9_179
; %bb.178:
	v_cmp_eq_u32_e32 vcc_lo, 1, v0
	v_dual_cndmask_b32 v22, v3, v5 :: v_dual_cndmask_b32 v23, v2, v4
	v_cmp_eq_u32_e32 vcc_lo, 2, v0
	s_delay_alu instid0(VALU_DEP_2) | instskip(SKIP_1) | instid1(VALU_DEP_2)
	v_dual_cndmask_b32 v22, v22, v7 :: v_dual_cndmask_b32 v23, v23, v6
	v_cmp_eq_u32_e32 vcc_lo, 3, v0
	v_dual_cndmask_b32 v22, v22, v9 :: v_dual_cndmask_b32 v23, v23, v8
	v_cmp_eq_u32_e32 vcc_lo, 4, v0
	s_delay_alu instid0(VALU_DEP_2) | instskip(SKIP_1) | instid1(VALU_DEP_2)
	v_dual_cndmask_b32 v22, v22, v11 :: v_dual_cndmask_b32 v23, v23, v10
	v_cmp_eq_u32_e32 vcc_lo, 5, v0
	v_dual_cndmask_b32 v22, v22, v13 :: v_dual_cndmask_b32 v23, v23, v12
	v_cmp_eq_u32_e32 vcc_lo, 6, v0
	s_delay_alu instid0(VALU_DEP_2) | instskip(SKIP_4) | instid1(VALU_DEP_2)
	v_dual_cndmask_b32 v24, v22, v15 :: v_dual_cndmask_b32 v25, v23, v14
	v_cmp_eq_u32_e32 vcc_lo, 7, v0
	ds_load_b64 v[22:23], v88
	v_dual_cndmask_b32 v24, v24, v17 :: v_dual_cndmask_b32 v25, v25, v16
	v_cmp_eq_u32_e32 vcc_lo, 8, v0
	v_cndmask_b32_e32 v24, v24, v19, vcc_lo
	s_delay_alu instid0(VALU_DEP_3) | instskip(SKIP_1) | instid1(VALU_DEP_2)
	v_cndmask_b32_e32 v26, v25, v18, vcc_lo
	v_cmp_eq_u32_e32 vcc_lo, 9, v0
	v_dual_cndmask_b32 v25, v24, v21 :: v_dual_cndmask_b32 v24, v26, v20
	s_waitcnt lgkmcnt(0)
	s_delay_alu instid0(VALU_DEP_1)
	v_mul_f64 v[22:23], v[24:25], v[22:23]
	s_cbranch_execz .LBB9_180
	s_branch .LBB9_181
.LBB9_179:
                                        ; implicit-def: $vgpr22_vgpr23
.LBB9_180:
	ds_load_b64 v[22:23], v88
.LBB9_181:
	s_mov_b32 s6, exec_lo
	v_cmpx_ne_u32_e32 5, v0
	s_cbranch_execz .LBB9_185
; %bb.182:
	v_lshl_add_u32 v26, v0, 3, 0x58
	v_dual_mov_b32 v25, v1 :: v_dual_mov_b32 v24, v0
	s_mov_b32 s7, 0
.LBB9_183:                              ; =>This Inner Loop Header: Depth=1
	s_delay_alu instid0(VALU_DEP_1) | instskip(NEXT) | instid1(VALU_DEP_2)
	v_add_co_u32 v24, vcc_lo, v24, 1
	v_add_co_ci_u32_e32 v25, vcc_lo, 0, v25, vcc_lo
	s_delay_alu instid0(VALU_DEP_2) | instskip(SKIP_3) | instid1(VALU_DEP_2)
	v_cmp_eq_u32_e32 vcc_lo, 1, v24
	v_cmp_eq_u32_e64 s4, 2, v24
	v_dual_cndmask_b32 v27, v3, v5 :: v_dual_cndmask_b32 v28, v2, v4
	v_cmp_eq_u32_e32 vcc_lo, 3, v24
	v_cndmask_b32_e64 v27, v27, v7, s4
	s_delay_alu instid0(VALU_DEP_3) | instskip(SKIP_1) | instid1(VALU_DEP_2)
	v_cndmask_b32_e64 v28, v28, v6, s4
	v_cmp_eq_u32_e64 s4, 4, v24
	v_dual_cndmask_b32 v27, v27, v9 :: v_dual_cndmask_b32 v28, v28, v8
	v_cmp_eq_u32_e32 vcc_lo, 5, v24
	s_delay_alu instid0(VALU_DEP_2) | instskip(NEXT) | instid1(VALU_DEP_3)
	v_cndmask_b32_e64 v27, v27, v11, s4
	v_cndmask_b32_e64 v28, v28, v10, s4
	v_cmp_eq_u32_e64 s4, 6, v24
	s_delay_alu instid0(VALU_DEP_2)
	v_dual_cndmask_b32 v29, v27, v13 :: v_dual_cndmask_b32 v30, v28, v12
	ds_load_b64 v[27:28], v26
	v_cmp_eq_u32_e32 vcc_lo, 7, v24
	v_add_nc_u32_e32 v26, 8, v26
	v_cndmask_b32_e64 v29, v29, v15, s4
	v_cndmask_b32_e64 v30, v30, v14, s4
	v_cmp_eq_u32_e64 s4, 8, v24
	s_delay_alu instid0(VALU_DEP_2) | instskip(SKIP_1) | instid1(VALU_DEP_2)
	v_dual_cndmask_b32 v29, v29, v17 :: v_dual_cndmask_b32 v30, v30, v16
	v_cmp_eq_u32_e32 vcc_lo, 9, v24
	v_cndmask_b32_e64 v29, v29, v19, s4
	s_delay_alu instid0(VALU_DEP_3) | instskip(NEXT) | instid1(VALU_DEP_1)
	v_cndmask_b32_e64 v31, v30, v18, s4
	v_dual_cndmask_b32 v30, v29, v21 :: v_dual_cndmask_b32 v29, v31, v20
	v_cmp_lt_u32_e32 vcc_lo, 4, v24
	s_waitcnt lgkmcnt(0)
	s_delay_alu instid0(VALU_DEP_2) | instskip(SKIP_1) | instid1(SALU_CYCLE_1)
	v_fma_f64 v[22:23], v[29:30], v[27:28], v[22:23]
	s_or_b32 s7, vcc_lo, s7
	s_and_not1_b32 exec_lo, exec_lo, s7
	s_cbranch_execnz .LBB9_183
; %bb.184:
	s_or_b32 exec_lo, exec_lo, s7
.LBB9_185:
	s_delay_alu instid0(SALU_CYCLE_1)
	s_or_b32 exec_lo, exec_lo, s6
	v_mov_b32_e32 v14, 0
	ds_load_b64 v[14:15], v14 offset:48
	s_waitcnt lgkmcnt(0)
	v_mul_f64 v[14:15], v[22:23], v[14:15]
.LBB9_186:
	s_or_b32 exec_lo, exec_lo, s5
	s_delay_alu instid0(SALU_CYCLE_1)
	s_mov_b32 s5, exec_lo
	ds_store_b64 v88, v[16:17]
	s_waitcnt lgkmcnt(0)
	s_barrier
	buffer_gl0_inv
	v_cmpx_gt_u32_e32 7, v0
	s_cbranch_execz .LBB9_196
; %bb.187:
	v_cmp_ne_u32_e32 vcc_lo, 1, v35
	s_cbranch_vccnz .LBB9_189
; %bb.188:
	v_cmp_eq_u32_e32 vcc_lo, 1, v0
	v_dual_cndmask_b32 v22, v3, v5 :: v_dual_cndmask_b32 v23, v2, v4
	v_cmp_eq_u32_e32 vcc_lo, 2, v0
	s_delay_alu instid0(VALU_DEP_2) | instskip(SKIP_1) | instid1(VALU_DEP_2)
	v_dual_cndmask_b32 v22, v22, v7 :: v_dual_cndmask_b32 v23, v23, v6
	v_cmp_eq_u32_e32 vcc_lo, 3, v0
	v_dual_cndmask_b32 v22, v22, v9 :: v_dual_cndmask_b32 v23, v23, v8
	v_cmp_eq_u32_e32 vcc_lo, 4, v0
	s_delay_alu instid0(VALU_DEP_2) | instskip(SKIP_1) | instid1(VALU_DEP_2)
	v_dual_cndmask_b32 v22, v22, v11 :: v_dual_cndmask_b32 v23, v23, v10
	v_cmp_eq_u32_e32 vcc_lo, 5, v0
	v_dual_cndmask_b32 v22, v22, v13 :: v_dual_cndmask_b32 v23, v23, v12
	v_cmp_eq_u32_e32 vcc_lo, 6, v0
	s_delay_alu instid0(VALU_DEP_2) | instskip(SKIP_4) | instid1(VALU_DEP_2)
	v_dual_cndmask_b32 v24, v22, v15 :: v_dual_cndmask_b32 v25, v23, v14
	v_cmp_eq_u32_e32 vcc_lo, 7, v0
	ds_load_b64 v[22:23], v88
	v_dual_cndmask_b32 v24, v24, v17 :: v_dual_cndmask_b32 v25, v25, v16
	v_cmp_eq_u32_e32 vcc_lo, 8, v0
	v_cndmask_b32_e32 v24, v24, v19, vcc_lo
	s_delay_alu instid0(VALU_DEP_3) | instskip(SKIP_1) | instid1(VALU_DEP_2)
	v_cndmask_b32_e32 v26, v25, v18, vcc_lo
	v_cmp_eq_u32_e32 vcc_lo, 9, v0
	v_dual_cndmask_b32 v25, v24, v21 :: v_dual_cndmask_b32 v24, v26, v20
	s_waitcnt lgkmcnt(0)
	s_delay_alu instid0(VALU_DEP_1)
	v_mul_f64 v[22:23], v[24:25], v[22:23]
	s_cbranch_execz .LBB9_190
	s_branch .LBB9_191
.LBB9_189:
                                        ; implicit-def: $vgpr22_vgpr23
.LBB9_190:
	ds_load_b64 v[22:23], v88
.LBB9_191:
	s_mov_b32 s6, exec_lo
	v_cmpx_ne_u32_e32 6, v0
	s_cbranch_execz .LBB9_195
; %bb.192:
	v_lshl_add_u32 v26, v0, 3, 0x58
	v_dual_mov_b32 v25, v1 :: v_dual_mov_b32 v24, v0
	s_mov_b32 s7, 0
.LBB9_193:                              ; =>This Inner Loop Header: Depth=1
	s_delay_alu instid0(VALU_DEP_1) | instskip(NEXT) | instid1(VALU_DEP_2)
	v_add_co_u32 v24, vcc_lo, v24, 1
	v_add_co_ci_u32_e32 v25, vcc_lo, 0, v25, vcc_lo
	s_delay_alu instid0(VALU_DEP_2) | instskip(SKIP_3) | instid1(VALU_DEP_2)
	v_cmp_eq_u32_e32 vcc_lo, 1, v24
	v_cmp_eq_u32_e64 s4, 2, v24
	v_dual_cndmask_b32 v27, v3, v5 :: v_dual_cndmask_b32 v28, v2, v4
	v_cmp_eq_u32_e32 vcc_lo, 3, v24
	v_cndmask_b32_e64 v27, v27, v7, s4
	s_delay_alu instid0(VALU_DEP_3) | instskip(SKIP_1) | instid1(VALU_DEP_2)
	v_cndmask_b32_e64 v28, v28, v6, s4
	v_cmp_eq_u32_e64 s4, 4, v24
	v_dual_cndmask_b32 v27, v27, v9 :: v_dual_cndmask_b32 v28, v28, v8
	v_cmp_eq_u32_e32 vcc_lo, 5, v24
	s_delay_alu instid0(VALU_DEP_2) | instskip(NEXT) | instid1(VALU_DEP_3)
	v_cndmask_b32_e64 v27, v27, v11, s4
	v_cndmask_b32_e64 v28, v28, v10, s4
	v_cmp_eq_u32_e64 s4, 6, v24
	s_delay_alu instid0(VALU_DEP_2)
	v_dual_cndmask_b32 v29, v27, v13 :: v_dual_cndmask_b32 v30, v28, v12
	ds_load_b64 v[27:28], v26
	v_cmp_eq_u32_e32 vcc_lo, 7, v24
	v_add_nc_u32_e32 v26, 8, v26
	v_cndmask_b32_e64 v29, v29, v15, s4
	v_cndmask_b32_e64 v30, v30, v14, s4
	v_cmp_eq_u32_e64 s4, 8, v24
	s_delay_alu instid0(VALU_DEP_2) | instskip(SKIP_1) | instid1(VALU_DEP_2)
	v_dual_cndmask_b32 v29, v29, v17 :: v_dual_cndmask_b32 v30, v30, v16
	v_cmp_eq_u32_e32 vcc_lo, 9, v24
	v_cndmask_b32_e64 v29, v29, v19, s4
	s_delay_alu instid0(VALU_DEP_3) | instskip(NEXT) | instid1(VALU_DEP_1)
	v_cndmask_b32_e64 v31, v30, v18, s4
	v_dual_cndmask_b32 v30, v29, v21 :: v_dual_cndmask_b32 v29, v31, v20
	v_cmp_lt_u32_e32 vcc_lo, 5, v24
	s_waitcnt lgkmcnt(0)
	s_delay_alu instid0(VALU_DEP_2) | instskip(SKIP_1) | instid1(SALU_CYCLE_1)
	v_fma_f64 v[22:23], v[29:30], v[27:28], v[22:23]
	s_or_b32 s7, vcc_lo, s7
	s_and_not1_b32 exec_lo, exec_lo, s7
	s_cbranch_execnz .LBB9_193
; %bb.194:
	s_or_b32 exec_lo, exec_lo, s7
.LBB9_195:
	s_delay_alu instid0(SALU_CYCLE_1)
	s_or_b32 exec_lo, exec_lo, s6
	v_mov_b32_e32 v16, 0
	ds_load_b64 v[16:17], v16 offset:56
	s_waitcnt lgkmcnt(0)
	v_mul_f64 v[16:17], v[22:23], v[16:17]
.LBB9_196:
	s_or_b32 exec_lo, exec_lo, s5
	v_cmp_gt_u32_e64 s4, 8, v0
	ds_store_b64 v88, v[18:19]
	s_waitcnt lgkmcnt(0)
	s_barrier
	buffer_gl0_inv
	s_and_saveexec_b32 s6, s4
	s_cbranch_execz .LBB9_206
; %bb.197:
	v_cmp_ne_u32_e32 vcc_lo, 1, v35
	s_cbranch_vccnz .LBB9_199
; %bb.198:
	v_cmp_eq_u32_e32 vcc_lo, 1, v0
	v_dual_cndmask_b32 v22, v3, v5 :: v_dual_cndmask_b32 v23, v2, v4
	v_cmp_eq_u32_e32 vcc_lo, 2, v0
	s_delay_alu instid0(VALU_DEP_2) | instskip(SKIP_1) | instid1(VALU_DEP_2)
	v_dual_cndmask_b32 v22, v22, v7 :: v_dual_cndmask_b32 v23, v23, v6
	v_cmp_eq_u32_e32 vcc_lo, 3, v0
	v_dual_cndmask_b32 v22, v22, v9 :: v_dual_cndmask_b32 v23, v23, v8
	v_cmp_eq_u32_e32 vcc_lo, 4, v0
	s_delay_alu instid0(VALU_DEP_2) | instskip(SKIP_1) | instid1(VALU_DEP_2)
	v_dual_cndmask_b32 v22, v22, v11 :: v_dual_cndmask_b32 v23, v23, v10
	v_cmp_eq_u32_e32 vcc_lo, 5, v0
	v_dual_cndmask_b32 v22, v22, v13 :: v_dual_cndmask_b32 v23, v23, v12
	v_cmp_eq_u32_e32 vcc_lo, 6, v0
	s_delay_alu instid0(VALU_DEP_2) | instskip(SKIP_4) | instid1(VALU_DEP_2)
	v_dual_cndmask_b32 v24, v22, v15 :: v_dual_cndmask_b32 v25, v23, v14
	v_cmp_eq_u32_e32 vcc_lo, 7, v0
	ds_load_b64 v[22:23], v88
	v_dual_cndmask_b32 v24, v24, v17 :: v_dual_cndmask_b32 v25, v25, v16
	v_cmp_eq_u32_e32 vcc_lo, 8, v0
	v_cndmask_b32_e32 v24, v24, v19, vcc_lo
	s_delay_alu instid0(VALU_DEP_3) | instskip(SKIP_1) | instid1(VALU_DEP_2)
	v_cndmask_b32_e32 v26, v25, v18, vcc_lo
	v_cmp_eq_u32_e32 vcc_lo, 9, v0
	v_dual_cndmask_b32 v25, v24, v21 :: v_dual_cndmask_b32 v24, v26, v20
	s_waitcnt lgkmcnt(0)
	s_delay_alu instid0(VALU_DEP_1)
	v_mul_f64 v[22:23], v[24:25], v[22:23]
	s_cbranch_execz .LBB9_200
	s_branch .LBB9_201
.LBB9_199:
                                        ; implicit-def: $vgpr22_vgpr23
.LBB9_200:
	ds_load_b64 v[22:23], v88
.LBB9_201:
	s_mov_b32 s7, exec_lo
	v_cmpx_ne_u32_e32 7, v0
	s_cbranch_execz .LBB9_205
; %bb.202:
	v_lshl_add_u32 v26, v0, 3, 0x58
	v_dual_mov_b32 v25, v1 :: v_dual_mov_b32 v24, v0
	s_mov_b32 s8, 0
.LBB9_203:                              ; =>This Inner Loop Header: Depth=1
	s_delay_alu instid0(VALU_DEP_1) | instskip(NEXT) | instid1(VALU_DEP_2)
	v_add_co_u32 v24, vcc_lo, v24, 1
	v_add_co_ci_u32_e32 v25, vcc_lo, 0, v25, vcc_lo
	s_delay_alu instid0(VALU_DEP_2) | instskip(SKIP_4) | instid1(VALU_DEP_3)
	v_cmp_eq_u32_e32 vcc_lo, 1, v24
	v_cmp_eq_u32_e64 s5, 2, v24
	v_cndmask_b32_e32 v1, v3, v5, vcc_lo
	v_cndmask_b32_e32 v27, v2, v4, vcc_lo
	v_cmp_eq_u32_e32 vcc_lo, 3, v24
	v_cndmask_b32_e64 v1, v1, v7, s5
	s_delay_alu instid0(VALU_DEP_3) | instskip(SKIP_1) | instid1(VALU_DEP_3)
	v_cndmask_b32_e64 v27, v27, v6, s5
	v_cmp_eq_u32_e64 s5, 4, v24
	v_cndmask_b32_e32 v1, v1, v9, vcc_lo
	s_delay_alu instid0(VALU_DEP_3) | instskip(SKIP_1) | instid1(VALU_DEP_3)
	v_cndmask_b32_e32 v27, v27, v8, vcc_lo
	v_cmp_eq_u32_e32 vcc_lo, 5, v24
	v_cndmask_b32_e64 v1, v1, v11, s5
	s_delay_alu instid0(VALU_DEP_3) | instskip(SKIP_1) | instid1(VALU_DEP_3)
	v_cndmask_b32_e64 v27, v27, v10, s5
	v_cmp_eq_u32_e64 s5, 6, v24
	v_cndmask_b32_e32 v1, v1, v13, vcc_lo
	s_delay_alu instid0(VALU_DEP_3)
	v_cndmask_b32_e32 v29, v27, v12, vcc_lo
	ds_load_b64 v[27:28], v26
	v_cmp_eq_u32_e32 vcc_lo, 7, v24
	v_add_nc_u32_e32 v26, 8, v26
	v_cndmask_b32_e64 v1, v1, v15, s5
	v_cndmask_b32_e64 v29, v29, v14, s5
	v_cmp_eq_u32_e64 s5, 8, v24
	s_delay_alu instid0(VALU_DEP_3) | instskip(NEXT) | instid1(VALU_DEP_3)
	v_cndmask_b32_e32 v1, v1, v17, vcc_lo
	v_cndmask_b32_e32 v29, v29, v16, vcc_lo
	v_cmp_eq_u32_e32 vcc_lo, 9, v24
	s_delay_alu instid0(VALU_DEP_3) | instskip(NEXT) | instid1(VALU_DEP_3)
	v_cndmask_b32_e64 v1, v1, v19, s5
	v_cndmask_b32_e64 v29, v29, v18, s5
	s_delay_alu instid0(VALU_DEP_2) | instskip(NEXT) | instid1(VALU_DEP_2)
	v_cndmask_b32_e32 v30, v1, v21, vcc_lo
	v_cndmask_b32_e32 v29, v29, v20, vcc_lo
	v_cmp_lt_u32_e32 vcc_lo, 6, v24
	s_waitcnt lgkmcnt(0)
	s_delay_alu instid0(VALU_DEP_2) | instskip(SKIP_1) | instid1(SALU_CYCLE_1)
	v_fma_f64 v[22:23], v[29:30], v[27:28], v[22:23]
	s_or_b32 s8, vcc_lo, s8
	s_and_not1_b32 exec_lo, exec_lo, s8
	s_cbranch_execnz .LBB9_203
; %bb.204:
	s_or_b32 exec_lo, exec_lo, s8
.LBB9_205:
	s_delay_alu instid0(SALU_CYCLE_1)
	s_or_b32 exec_lo, exec_lo, s7
	v_mov_b32_e32 v1, 0
	ds_load_b64 v[18:19], v1 offset:64
	s_waitcnt lgkmcnt(0)
	v_mul_f64 v[18:19], v[22:23], v[18:19]
.LBB9_206:
	s_or_b32 exec_lo, exec_lo, s6
	s_delay_alu instid0(SALU_CYCLE_1)
	s_mov_b32 s5, exec_lo
	ds_store_b64 v88, v[20:21]
	s_waitcnt lgkmcnt(0)
	s_barrier
	buffer_gl0_inv
	v_cmpx_ne_u32_e32 9, v0
	s_cbranch_execz .LBB9_228
; %bb.207:
	v_cmp_ne_u32_e32 vcc_lo, 1, v35
	s_cbranch_vccnz .LBB9_209
; %bb.208:
	v_cmp_eq_u32_e32 vcc_lo, 1, v0
	v_dual_cndmask_b32 v1, v3, v5 :: v_dual_cndmask_b32 v22, v2, v4
	v_cmp_eq_u32_e32 vcc_lo, 2, v0
	s_delay_alu instid0(VALU_DEP_2) | instskip(SKIP_1) | instid1(VALU_DEP_2)
	v_dual_cndmask_b32 v1, v1, v7 :: v_dual_cndmask_b32 v22, v22, v6
	v_cmp_eq_u32_e32 vcc_lo, 3, v0
	v_dual_cndmask_b32 v1, v1, v9 :: v_dual_cndmask_b32 v22, v22, v8
	v_cmp_eq_u32_e32 vcc_lo, 4, v0
	s_delay_alu instid0(VALU_DEP_2) | instskip(SKIP_1) | instid1(VALU_DEP_2)
	v_dual_cndmask_b32 v1, v1, v11 :: v_dual_cndmask_b32 v22, v22, v10
	v_cmp_eq_u32_e32 vcc_lo, 5, v0
	v_dual_cndmask_b32 v1, v1, v13 :: v_dual_cndmask_b32 v22, v22, v12
	v_cmp_eq_u32_e32 vcc_lo, 6, v0
	s_delay_alu instid0(VALU_DEP_2) | instskip(SKIP_4) | instid1(VALU_DEP_2)
	v_dual_cndmask_b32 v1, v1, v15 :: v_dual_cndmask_b32 v24, v22, v14
	v_cmp_eq_u32_e32 vcc_lo, 7, v0
	ds_load_b64 v[22:23], v88
	v_dual_cndmask_b32 v1, v1, v17 :: v_dual_cndmask_b32 v24, v24, v16
	v_cmp_eq_u32_e32 vcc_lo, 8, v0
	v_dual_cndmask_b32 v1, v1, v19 :: v_dual_cndmask_b32 v24, v24, v18
	v_cmp_eq_u32_e32 vcc_lo, 9, v0
	s_delay_alu instid0(VALU_DEP_2) | instskip(SKIP_1) | instid1(VALU_DEP_1)
	v_dual_cndmask_b32 v25, v1, v21 :: v_dual_cndmask_b32 v24, v24, v20
	s_waitcnt lgkmcnt(0)
	v_mul_f64 v[22:23], v[24:25], v[22:23]
	s_cbranch_execz .LBB9_210
	s_branch .LBB9_211
.LBB9_209:
                                        ; implicit-def: $vgpr22_vgpr23
.LBB9_210:
	ds_load_b64 v[22:23], v88
.LBB9_211:
	s_and_saveexec_b32 s6, s4
	s_cbranch_execz .LBB9_227
; %bb.212:
	v_cmp_eq_u32_e32 vcc_lo, 1, v34
	s_mov_b32 s4, exec_lo
	v_dual_cndmask_b32 v1, v3, v5 :: v_dual_cndmask_b32 v24, v2, v4
	v_cmp_eq_u32_e32 vcc_lo, 2, v34
	s_delay_alu instid0(VALU_DEP_2) | instskip(SKIP_1) | instid1(VALU_DEP_2)
	v_dual_cndmask_b32 v1, v1, v7 :: v_dual_cndmask_b32 v24, v24, v6
	v_cmp_eq_u32_e32 vcc_lo, 3, v34
	v_dual_cndmask_b32 v1, v1, v9 :: v_dual_cndmask_b32 v24, v24, v8
	v_cmp_eq_u32_e32 vcc_lo, 4, v34
	s_delay_alu instid0(VALU_DEP_2) | instskip(SKIP_1) | instid1(VALU_DEP_2)
	v_dual_cndmask_b32 v1, v1, v11 :: v_dual_cndmask_b32 v24, v24, v10
	v_cmp_eq_u32_e32 vcc_lo, 5, v34
	v_dual_cndmask_b32 v1, v1, v13 :: v_dual_cndmask_b32 v24, v24, v12
	v_cmp_eq_u32_e32 vcc_lo, 6, v34
	s_delay_alu instid0(VALU_DEP_2) | instskip(SKIP_4) | instid1(VALU_DEP_2)
	v_dual_cndmask_b32 v1, v1, v15 :: v_dual_cndmask_b32 v26, v24, v14
	v_cmp_eq_u32_e32 vcc_lo, 7, v34
	ds_load_b64 v[24:25], v88 offset:8
	v_dual_cndmask_b32 v1, v1, v17 :: v_dual_cndmask_b32 v26, v26, v16
	v_cmp_eq_u32_e32 vcc_lo, 8, v34
	v_dual_cndmask_b32 v1, v1, v19 :: v_dual_cndmask_b32 v26, v26, v18
	v_cmp_eq_u32_e32 vcc_lo, 9, v34
	s_delay_alu instid0(VALU_DEP_2) | instskip(SKIP_1) | instid1(VALU_DEP_1)
	v_dual_cndmask_b32 v27, v1, v21 :: v_dual_cndmask_b32 v26, v26, v20
	s_waitcnt lgkmcnt(0)
	v_fma_f64 v[22:23], v[26:27], v[24:25], v[22:23]
	v_cmpx_ne_u32_e32 7, v0
	s_cbranch_execz .LBB9_226
; %bb.213:
	v_add_nc_u32_e32 v1, 2, v0
	s_delay_alu instid0(VALU_DEP_1) | instskip(SKIP_2) | instid1(VALU_DEP_2)
	v_cmp_eq_u32_e32 vcc_lo, 1, v1
	v_dual_cndmask_b32 v24, v3, v5 :: v_dual_cndmask_b32 v25, v2, v4
	v_cmp_eq_u32_e32 vcc_lo, 2, v1
	v_dual_cndmask_b32 v24, v24, v7 :: v_dual_cndmask_b32 v25, v25, v6
	v_cmp_eq_u32_e32 vcc_lo, 3, v1
	s_delay_alu instid0(VALU_DEP_2) | instskip(SKIP_1) | instid1(VALU_DEP_2)
	v_dual_cndmask_b32 v24, v24, v9 :: v_dual_cndmask_b32 v25, v25, v8
	v_cmp_eq_u32_e32 vcc_lo, 4, v1
	v_dual_cndmask_b32 v24, v24, v11 :: v_dual_cndmask_b32 v25, v25, v10
	v_cmp_eq_u32_e32 vcc_lo, 5, v1
	s_delay_alu instid0(VALU_DEP_2) | instskip(SKIP_1) | instid1(VALU_DEP_2)
	v_dual_cndmask_b32 v24, v24, v13 :: v_dual_cndmask_b32 v25, v25, v12
	v_cmp_eq_u32_e32 vcc_lo, 6, v1
	v_dual_cndmask_b32 v26, v24, v15 :: v_dual_cndmask_b32 v27, v25, v14
	v_cmp_eq_u32_e32 vcc_lo, 7, v1
	ds_load_b64 v[24:25], v88 offset:16
	v_dual_cndmask_b32 v26, v26, v17 :: v_dual_cndmask_b32 v27, v27, v16
	v_cmp_eq_u32_e32 vcc_lo, 8, v1
	s_delay_alu instid0(VALU_DEP_2) | instskip(NEXT) | instid1(VALU_DEP_3)
	v_cndmask_b32_e32 v26, v26, v19, vcc_lo
	v_cndmask_b32_e32 v28, v27, v18, vcc_lo
	v_cmp_eq_u32_e32 vcc_lo, 9, v1
	s_delay_alu instid0(VALU_DEP_2) | instskip(SKIP_1) | instid1(VALU_DEP_1)
	v_dual_cndmask_b32 v27, v26, v21 :: v_dual_cndmask_b32 v26, v28, v20
	s_waitcnt lgkmcnt(0)
	v_fma_f64 v[22:23], v[26:27], v[24:25], v[22:23]
	s_and_saveexec_b32 s7, s3
	s_cbranch_execz .LBB9_225
; %bb.214:
	v_add_nc_u32_e32 v1, 3, v0
	s_mov_b32 s3, exec_lo
	s_delay_alu instid0(VALU_DEP_1) | instskip(SKIP_2) | instid1(VALU_DEP_2)
	v_cmp_eq_u32_e32 vcc_lo, 1, v1
	v_dual_cndmask_b32 v24, v3, v5 :: v_dual_cndmask_b32 v25, v2, v4
	v_cmp_eq_u32_e32 vcc_lo, 2, v1
	v_dual_cndmask_b32 v24, v24, v7 :: v_dual_cndmask_b32 v25, v25, v6
	v_cmp_eq_u32_e32 vcc_lo, 3, v1
	s_delay_alu instid0(VALU_DEP_2) | instskip(SKIP_1) | instid1(VALU_DEP_2)
	v_dual_cndmask_b32 v24, v24, v9 :: v_dual_cndmask_b32 v25, v25, v8
	v_cmp_eq_u32_e32 vcc_lo, 4, v1
	v_dual_cndmask_b32 v24, v24, v11 :: v_dual_cndmask_b32 v25, v25, v10
	v_cmp_eq_u32_e32 vcc_lo, 5, v1
	s_delay_alu instid0(VALU_DEP_2) | instskip(SKIP_1) | instid1(VALU_DEP_2)
	v_dual_cndmask_b32 v24, v24, v13 :: v_dual_cndmask_b32 v25, v25, v12
	v_cmp_eq_u32_e32 vcc_lo, 6, v1
	v_dual_cndmask_b32 v26, v24, v15 :: v_dual_cndmask_b32 v27, v25, v14
	v_cmp_eq_u32_e32 vcc_lo, 7, v1
	ds_load_b64 v[24:25], v88 offset:24
	v_dual_cndmask_b32 v26, v26, v17 :: v_dual_cndmask_b32 v27, v27, v16
	v_cmp_eq_u32_e32 vcc_lo, 8, v1
	s_delay_alu instid0(VALU_DEP_2) | instskip(NEXT) | instid1(VALU_DEP_3)
	v_cndmask_b32_e32 v26, v26, v19, vcc_lo
	v_cndmask_b32_e32 v28, v27, v18, vcc_lo
	v_cmp_eq_u32_e32 vcc_lo, 9, v1
	s_delay_alu instid0(VALU_DEP_2) | instskip(SKIP_1) | instid1(VALU_DEP_1)
	v_dual_cndmask_b32 v27, v26, v21 :: v_dual_cndmask_b32 v26, v28, v20
	s_waitcnt lgkmcnt(0)
	v_fma_f64 v[22:23], v[26:27], v[24:25], v[22:23]
	v_cmpx_ne_u32_e32 5, v0
	s_cbranch_execz .LBB9_224
; %bb.215:
	v_add_nc_u32_e32 v1, 4, v0
	s_delay_alu instid0(VALU_DEP_1) | instskip(SKIP_2) | instid1(VALU_DEP_2)
	v_cmp_eq_u32_e32 vcc_lo, 1, v1
	v_dual_cndmask_b32 v24, v3, v5 :: v_dual_cndmask_b32 v25, v2, v4
	v_cmp_eq_u32_e32 vcc_lo, 2, v1
	v_dual_cndmask_b32 v24, v24, v7 :: v_dual_cndmask_b32 v25, v25, v6
	v_cmp_eq_u32_e32 vcc_lo, 3, v1
	s_delay_alu instid0(VALU_DEP_2) | instskip(SKIP_1) | instid1(VALU_DEP_2)
	v_dual_cndmask_b32 v24, v24, v9 :: v_dual_cndmask_b32 v25, v25, v8
	v_cmp_eq_u32_e32 vcc_lo, 4, v1
	v_dual_cndmask_b32 v24, v24, v11 :: v_dual_cndmask_b32 v25, v25, v10
	v_cmp_eq_u32_e32 vcc_lo, 5, v1
	s_delay_alu instid0(VALU_DEP_2) | instskip(SKIP_1) | instid1(VALU_DEP_2)
	v_dual_cndmask_b32 v24, v24, v13 :: v_dual_cndmask_b32 v25, v25, v12
	v_cmp_eq_u32_e32 vcc_lo, 6, v1
	v_dual_cndmask_b32 v26, v24, v15 :: v_dual_cndmask_b32 v27, v25, v14
	v_cmp_eq_u32_e32 vcc_lo, 7, v1
	ds_load_b64 v[24:25], v88 offset:32
	v_dual_cndmask_b32 v26, v26, v17 :: v_dual_cndmask_b32 v27, v27, v16
	v_cmp_eq_u32_e32 vcc_lo, 8, v1
	s_delay_alu instid0(VALU_DEP_2) | instskip(NEXT) | instid1(VALU_DEP_3)
	v_cndmask_b32_e32 v26, v26, v19, vcc_lo
	v_cndmask_b32_e32 v28, v27, v18, vcc_lo
	v_cmp_eq_u32_e32 vcc_lo, 9, v1
	s_delay_alu instid0(VALU_DEP_2) | instskip(SKIP_1) | instid1(VALU_DEP_1)
	v_dual_cndmask_b32 v27, v26, v21 :: v_dual_cndmask_b32 v26, v28, v20
	s_waitcnt lgkmcnt(0)
	v_fma_f64 v[22:23], v[26:27], v[24:25], v[22:23]
	s_and_saveexec_b32 s8, s2
	s_cbranch_execz .LBB9_223
; %bb.216:
	v_add_nc_u32_e32 v1, 5, v0
	s_mov_b32 s2, exec_lo
	s_delay_alu instid0(VALU_DEP_1) | instskip(SKIP_2) | instid1(VALU_DEP_2)
	v_cmp_eq_u32_e32 vcc_lo, 1, v1
	v_dual_cndmask_b32 v24, v3, v5 :: v_dual_cndmask_b32 v25, v2, v4
	v_cmp_eq_u32_e32 vcc_lo, 2, v1
	v_dual_cndmask_b32 v24, v24, v7 :: v_dual_cndmask_b32 v25, v25, v6
	v_cmp_eq_u32_e32 vcc_lo, 3, v1
	s_delay_alu instid0(VALU_DEP_2) | instskip(SKIP_1) | instid1(VALU_DEP_2)
	v_dual_cndmask_b32 v24, v24, v9 :: v_dual_cndmask_b32 v25, v25, v8
	v_cmp_eq_u32_e32 vcc_lo, 4, v1
	v_dual_cndmask_b32 v24, v24, v11 :: v_dual_cndmask_b32 v25, v25, v10
	v_cmp_eq_u32_e32 vcc_lo, 5, v1
	s_delay_alu instid0(VALU_DEP_2) | instskip(SKIP_1) | instid1(VALU_DEP_2)
	v_dual_cndmask_b32 v24, v24, v13 :: v_dual_cndmask_b32 v25, v25, v12
	v_cmp_eq_u32_e32 vcc_lo, 6, v1
	v_dual_cndmask_b32 v26, v24, v15 :: v_dual_cndmask_b32 v27, v25, v14
	v_cmp_eq_u32_e32 vcc_lo, 7, v1
	ds_load_b64 v[24:25], v88 offset:40
	v_dual_cndmask_b32 v26, v26, v17 :: v_dual_cndmask_b32 v27, v27, v16
	v_cmp_eq_u32_e32 vcc_lo, 8, v1
	s_delay_alu instid0(VALU_DEP_2) | instskip(NEXT) | instid1(VALU_DEP_3)
	v_cndmask_b32_e32 v26, v26, v19, vcc_lo
	v_cndmask_b32_e32 v28, v27, v18, vcc_lo
	v_cmp_eq_u32_e32 vcc_lo, 9, v1
	s_delay_alu instid0(VALU_DEP_2) | instskip(SKIP_1) | instid1(VALU_DEP_1)
	v_dual_cndmask_b32 v27, v26, v21 :: v_dual_cndmask_b32 v26, v28, v20
	s_waitcnt lgkmcnt(0)
	v_fma_f64 v[22:23], v[26:27], v[24:25], v[22:23]
	v_cmpx_ne_u32_e32 3, v0
	s_cbranch_execz .LBB9_222
; %bb.217:
	v_add_nc_u32_e32 v1, 6, v0
	s_delay_alu instid0(VALU_DEP_1) | instskip(SKIP_2) | instid1(VALU_DEP_2)
	v_cmp_eq_u32_e32 vcc_lo, 1, v1
	v_dual_cndmask_b32 v24, v3, v5 :: v_dual_cndmask_b32 v25, v2, v4
	v_cmp_eq_u32_e32 vcc_lo, 2, v1
	v_dual_cndmask_b32 v24, v24, v7 :: v_dual_cndmask_b32 v25, v25, v6
	v_cmp_eq_u32_e32 vcc_lo, 3, v1
	s_delay_alu instid0(VALU_DEP_2) | instskip(SKIP_1) | instid1(VALU_DEP_2)
	v_dual_cndmask_b32 v24, v24, v9 :: v_dual_cndmask_b32 v25, v25, v8
	v_cmp_eq_u32_e32 vcc_lo, 4, v1
	v_dual_cndmask_b32 v24, v24, v11 :: v_dual_cndmask_b32 v25, v25, v10
	v_cmp_eq_u32_e32 vcc_lo, 5, v1
	s_delay_alu instid0(VALU_DEP_2) | instskip(SKIP_1) | instid1(VALU_DEP_2)
	v_dual_cndmask_b32 v24, v24, v13 :: v_dual_cndmask_b32 v25, v25, v12
	v_cmp_eq_u32_e32 vcc_lo, 6, v1
	v_dual_cndmask_b32 v26, v24, v15 :: v_dual_cndmask_b32 v27, v25, v14
	v_cmp_eq_u32_e32 vcc_lo, 7, v1
	ds_load_b64 v[24:25], v88 offset:48
	v_dual_cndmask_b32 v26, v26, v17 :: v_dual_cndmask_b32 v27, v27, v16
	v_cmp_eq_u32_e32 vcc_lo, 8, v1
	s_delay_alu instid0(VALU_DEP_2) | instskip(NEXT) | instid1(VALU_DEP_3)
	v_cndmask_b32_e32 v26, v26, v19, vcc_lo
	v_cndmask_b32_e32 v28, v27, v18, vcc_lo
	v_cmp_eq_u32_e32 vcc_lo, 9, v1
	s_delay_alu instid0(VALU_DEP_2) | instskip(SKIP_1) | instid1(VALU_DEP_1)
	v_dual_cndmask_b32 v27, v26, v21 :: v_dual_cndmask_b32 v26, v28, v20
	s_waitcnt lgkmcnt(0)
	v_fma_f64 v[22:23], v[26:27], v[24:25], v[22:23]
	s_and_saveexec_b32 s9, s1
	s_cbranch_execz .LBB9_221
; %bb.218:
	v_add_nc_u32_e32 v24, 7, v0
	s_delay_alu instid0(VALU_DEP_1) | instskip(SKIP_2) | instid1(VALU_DEP_2)
	v_cmp_eq_u32_e32 vcc_lo, 1, v24
	v_dual_cndmask_b32 v0, v3, v5 :: v_dual_cndmask_b32 v1, v2, v4
	v_cmp_eq_u32_e32 vcc_lo, 2, v24
	v_dual_cndmask_b32 v1, v1, v6 :: v_dual_cndmask_b32 v0, v0, v7
	v_cmp_eq_u32_e32 vcc_lo, 3, v24
	s_delay_alu instid0(VALU_DEP_2) | instskip(SKIP_1) | instid1(VALU_DEP_2)
	v_dual_cndmask_b32 v1, v1, v8 :: v_dual_cndmask_b32 v0, v0, v9
	v_cmp_eq_u32_e32 vcc_lo, 4, v24
	v_dual_cndmask_b32 v1, v1, v10 :: v_dual_cndmask_b32 v0, v0, v11
	v_cmp_eq_u32_e32 vcc_lo, 5, v24
	s_delay_alu instid0(VALU_DEP_2) | instskip(SKIP_1) | instid1(VALU_DEP_2)
	v_dual_cndmask_b32 v1, v1, v12 :: v_dual_cndmask_b32 v0, v0, v13
	v_cmp_eq_u32_e32 vcc_lo, 6, v24
	v_dual_cndmask_b32 v25, v0, v15 :: v_dual_cndmask_b32 v26, v1, v14
	v_cmp_eq_u32_e32 vcc_lo, 7, v24
	ds_load_b64 v[0:1], v88 offset:56
	v_dual_cndmask_b32 v25, v25, v17 :: v_dual_cndmask_b32 v26, v26, v16
	v_cmp_eq_u32_e32 vcc_lo, 8, v24
	s_delay_alu instid0(VALU_DEP_2) | instskip(SKIP_1) | instid1(VALU_DEP_2)
	v_dual_cndmask_b32 v25, v25, v19 :: v_dual_cndmask_b32 v26, v26, v18
	v_cmp_eq_u32_e32 vcc_lo, 9, v24
	v_dual_cndmask_b32 v21, v25, v21 :: v_dual_cndmask_b32 v20, v26, v20
	s_waitcnt lgkmcnt(0)
	s_delay_alu instid0(VALU_DEP_1)
	v_fma_f64 v[22:23], v[20:21], v[0:1], v[22:23]
	s_and_saveexec_b32 s1, s0
	s_cbranch_execz .LBB9_220
; %bb.219:
	ds_load_b64 v[0:1], v88 offset:64
	s_waitcnt lgkmcnt(0)
	v_fma_f64 v[22:23], v[18:19], v[0:1], v[22:23]
.LBB9_220:
	s_or_b32 exec_lo, exec_lo, s1
.LBB9_221:
	s_delay_alu instid0(SALU_CYCLE_1)
	s_or_b32 exec_lo, exec_lo, s9
.LBB9_222:
	s_delay_alu instid0(SALU_CYCLE_1)
	s_or_b32 exec_lo, exec_lo, s2
.LBB9_223:
	s_delay_alu instid0(SALU_CYCLE_1)
	s_or_b32 exec_lo, exec_lo, s8
.LBB9_224:
	s_delay_alu instid0(SALU_CYCLE_1)
	s_or_b32 exec_lo, exec_lo, s3
.LBB9_225:
	s_delay_alu instid0(SALU_CYCLE_1)
	s_or_b32 exec_lo, exec_lo, s7
.LBB9_226:
	s_delay_alu instid0(SALU_CYCLE_1)
	s_or_b32 exec_lo, exec_lo, s4
.LBB9_227:
	s_delay_alu instid0(SALU_CYCLE_1)
	s_or_b32 exec_lo, exec_lo, s6
	v_mov_b32_e32 v0, 0
	ds_load_b64 v[0:1], v0 offset:72
	s_waitcnt lgkmcnt(0)
	v_mul_f64 v[20:21], v[22:23], v[0:1]
.LBB9_228:
	s_or_b32 exec_lo, exec_lo, s5
	v_dual_mov_b32 v65, v33 :: v_dual_mov_b32 v64, v32
	v_dual_mov_b32 v63, v31 :: v_dual_mov_b32 v62, v30
	;; [unrolled: 1-line block ×16, first 2 shown]
.LBB9_229:
	s_clause 0x9
	global_store_b64 v[68:69], v[34:35], off
	global_store_b64 v[70:71], v[36:37], off
	;; [unrolled: 1-line block ×10, first 2 shown]
.LBB9_230:
	s_nop 0
	s_sendmsg sendmsg(MSG_DEALLOC_VGPRS)
	s_endpgm
	.section	.rodata,"a",@progbits
	.p2align	6, 0x0
	.amdhsa_kernel _ZN9rocsolver6v33100L18trti2_kernel_smallILi10EdPdEEv13rocblas_fill_17rocblas_diagonal_T1_iil
		.amdhsa_group_segment_fixed_size 160
		.amdhsa_private_segment_fixed_size 0
		.amdhsa_kernarg_size 32
		.amdhsa_user_sgpr_count 15
		.amdhsa_user_sgpr_dispatch_ptr 0
		.amdhsa_user_sgpr_queue_ptr 0
		.amdhsa_user_sgpr_kernarg_segment_ptr 1
		.amdhsa_user_sgpr_dispatch_id 0
		.amdhsa_user_sgpr_private_segment_size 0
		.amdhsa_wavefront_size32 1
		.amdhsa_uses_dynamic_stack 0
		.amdhsa_enable_private_segment 0
		.amdhsa_system_sgpr_workgroup_id_x 1
		.amdhsa_system_sgpr_workgroup_id_y 0
		.amdhsa_system_sgpr_workgroup_id_z 0
		.amdhsa_system_sgpr_workgroup_info 0
		.amdhsa_system_vgpr_workitem_id 0
		.amdhsa_next_free_vgpr 102
		.amdhsa_next_free_sgpr 24
		.amdhsa_reserve_vcc 1
		.amdhsa_float_round_mode_32 0
		.amdhsa_float_round_mode_16_64 0
		.amdhsa_float_denorm_mode_32 3
		.amdhsa_float_denorm_mode_16_64 3
		.amdhsa_dx10_clamp 1
		.amdhsa_ieee_mode 1
		.amdhsa_fp16_overflow 0
		.amdhsa_workgroup_processor_mode 1
		.amdhsa_memory_ordered 1
		.amdhsa_forward_progress 0
		.amdhsa_shared_vgpr_count 0
		.amdhsa_exception_fp_ieee_invalid_op 0
		.amdhsa_exception_fp_denorm_src 0
		.amdhsa_exception_fp_ieee_div_zero 0
		.amdhsa_exception_fp_ieee_overflow 0
		.amdhsa_exception_fp_ieee_underflow 0
		.amdhsa_exception_fp_ieee_inexact 0
		.amdhsa_exception_int_div_zero 0
	.end_amdhsa_kernel
	.section	.text._ZN9rocsolver6v33100L18trti2_kernel_smallILi10EdPdEEv13rocblas_fill_17rocblas_diagonal_T1_iil,"axG",@progbits,_ZN9rocsolver6v33100L18trti2_kernel_smallILi10EdPdEEv13rocblas_fill_17rocblas_diagonal_T1_iil,comdat
.Lfunc_end9:
	.size	_ZN9rocsolver6v33100L18trti2_kernel_smallILi10EdPdEEv13rocblas_fill_17rocblas_diagonal_T1_iil, .Lfunc_end9-_ZN9rocsolver6v33100L18trti2_kernel_smallILi10EdPdEEv13rocblas_fill_17rocblas_diagonal_T1_iil
                                        ; -- End function
	.section	.AMDGPU.csdata,"",@progbits
; Kernel info:
; codeLenInByte = 13704
; NumSgprs: 26
; NumVgprs: 102
; ScratchSize: 0
; MemoryBound: 0
; FloatMode: 240
; IeeeMode: 1
; LDSByteSize: 160 bytes/workgroup (compile time only)
; SGPRBlocks: 3
; VGPRBlocks: 12
; NumSGPRsForWavesPerEU: 26
; NumVGPRsForWavesPerEU: 102
; Occupancy: 12
; WaveLimiterHint : 0
; COMPUTE_PGM_RSRC2:SCRATCH_EN: 0
; COMPUTE_PGM_RSRC2:USER_SGPR: 15
; COMPUTE_PGM_RSRC2:TRAP_HANDLER: 0
; COMPUTE_PGM_RSRC2:TGID_X_EN: 1
; COMPUTE_PGM_RSRC2:TGID_Y_EN: 0
; COMPUTE_PGM_RSRC2:TGID_Z_EN: 0
; COMPUTE_PGM_RSRC2:TIDIG_COMP_CNT: 0
	.section	.text._ZN9rocsolver6v33100L18trti2_kernel_smallILi11EdPdEEv13rocblas_fill_17rocblas_diagonal_T1_iil,"axG",@progbits,_ZN9rocsolver6v33100L18trti2_kernel_smallILi11EdPdEEv13rocblas_fill_17rocblas_diagonal_T1_iil,comdat
	.globl	_ZN9rocsolver6v33100L18trti2_kernel_smallILi11EdPdEEv13rocblas_fill_17rocblas_diagonal_T1_iil ; -- Begin function _ZN9rocsolver6v33100L18trti2_kernel_smallILi11EdPdEEv13rocblas_fill_17rocblas_diagonal_T1_iil
	.p2align	8
	.type	_ZN9rocsolver6v33100L18trti2_kernel_smallILi11EdPdEEv13rocblas_fill_17rocblas_diagonal_T1_iil,@function
_ZN9rocsolver6v33100L18trti2_kernel_smallILi11EdPdEEv13rocblas_fill_17rocblas_diagonal_T1_iil: ; @_ZN9rocsolver6v33100L18trti2_kernel_smallILi11EdPdEEv13rocblas_fill_17rocblas_diagonal_T1_iil
; %bb.0:
	s_mov_b32 s2, exec_lo
	v_cmpx_gt_u32_e32 11, v0
	s_cbranch_execz .LBB10_256
; %bb.1:
	s_load_b256 s[16:23], s[0:1], 0x0
	s_ashr_i32 s2, s15, 31
	v_lshlrev_b32_e32 v36, 3, v0
	v_mov_b32_e32 v34, 0
	v_mov_b32_e32 v35, 0xbff00000
	s_waitcnt lgkmcnt(0)
	v_add3_u32 v1, s21, s21, v0
	s_mul_i32 s3, s15, s23
	s_mul_hi_u32 s4, s15, s22
	s_mul_i32 s5, s2, s22
	s_add_i32 s3, s4, s3
	v_add_nc_u32_e32 v3, s21, v1
	v_ashrrev_i32_e32 v2, 31, v1
	s_mul_i32 s2, s15, s22
	s_add_i32 s3, s3, s5
	s_ashr_i32 s1, s20, 31
	v_add_nc_u32_e32 v5, s21, v3
	s_lshl_b64 s[2:3], s[2:3], 3
	s_mov_b32 s0, s20
	v_lshlrev_b64 v[1:2], 3, v[1:2]
	s_add_u32 s2, s18, s2
	s_addc_u32 s3, s19, s3
	s_lshl_b64 s[0:1], s[0:1], 3
	v_ashrrev_i32_e32 v6, 31, v5
	v_ashrrev_i32_e32 v4, 31, v3
	s_add_u32 s0, s2, s0
	s_addc_u32 s1, s3, s1
	v_add_co_u32 v66, vcc_lo, s0, v1
	v_add_co_u32 v68, s2, s0, v36
	s_mov_b32 s4, s21
	s_ashr_i32 s5, s21, 31
	v_add_co_ci_u32_e32 v67, vcc_lo, s1, v2, vcc_lo
	v_lshlrev_b64 v[1:2], 3, v[5:6]
	v_add_nc_u32_e32 v5, s21, v5
	v_add_co_ci_u32_e64 v69, null, s1, 0, s2
	v_lshlrev_b64 v[3:4], 3, v[3:4]
	s_lshl_b64 s[2:3], s[4:5], 3
	s_delay_alu instid0(VALU_DEP_3) | instskip(SKIP_2) | instid1(VALU_DEP_4)
	v_add_nc_u32_e32 v12, s21, v5
	v_add_co_u32 v70, vcc_lo, v68, s2
	v_add_co_ci_u32_e32 v71, vcc_lo, s3, v69, vcc_lo
	v_add_co_u32 v72, vcc_lo, s0, v3
	v_ashrrev_i32_e32 v6, 31, v5
	v_add_co_ci_u32_e32 v73, vcc_lo, s1, v4, vcc_lo
	v_add_co_u32 v74, vcc_lo, s0, v1
	v_add_nc_u32_e32 v14, s21, v12
	v_add_co_ci_u32_e32 v75, vcc_lo, s1, v2, vcc_lo
	v_lshlrev_b64 v[1:2], 3, v[5:6]
	v_ashrrev_i32_e32 v13, 31, v12
	s_delay_alu instid0(VALU_DEP_4)
	v_ashrrev_i32_e32 v15, 31, v14
	v_add_nc_u32_e32 v16, s21, v14
	s_clause 0x3
	global_load_b64 v[4:5], v[70:71], off
	global_load_b64 v[6:7], v[66:67], off
	;; [unrolled: 1-line block ×4, first 2 shown]
	s_cmpk_lg_i32 s17, 0x84
	v_lshlrev_b64 v[12:13], 3, v[12:13]
	v_add_co_u32 v76, vcc_lo, s0, v1
	v_add_co_ci_u32_e32 v77, vcc_lo, s1, v2, vcc_lo
	v_lshlrev_b64 v[1:2], 3, v[14:15]
	v_ashrrev_i32_e32 v17, 31, v16
	v_add_nc_u32_e32 v14, s21, v16
	v_add_co_u32 v78, vcc_lo, s0, v12
	v_add_co_ci_u32_e32 v79, vcc_lo, s1, v13, vcc_lo
	s_delay_alu instid0(VALU_DEP_4) | instskip(NEXT) | instid1(VALU_DEP_4)
	v_lshlrev_b64 v[12:13], 3, v[16:17]
	v_add_nc_u32_e32 v16, s21, v14
	v_ashrrev_i32_e32 v15, 31, v14
	v_add_co_u32 v86, vcc_lo, s0, v1
	v_add_co_ci_u32_e32 v87, vcc_lo, s1, v2, vcc_lo
	s_delay_alu instid0(VALU_DEP_4) | instskip(NEXT) | instid1(VALU_DEP_4)
	v_ashrrev_i32_e32 v17, 31, v16
	v_lshlrev_b64 v[1:2], 3, v[14:15]
	v_add_co_u32 v82, vcc_lo, s0, v12
	v_add_co_ci_u32_e32 v83, vcc_lo, s1, v13, vcc_lo
	s_delay_alu instid0(VALU_DEP_4) | instskip(NEXT) | instid1(VALU_DEP_4)
	v_lshlrev_b64 v[12:13], 3, v[16:17]
	v_add_co_u32 v84, vcc_lo, s0, v1
	v_add_co_ci_u32_e32 v85, vcc_lo, s1, v2, vcc_lo
	v_mov_b32_e32 v1, 0
	s_delay_alu instid0(VALU_DEP_4)
	v_add_co_u32 v80, vcc_lo, s0, v12
	v_add_co_ci_u32_e32 v81, vcc_lo, s1, v13, vcc_lo
	s_clause 0x6
	global_load_b64 v[12:13], v[76:77], off
	global_load_b64 v[14:15], v[78:79], off
	;; [unrolled: 1-line block ×5, first 2 shown]
	global_load_b64 v[2:3], v36, s[0:1]
	global_load_b64 v[22:23], v[80:81], off
	v_cmp_eq_u32_e64 s0, 0, v0
	s_cselect_b32 s11, -1, 0
	s_cmpk_eq_i32 s17, 0x84
	s_cbranch_scc1 .LBB10_3
; %bb.2:
	v_cmp_eq_u32_e64 s1, 1, v0
	v_cmp_eq_u32_e64 s2, 2, v0
	;; [unrolled: 1-line block ×5, first 2 shown]
	s_waitcnt vmcnt(1)
	v_cndmask_b32_e64 v24, v3, v5, s1
	v_cndmask_b32_e64 v25, v2, v4, s1
	v_cmp_eq_u32_e64 s6, 6, v0
	v_cmp_eq_u32_e64 s7, 7, v0
	;; [unrolled: 1-line block ×3, first 2 shown]
	v_cndmask_b32_e64 v24, v24, v7, s2
	v_cndmask_b32_e64 v25, v25, v6, s2
	v_cmp_eq_u32_e64 s9, 9, v0
	v_cmp_eq_u32_e64 s10, 10, v0
	s_delay_alu instid0(VALU_DEP_4) | instskip(NEXT) | instid1(VALU_DEP_4)
	v_cndmask_b32_e64 v24, v24, v9, s3
	v_cndmask_b32_e64 v25, v25, v8, s3
	s_delay_alu instid0(VALU_DEP_2) | instskip(NEXT) | instid1(VALU_DEP_2)
	v_cndmask_b32_e64 v24, v24, v11, s4
	v_cndmask_b32_e64 v25, v25, v10, s4
	s_delay_alu instid0(VALU_DEP_2) | instskip(NEXT) | instid1(VALU_DEP_2)
	;; [unrolled: 3-line block ×6, first 2 shown]
	v_cndmask_b32_e64 v24, v24, v21, s9
	v_cndmask_b32_e64 v26, v25, v20, s9
	s_waitcnt vmcnt(0)
	s_delay_alu instid0(VALU_DEP_2) | instskip(NEXT) | instid1(VALU_DEP_2)
	v_cndmask_b32_e64 v25, v24, v23, s10
	v_cndmask_b32_e64 v24, v26, v22, s10
	s_delay_alu instid0(VALU_DEP_1) | instskip(SKIP_1) | instid1(VALU_DEP_2)
	v_div_scale_f64 v[26:27], null, v[24:25], v[24:25], 1.0
	v_div_scale_f64 v[32:33], vcc_lo, 1.0, v[24:25], 1.0
	v_rcp_f64_e32 v[28:29], v[26:27]
	s_waitcnt_depctr 0xfff
	v_fma_f64 v[30:31], -v[26:27], v[28:29], 1.0
	s_delay_alu instid0(VALU_DEP_1) | instskip(NEXT) | instid1(VALU_DEP_1)
	v_fma_f64 v[28:29], v[28:29], v[30:31], v[28:29]
	v_fma_f64 v[30:31], -v[26:27], v[28:29], 1.0
	s_delay_alu instid0(VALU_DEP_1) | instskip(NEXT) | instid1(VALU_DEP_1)
	v_fma_f64 v[28:29], v[28:29], v[30:31], v[28:29]
	v_mul_f64 v[30:31], v[32:33], v[28:29]
	s_delay_alu instid0(VALU_DEP_1) | instskip(NEXT) | instid1(VALU_DEP_1)
	v_fma_f64 v[26:27], -v[26:27], v[30:31], v[32:33]
	v_div_fmas_f64 v[26:27], v[26:27], v[28:29], v[30:31]
	s_delay_alu instid0(VALU_DEP_1) | instskip(NEXT) | instid1(VALU_DEP_1)
	v_div_fixup_f64 v[34:35], v[26:27], v[24:25], 1.0
	v_cndmask_b32_e64 v23, v23, v35, s10
	s_delay_alu instid0(VALU_DEP_2)
	v_cndmask_b32_e64 v22, v22, v34, s10
	v_cndmask_b32_e64 v21, v21, v35, s9
	;; [unrolled: 1-line block ×21, first 2 shown]
	v_xor_b32_e32 v35, 0x80000000, v35
.LBB10_3:
	v_add_nc_u32_e32 v90, 0x60, v36
	s_cmpk_eq_i32 s16, 0x79
	ds_store_b64 v36, v[34:35]
	s_cbranch_scc1 .LBB10_7
; %bb.4:
	s_waitcnt vmcnt(0)
	v_dual_mov_b32 v65, v33 :: v_dual_mov_b32 v64, v32
	v_dual_mov_b32 v63, v31 :: v_dual_mov_b32 v62, v30
	;; [unrolled: 1-line block ×16, first 2 shown]
	v_cmp_eq_u32_e64 s1, 10, v0
	ds_store_b64 v90, v[20:21]
	s_waitcnt lgkmcnt(0)
	s_barrier
	buffer_gl0_inv
	s_and_saveexec_b32 s0, s1
	s_cbranch_execz .LBB10_11
; %bb.5:
	s_and_b32 vcc_lo, exec_lo, s11
	s_cbranch_vccz .LBB10_8
; %bb.6:
	v_cmp_eq_u32_e32 vcc_lo, 1, v0
	v_dual_cndmask_b32 v34, v3, v5 :: v_dual_cndmask_b32 v35, v2, v4
	v_cmp_eq_u32_e32 vcc_lo, 2, v0
	s_delay_alu instid0(VALU_DEP_2) | instskip(SKIP_1) | instid1(VALU_DEP_2)
	v_dual_cndmask_b32 v34, v34, v7 :: v_dual_cndmask_b32 v35, v35, v6
	v_cmp_eq_u32_e32 vcc_lo, 3, v0
	v_dual_cndmask_b32 v34, v34, v9 :: v_dual_cndmask_b32 v35, v35, v8
	v_cmp_eq_u32_e32 vcc_lo, 4, v0
	s_delay_alu instid0(VALU_DEP_2) | instskip(SKIP_1) | instid1(VALU_DEP_2)
	v_dual_cndmask_b32 v34, v34, v11 :: v_dual_cndmask_b32 v35, v35, v10
	;; [unrolled: 5-line block ×3, first 2 shown]
	v_cmp_eq_u32_e32 vcc_lo, 7, v0
	v_dual_cndmask_b32 v36, v34, v17 :: v_dual_cndmask_b32 v37, v35, v16
	v_cmp_eq_u32_e32 vcc_lo, 8, v0
	ds_load_b64 v[34:35], v90
	v_dual_cndmask_b32 v36, v36, v19 :: v_dual_cndmask_b32 v37, v37, v18
	v_cmp_eq_u32_e32 vcc_lo, 9, v0
	s_delay_alu instid0(VALU_DEP_2) | instskip(NEXT) | instid1(VALU_DEP_3)
	v_cndmask_b32_e32 v36, v36, v21, vcc_lo
	v_cndmask_b32_e32 v38, v37, v20, vcc_lo
	v_cmp_eq_u32_e32 vcc_lo, 10, v0
	s_delay_alu instid0(VALU_DEP_2) | instskip(SKIP_1) | instid1(VALU_DEP_1)
	v_dual_cndmask_b32 v37, v36, v23 :: v_dual_cndmask_b32 v36, v38, v22
	s_waitcnt lgkmcnt(0)
	v_mul_f64 v[34:35], v[36:37], v[34:35]
	s_cbranch_execz .LBB10_9
	s_branch .LBB10_10
.LBB10_7:
                                        ; implicit-def: $vgpr34_vgpr35_vgpr36_vgpr37_vgpr38_vgpr39_vgpr40_vgpr41_vgpr42_vgpr43_vgpr44_vgpr45_vgpr46_vgpr47_vgpr48_vgpr49_vgpr50_vgpr51_vgpr52_vgpr53_vgpr54_vgpr55_vgpr56_vgpr57_vgpr58_vgpr59_vgpr60_vgpr61_vgpr62_vgpr63_vgpr64_vgpr65
	s_cbranch_execnz .LBB10_148
	s_branch .LBB10_255
.LBB10_8:
                                        ; implicit-def: $vgpr34_vgpr35
.LBB10_9:
	ds_load_b64 v[34:35], v90
.LBB10_10:
	v_mov_b32_e32 v36, 0
	v_dual_mov_b32 v38, v6 :: v_dual_mov_b32 v41, v9
	v_dual_mov_b32 v40, v8 :: v_dual_mov_b32 v43, v11
	ds_load_b64 v[36:37], v36 offset:72
	v_dual_mov_b32 v42, v10 :: v_dual_mov_b32 v45, v13
	v_dual_mov_b32 v44, v12 :: v_dual_mov_b32 v47, v15
	;; [unrolled: 1-line block ×6, first 2 shown]
	s_waitcnt lgkmcnt(0)
	v_mul_f64 v[52:53], v[34:35], v[36:37]
	v_dual_mov_b32 v34, v2 :: v_dual_mov_b32 v37, v5
	v_dual_mov_b32 v35, v3 :: v_dual_mov_b32 v36, v4
.LBB10_11:
	s_or_b32 exec_lo, exec_lo, s0
	v_cmp_lt_u32_e64 s0, 8, v0
	ds_store_b64 v90, v[50:51]
	s_waitcnt lgkmcnt(0)
	s_barrier
	buffer_gl0_inv
	s_and_saveexec_b32 s2, s0
	s_cbranch_execz .LBB10_19
; %bb.12:
	s_and_not1_b32 vcc_lo, exec_lo, s11
	s_cbranch_vccnz .LBB10_14
; %bb.13:
	v_cmp_eq_u32_e32 vcc_lo, 1, v0
	v_dual_cndmask_b32 v56, v35, v37 :: v_dual_cndmask_b32 v57, v34, v36
	v_cmp_eq_u32_e32 vcc_lo, 2, v0
	s_delay_alu instid0(VALU_DEP_2) | instskip(SKIP_1) | instid1(VALU_DEP_2)
	v_dual_cndmask_b32 v56, v56, v39 :: v_dual_cndmask_b32 v57, v57, v38
	v_cmp_eq_u32_e32 vcc_lo, 3, v0
	v_dual_cndmask_b32 v56, v56, v41 :: v_dual_cndmask_b32 v57, v57, v40
	v_cmp_eq_u32_e32 vcc_lo, 4, v0
	s_delay_alu instid0(VALU_DEP_2) | instskip(SKIP_1) | instid1(VALU_DEP_2)
	v_dual_cndmask_b32 v56, v56, v43 :: v_dual_cndmask_b32 v57, v57, v42
	;; [unrolled: 5-line block ×3, first 2 shown]
	v_cmp_eq_u32_e32 vcc_lo, 7, v0
	v_dual_cndmask_b32 v58, v56, v49 :: v_dual_cndmask_b32 v59, v57, v48
	v_cmp_eq_u32_e32 vcc_lo, 8, v0
	ds_load_b64 v[56:57], v90
	v_dual_cndmask_b32 v51, v58, v51 :: v_dual_cndmask_b32 v50, v59, v50
	v_cmp_eq_u32_e32 vcc_lo, 9, v0
	s_delay_alu instid0(VALU_DEP_2) | instskip(SKIP_1) | instid1(VALU_DEP_2)
	v_dual_cndmask_b32 v51, v51, v53 :: v_dual_cndmask_b32 v50, v50, v52
	v_cmp_eq_u32_e32 vcc_lo, 10, v0
	v_dual_cndmask_b32 v51, v51, v55 :: v_dual_cndmask_b32 v50, v50, v54
	s_waitcnt lgkmcnt(0)
	s_delay_alu instid0(VALU_DEP_1)
	v_mul_f64 v[50:51], v[50:51], v[56:57]
	s_cbranch_execz .LBB10_15
	s_branch .LBB10_16
.LBB10_14:
                                        ; implicit-def: $vgpr50_vgpr51
.LBB10_15:
	ds_load_b64 v[50:51], v90
.LBB10_16:
	s_and_saveexec_b32 s3, s1
	s_cbranch_execz .LBB10_18
; %bb.17:
	v_mov_b32_e32 v56, 0
	ds_load_b64 v[56:57], v56 offset:168
	s_waitcnt lgkmcnt(0)
	v_fma_f64 v[50:51], v[52:53], v[56:57], v[50:51]
.LBB10_18:
	s_or_b32 exec_lo, exec_lo, s3
	v_mov_b32_e32 v56, 0
	ds_load_b64 v[56:57], v56 offset:64
	s_waitcnt lgkmcnt(0)
	v_mul_f64 v[50:51], v[50:51], v[56:57]
.LBB10_19:
	s_or_b32 exec_lo, exec_lo, s2
	v_cmp_lt_u32_e64 s1, 7, v0
	ds_store_b64 v90, v[48:49]
	s_waitcnt lgkmcnt(0)
	s_barrier
	buffer_gl0_inv
	s_and_saveexec_b32 s4, s1
	s_cbranch_execz .LBB10_35
; %bb.20:
	s_and_not1_b32 vcc_lo, exec_lo, s11
	s_cbranch_vccnz .LBB10_22
; %bb.21:
	v_cmp_eq_u32_e32 vcc_lo, 1, v0
	v_dual_cndmask_b32 v88, v35, v37 :: v_dual_cndmask_b32 v89, v34, v36
	v_cmp_eq_u32_e32 vcc_lo, 2, v0
	s_delay_alu instid0(VALU_DEP_2) | instskip(SKIP_1) | instid1(VALU_DEP_2)
	v_dual_cndmask_b32 v88, v88, v39 :: v_dual_cndmask_b32 v89, v89, v38
	v_cmp_eq_u32_e32 vcc_lo, 3, v0
	v_dual_cndmask_b32 v88, v88, v41 :: v_dual_cndmask_b32 v89, v89, v40
	v_cmp_eq_u32_e32 vcc_lo, 4, v0
	s_delay_alu instid0(VALU_DEP_2) | instskip(SKIP_1) | instid1(VALU_DEP_2)
	v_dual_cndmask_b32 v88, v88, v43 :: v_dual_cndmask_b32 v89, v89, v42
	;; [unrolled: 5-line block ×3, first 2 shown]
	v_cmp_eq_u32_e32 vcc_lo, 7, v0
	v_dual_cndmask_b32 v91, v88, v49 :: v_dual_cndmask_b32 v92, v89, v48
	v_cmp_eq_u32_e32 vcc_lo, 8, v0
	ds_load_b64 v[88:89], v90
	v_dual_cndmask_b32 v91, v91, v51 :: v_dual_cndmask_b32 v92, v92, v50
	v_cmp_eq_u32_e32 vcc_lo, 9, v0
	s_delay_alu instid0(VALU_DEP_2) | instskip(NEXT) | instid1(VALU_DEP_3)
	v_cndmask_b32_e32 v91, v91, v53, vcc_lo
	v_cndmask_b32_e32 v93, v92, v52, vcc_lo
	v_cmp_eq_u32_e32 vcc_lo, 10, v0
	s_delay_alu instid0(VALU_DEP_2) | instskip(SKIP_1) | instid1(VALU_DEP_1)
	v_dual_cndmask_b32 v92, v91, v55 :: v_dual_cndmask_b32 v91, v93, v54
	s_waitcnt lgkmcnt(0)
	v_mul_f64 v[88:89], v[91:92], v[88:89]
	s_cbranch_execz .LBB10_23
	s_branch .LBB10_24
.LBB10_22:
                                        ; implicit-def: $vgpr88_vgpr89
.LBB10_23:
	ds_load_b64 v[88:89], v90
.LBB10_24:
	s_and_saveexec_b32 s5, s0
	s_cbranch_execz .LBB10_34
; %bb.25:
	v_dual_mov_b32 v92, 8 :: v_dual_add_nc_u32 v91, -9, v0
	s_mov_b32 s0, exec_lo
	s_delay_alu instid0(VALU_DEP_1)
	v_cmpx_lt_u32_e32 6, v91
	s_cbranch_execz .LBB10_29
; %bb.26:
	v_and_b32_e32 v91, 8, v0
	s_mov_b32 s6, 0
	s_mov_b64 s[2:3], 15
	s_movk_i32 s7, 0xa0
	s_delay_alu instid0(VALU_DEP_1)
	v_sub_nc_u32_e32 v91, 0, v91
.LBB10_27:                              ; =>This Inner Loop Header: Depth=1
	v_mov_b32_e32 v102, s7
	s_lshl_b32 s8, s2, 1
	s_delay_alu instid0(SALU_CYCLE_1)
	s_add_i32 m0, s8, -13
	v_movrels_b32_e32 v101, v34
	ds_load_b128 v[92:95], v102
	ds_load_b128 v[96:99], v102 offset:16
	s_add_i32 m0, s8, -14
	v_movrels_b32_e32 v100, v34
	s_add_i32 m0, s8, -11
	s_waitcnt lgkmcnt(1)
	s_delay_alu instid0(VALU_DEP_1) | instskip(SKIP_4) | instid1(VALU_DEP_1)
	v_fma_f64 v[88:89], v[100:101], v[92:93], v[88:89]
	v_movrels_b32_e32 v93, v34
	s_add_i32 m0, s8, -12
	v_movrels_b32_e32 v92, v34
	s_add_i32 m0, s8, -9
	v_fma_f64 v[88:89], v[92:93], v[94:95], v[88:89]
	v_movrels_b32_e32 v93, v34
	s_add_i32 m0, s8, -10
	v_movrels_b32_e32 v92, v34
	s_add_i32 m0, s8, -7
	s_waitcnt lgkmcnt(0)
	s_delay_alu instid0(VALU_DEP_1)
	v_fma_f64 v[88:89], v[92:93], v[96:97], v[88:89]
	v_movrels_b32_e32 v93, v34
	s_add_i32 m0, s8, -8
	v_movrels_b32_e32 v92, v34
	s_add_i32 m0, s8, -5
	;; [unrolled: 2-line block ×4, first 2 shown]
	v_fma_f64 v[88:89], v[92:93], v[98:99], v[88:89]
	ds_load_b128 v[92:95], v102 offset:32
	ds_load_b128 v[96:99], v102 offset:48
	s_waitcnt lgkmcnt(1)
	v_fma_f64 v[88:89], v[100:101], v[92:93], v[88:89]
	v_movrels_b32_e32 v93, v34
	s_add_i32 m0, s8, -4
	v_movrels_b32_e32 v92, v34
	s_add_i32 m0, s8, -1
	s_delay_alu instid0(VALU_DEP_1)
	v_fma_f64 v[88:89], v[92:93], v[94:95], v[88:89]
	v_movrels_b32_e32 v93, v34
	s_add_i32 m0, s8, -2
	s_add_u32 s2, s2, 8
	v_movrels_b32_e32 v92, v34
	s_mov_b32 m0, s8
	s_addc_u32 s3, s3, 0
	s_add_i32 s8, s2, -7
	s_add_i32 s7, s7, 64
	s_waitcnt lgkmcnt(0)
	s_delay_alu instid0(VALU_DEP_3) | instskip(SKIP_2) | instid1(VALU_DEP_1)
	v_fma_f64 v[88:89], v[92:93], v[96:97], v[88:89]
	v_movrels_b32_e32 v93, v35
	v_movrels_b32_e32 v92, v34
	v_fma_f64 v[88:89], v[92:93], v[98:99], v[88:89]
	v_add_nc_u32_e32 v92, s2, v91
	s_delay_alu instid0(VALU_DEP_1) | instskip(SKIP_2) | instid1(SALU_CYCLE_1)
	v_cmp_eq_u32_e32 vcc_lo, 7, v92
	v_mov_b32_e32 v92, s8
	s_or_b32 s6, vcc_lo, s6
	s_and_not1_b32 exec_lo, exec_lo, s6
	s_cbranch_execnz .LBB10_27
; %bb.28:
	s_or_b32 exec_lo, exec_lo, s6
.LBB10_29:
	s_delay_alu instid0(SALU_CYCLE_1) | instskip(SKIP_3) | instid1(VALU_DEP_1)
	s_or_b32 exec_lo, exec_lo, s0
	v_and_b32_e32 v56, 7, v0
	s_mov_b32 s3, 0
	s_mov_b32 s2, exec_lo
	v_cmpx_ne_u32_e32 0, v56
	s_cbranch_execz .LBB10_33
; %bb.30:
	v_lshl_add_u32 v57, v92, 3, 0x60
	v_mov_b32_e32 v58, 0
.LBB10_31:                              ; =>This Inner Loop Header: Depth=1
	v_cmp_eq_u32_e32 vcc_lo, 1, v92
	v_cmp_eq_u32_e64 s0, 2, v92
	v_dual_cndmask_b32 v59, v35, v37 :: v_dual_add_nc_u32 v56, -1, v56
	v_cndmask_b32_e32 v60, v34, v36, vcc_lo
	v_cmp_eq_u32_e32 vcc_lo, 3, v92
	s_delay_alu instid0(VALU_DEP_3) | instskip(NEXT) | instid1(VALU_DEP_3)
	v_cndmask_b32_e64 v59, v59, v39, s0
	v_cndmask_b32_e64 v60, v60, v38, s0
	v_cmp_eq_u32_e64 s0, 4, v92
	s_delay_alu instid0(VALU_DEP_2) | instskip(SKIP_1) | instid1(VALU_DEP_2)
	v_dual_cndmask_b32 v59, v59, v41 :: v_dual_cndmask_b32 v60, v60, v40
	v_cmp_eq_u32_e32 vcc_lo, 5, v92
	v_cndmask_b32_e64 v59, v59, v43, s0
	s_delay_alu instid0(VALU_DEP_3) | instskip(SKIP_1) | instid1(VALU_DEP_2)
	v_cndmask_b32_e64 v60, v60, v42, s0
	v_cmp_eq_u32_e64 s0, 6, v92
	v_dual_cndmask_b32 v59, v59, v45 :: v_dual_cndmask_b32 v60, v60, v44
	v_cmp_eq_u32_e32 vcc_lo, 7, v92
	s_delay_alu instid0(VALU_DEP_2) | instskip(NEXT) | instid1(VALU_DEP_3)
	v_cndmask_b32_e64 v61, v59, v47, s0
	v_cndmask_b32_e64 v62, v60, v46, s0
	ds_load_b64 v[59:60], v57
	v_cmp_eq_u32_e64 s0, 8, v92
	v_add_nc_u32_e32 v57, 8, v57
	v_dual_cndmask_b32 v61, v61, v49 :: v_dual_cndmask_b32 v62, v62, v48
	v_cmp_eq_u32_e32 vcc_lo, 9, v92
	s_delay_alu instid0(VALU_DEP_2) | instskip(NEXT) | instid1(VALU_DEP_3)
	v_cndmask_b32_e64 v61, v61, v51, s0
	v_cndmask_b32_e64 v62, v62, v50, s0
	v_cmp_eq_u32_e64 s0, 10, v92
	s_delay_alu instid0(VALU_DEP_3) | instskip(NEXT) | instid1(VALU_DEP_3)
	v_cndmask_b32_e32 v61, v61, v53, vcc_lo
	v_cndmask_b32_e32 v63, v62, v52, vcc_lo
	v_cmp_eq_u32_e32 vcc_lo, 0, v56
	s_delay_alu instid0(VALU_DEP_3) | instskip(NEXT) | instid1(VALU_DEP_3)
	v_cndmask_b32_e64 v62, v61, v55, s0
	v_cndmask_b32_e64 v61, v63, v54, s0
	v_add_co_u32 v92, s0, v92, 1
	s_delay_alu instid0(VALU_DEP_1) | instskip(SKIP_1) | instid1(VALU_DEP_3)
	v_add_co_ci_u32_e64 v58, s0, 0, v58, s0
	s_waitcnt lgkmcnt(0)
	v_fma_f64 v[88:89], v[61:62], v[59:60], v[88:89]
	s_or_b32 s3, vcc_lo, s3
	s_delay_alu instid0(SALU_CYCLE_1)
	s_and_not1_b32 exec_lo, exec_lo, s3
	s_cbranch_execnz .LBB10_31
; %bb.32:
	s_or_b32 exec_lo, exec_lo, s3
.LBB10_33:
	s_delay_alu instid0(SALU_CYCLE_1)
	s_or_b32 exec_lo, exec_lo, s2
.LBB10_34:
	s_delay_alu instid0(SALU_CYCLE_1)
	s_or_b32 exec_lo, exec_lo, s5
	v_mov_b32_e32 v48, 0
	ds_load_b64 v[48:49], v48 offset:56
	s_waitcnt lgkmcnt(0)
	v_mul_f64 v[48:49], v[88:89], v[48:49]
.LBB10_35:
	s_or_b32 exec_lo, exec_lo, s4
	v_cmp_lt_u32_e64 s0, 6, v0
	ds_store_b64 v90, v[46:47]
	s_waitcnt lgkmcnt(0)
	s_barrier
	buffer_gl0_inv
	s_and_saveexec_b32 s4, s0
	s_cbranch_execz .LBB10_51
; %bb.36:
	s_and_not1_b32 vcc_lo, exec_lo, s11
	s_cbranch_vccnz .LBB10_38
; %bb.37:
	v_cmp_eq_u32_e32 vcc_lo, 1, v0
	v_dual_cndmask_b32 v88, v35, v37 :: v_dual_cndmask_b32 v89, v34, v36
	v_cmp_eq_u32_e32 vcc_lo, 2, v0
	s_delay_alu instid0(VALU_DEP_2) | instskip(SKIP_1) | instid1(VALU_DEP_2)
	v_dual_cndmask_b32 v88, v88, v39 :: v_dual_cndmask_b32 v89, v89, v38
	v_cmp_eq_u32_e32 vcc_lo, 3, v0
	v_dual_cndmask_b32 v88, v88, v41 :: v_dual_cndmask_b32 v89, v89, v40
	v_cmp_eq_u32_e32 vcc_lo, 4, v0
	s_delay_alu instid0(VALU_DEP_2) | instskip(SKIP_1) | instid1(VALU_DEP_2)
	v_dual_cndmask_b32 v88, v88, v43 :: v_dual_cndmask_b32 v89, v89, v42
	v_cmp_eq_u32_e32 vcc_lo, 5, v0
	v_dual_cndmask_b32 v88, v88, v45 :: v_dual_cndmask_b32 v89, v89, v44
	v_cmp_eq_u32_e32 vcc_lo, 6, v0
	s_delay_alu instid0(VALU_DEP_2) | instskip(SKIP_1) | instid1(VALU_DEP_2)
	v_dual_cndmask_b32 v88, v88, v47 :: v_dual_cndmask_b32 v89, v89, v46
	v_cmp_eq_u32_e32 vcc_lo, 7, v0
	v_dual_cndmask_b32 v91, v88, v49 :: v_dual_cndmask_b32 v92, v89, v48
	v_cmp_eq_u32_e32 vcc_lo, 8, v0
	ds_load_b64 v[88:89], v90
	v_dual_cndmask_b32 v91, v91, v51 :: v_dual_cndmask_b32 v92, v92, v50
	v_cmp_eq_u32_e32 vcc_lo, 9, v0
	s_delay_alu instid0(VALU_DEP_2) | instskip(NEXT) | instid1(VALU_DEP_3)
	v_cndmask_b32_e32 v91, v91, v53, vcc_lo
	v_cndmask_b32_e32 v93, v92, v52, vcc_lo
	v_cmp_eq_u32_e32 vcc_lo, 10, v0
	s_delay_alu instid0(VALU_DEP_2) | instskip(SKIP_1) | instid1(VALU_DEP_1)
	v_dual_cndmask_b32 v92, v91, v55 :: v_dual_cndmask_b32 v91, v93, v54
	s_waitcnt lgkmcnt(0)
	v_mul_f64 v[88:89], v[91:92], v[88:89]
	s_cbranch_execz .LBB10_39
	s_branch .LBB10_40
.LBB10_38:
                                        ; implicit-def: $vgpr88_vgpr89
.LBB10_39:
	ds_load_b64 v[88:89], v90
.LBB10_40:
	s_and_saveexec_b32 s5, s1
	s_cbranch_execz .LBB10_50
; %bb.41:
	v_dual_mov_b32 v93, 7 :: v_dual_add_nc_u32 v92, -8, v0
	v_add_nc_u32_e32 v91, -7, v0
	s_mov_b32 s1, exec_lo
	s_delay_alu instid0(VALU_DEP_2)
	v_cmpx_lt_u32_e32 6, v92
	s_cbranch_execz .LBB10_45
; %bb.42:
	s_delay_alu instid0(VALU_DEP_2) | instskip(SKIP_3) | instid1(VALU_DEP_1)
	v_and_b32_e32 v92, -8, v91
	s_mov_b32 s6, 0
	s_mov_b64 s[2:3], 14
	s_movk_i32 s7, 0x98
	v_sub_nc_u32_e32 v92, 0, v92
.LBB10_43:                              ; =>This Inner Loop Header: Depth=1
	v_mov_b32_e32 v103, s7
	s_lshl_b32 s8, s2, 1
	s_delay_alu instid0(SALU_CYCLE_1)
	s_add_i32 m0, s8, -13
	v_movrels_b32_e32 v102, v34
	ds_load_2addr_b64 v[93:96], v103 offset1:1
	ds_load_2addr_b64 v[97:100], v103 offset0:2 offset1:3
	s_add_i32 m0, s8, -14
	v_movrels_b32_e32 v101, v34
	s_add_i32 m0, s8, -11
	s_waitcnt lgkmcnt(1)
	s_delay_alu instid0(VALU_DEP_1) | instskip(SKIP_4) | instid1(VALU_DEP_1)
	v_fma_f64 v[88:89], v[101:102], v[93:94], v[88:89]
	v_movrels_b32_e32 v94, v34
	s_add_i32 m0, s8, -12
	v_movrels_b32_e32 v93, v34
	s_add_i32 m0, s8, -9
	v_fma_f64 v[88:89], v[93:94], v[95:96], v[88:89]
	v_movrels_b32_e32 v94, v34
	s_add_i32 m0, s8, -10
	v_movrels_b32_e32 v93, v34
	s_add_i32 m0, s8, -7
	s_waitcnt lgkmcnt(0)
	s_delay_alu instid0(VALU_DEP_1)
	v_fma_f64 v[88:89], v[93:94], v[97:98], v[88:89]
	v_movrels_b32_e32 v94, v34
	s_add_i32 m0, s8, -8
	v_movrels_b32_e32 v93, v34
	s_add_i32 m0, s8, -5
	;; [unrolled: 2-line block ×4, first 2 shown]
	v_fma_f64 v[88:89], v[93:94], v[99:100], v[88:89]
	ds_load_2addr_b64 v[93:96], v103 offset0:4 offset1:5
	ds_load_2addr_b64 v[97:100], v103 offset0:6 offset1:7
	s_waitcnt lgkmcnt(1)
	v_fma_f64 v[88:89], v[101:102], v[93:94], v[88:89]
	v_movrels_b32_e32 v94, v34
	s_add_i32 m0, s8, -4
	v_movrels_b32_e32 v93, v34
	s_add_i32 m0, s8, -1
	s_delay_alu instid0(VALU_DEP_1)
	v_fma_f64 v[88:89], v[93:94], v[95:96], v[88:89]
	v_movrels_b32_e32 v94, v34
	s_add_i32 m0, s8, -2
	s_add_u32 s2, s2, 8
	v_movrels_b32_e32 v93, v34
	s_mov_b32 m0, s8
	s_addc_u32 s3, s3, 0
	s_add_i32 s8, s2, -7
	s_add_i32 s7, s7, 64
	s_waitcnt lgkmcnt(0)
	s_delay_alu instid0(VALU_DEP_3) | instskip(SKIP_2) | instid1(VALU_DEP_1)
	v_fma_f64 v[88:89], v[93:94], v[97:98], v[88:89]
	v_movrels_b32_e32 v94, v35
	v_movrels_b32_e32 v93, v34
	v_fma_f64 v[88:89], v[93:94], v[99:100], v[88:89]
	v_add_nc_u32_e32 v93, s2, v92
	s_delay_alu instid0(VALU_DEP_1) | instskip(SKIP_2) | instid1(SALU_CYCLE_1)
	v_cmp_eq_u32_e32 vcc_lo, 14, v93
	v_mov_b32_e32 v93, s8
	s_or_b32 s6, vcc_lo, s6
	s_and_not1_b32 exec_lo, exec_lo, s6
	s_cbranch_execnz .LBB10_43
; %bb.44:
	s_or_b32 exec_lo, exec_lo, s6
.LBB10_45:
	s_delay_alu instid0(SALU_CYCLE_1) | instskip(SKIP_3) | instid1(VALU_DEP_1)
	s_or_b32 exec_lo, exec_lo, s1
	v_and_b32_e32 v56, 7, v91
	s_mov_b32 s3, 0
	s_mov_b32 s2, exec_lo
	v_cmpx_ne_u32_e32 0, v56
	s_cbranch_execz .LBB10_49
; %bb.46:
	v_lshl_add_u32 v57, v93, 3, 0x60
	v_mov_b32_e32 v58, 0
.LBB10_47:                              ; =>This Inner Loop Header: Depth=1
	v_cmp_eq_u32_e32 vcc_lo, 1, v93
	v_cmp_eq_u32_e64 s1, 2, v93
	v_dual_cndmask_b32 v59, v35, v37 :: v_dual_add_nc_u32 v56, -1, v56
	v_cndmask_b32_e32 v60, v34, v36, vcc_lo
	v_cmp_eq_u32_e32 vcc_lo, 3, v93
	s_delay_alu instid0(VALU_DEP_3) | instskip(NEXT) | instid1(VALU_DEP_3)
	v_cndmask_b32_e64 v59, v59, v39, s1
	v_cndmask_b32_e64 v60, v60, v38, s1
	v_cmp_eq_u32_e64 s1, 4, v93
	s_delay_alu instid0(VALU_DEP_2) | instskip(SKIP_1) | instid1(VALU_DEP_2)
	v_dual_cndmask_b32 v59, v59, v41 :: v_dual_cndmask_b32 v60, v60, v40
	v_cmp_eq_u32_e32 vcc_lo, 5, v93
	v_cndmask_b32_e64 v59, v59, v43, s1
	s_delay_alu instid0(VALU_DEP_3) | instskip(SKIP_1) | instid1(VALU_DEP_2)
	v_cndmask_b32_e64 v60, v60, v42, s1
	v_cmp_eq_u32_e64 s1, 6, v93
	v_dual_cndmask_b32 v59, v59, v45 :: v_dual_cndmask_b32 v60, v60, v44
	v_cmp_eq_u32_e32 vcc_lo, 7, v93
	s_delay_alu instid0(VALU_DEP_2) | instskip(NEXT) | instid1(VALU_DEP_3)
	v_cndmask_b32_e64 v61, v59, v47, s1
	v_cndmask_b32_e64 v62, v60, v46, s1
	ds_load_b64 v[59:60], v57
	v_cmp_eq_u32_e64 s1, 8, v93
	v_add_nc_u32_e32 v57, 8, v57
	v_dual_cndmask_b32 v61, v61, v49 :: v_dual_cndmask_b32 v62, v62, v48
	v_cmp_eq_u32_e32 vcc_lo, 9, v93
	s_delay_alu instid0(VALU_DEP_2) | instskip(NEXT) | instid1(VALU_DEP_3)
	v_cndmask_b32_e64 v61, v61, v51, s1
	v_cndmask_b32_e64 v62, v62, v50, s1
	v_cmp_eq_u32_e64 s1, 10, v93
	s_delay_alu instid0(VALU_DEP_3) | instskip(NEXT) | instid1(VALU_DEP_3)
	v_cndmask_b32_e32 v61, v61, v53, vcc_lo
	v_cndmask_b32_e32 v63, v62, v52, vcc_lo
	v_cmp_eq_u32_e32 vcc_lo, 0, v56
	s_delay_alu instid0(VALU_DEP_3) | instskip(NEXT) | instid1(VALU_DEP_3)
	v_cndmask_b32_e64 v62, v61, v55, s1
	v_cndmask_b32_e64 v61, v63, v54, s1
	v_add_co_u32 v93, s1, v93, 1
	s_delay_alu instid0(VALU_DEP_1) | instskip(SKIP_1) | instid1(VALU_DEP_3)
	v_add_co_ci_u32_e64 v58, s1, 0, v58, s1
	s_waitcnt lgkmcnt(0)
	v_fma_f64 v[88:89], v[61:62], v[59:60], v[88:89]
	s_or_b32 s3, vcc_lo, s3
	s_delay_alu instid0(SALU_CYCLE_1)
	s_and_not1_b32 exec_lo, exec_lo, s3
	s_cbranch_execnz .LBB10_47
; %bb.48:
	s_or_b32 exec_lo, exec_lo, s3
.LBB10_49:
	s_delay_alu instid0(SALU_CYCLE_1)
	s_or_b32 exec_lo, exec_lo, s2
.LBB10_50:
	s_delay_alu instid0(SALU_CYCLE_1)
	s_or_b32 exec_lo, exec_lo, s5
	v_mov_b32_e32 v46, 0
	ds_load_b64 v[46:47], v46 offset:48
	s_waitcnt lgkmcnt(0)
	v_mul_f64 v[46:47], v[88:89], v[46:47]
.LBB10_51:
	s_or_b32 exec_lo, exec_lo, s4
	v_cmp_lt_u32_e64 s2, 5, v0
	ds_store_b64 v90, v[44:45]
	s_waitcnt lgkmcnt(0)
	s_barrier
	buffer_gl0_inv
	s_and_saveexec_b32 s3, s2
	s_cbranch_execz .LBB10_67
; %bb.52:
	s_and_not1_b32 vcc_lo, exec_lo, s11
	s_cbranch_vccnz .LBB10_54
; %bb.53:
	v_cmp_eq_u32_e32 vcc_lo, 1, v0
	v_dual_cndmask_b32 v88, v35, v37 :: v_dual_cndmask_b32 v89, v34, v36
	v_cmp_eq_u32_e32 vcc_lo, 2, v0
	s_delay_alu instid0(VALU_DEP_2) | instskip(SKIP_1) | instid1(VALU_DEP_2)
	v_dual_cndmask_b32 v88, v88, v39 :: v_dual_cndmask_b32 v89, v89, v38
	v_cmp_eq_u32_e32 vcc_lo, 3, v0
	v_dual_cndmask_b32 v88, v88, v41 :: v_dual_cndmask_b32 v89, v89, v40
	v_cmp_eq_u32_e32 vcc_lo, 4, v0
	s_delay_alu instid0(VALU_DEP_2) | instskip(SKIP_1) | instid1(VALU_DEP_2)
	v_dual_cndmask_b32 v88, v88, v43 :: v_dual_cndmask_b32 v89, v89, v42
	;; [unrolled: 5-line block ×3, first 2 shown]
	v_cmp_eq_u32_e32 vcc_lo, 7, v0
	v_dual_cndmask_b32 v91, v88, v49 :: v_dual_cndmask_b32 v92, v89, v48
	v_cmp_eq_u32_e32 vcc_lo, 8, v0
	ds_load_b64 v[88:89], v90
	v_dual_cndmask_b32 v91, v91, v51 :: v_dual_cndmask_b32 v92, v92, v50
	v_cmp_eq_u32_e32 vcc_lo, 9, v0
	s_delay_alu instid0(VALU_DEP_2) | instskip(NEXT) | instid1(VALU_DEP_3)
	v_cndmask_b32_e32 v91, v91, v53, vcc_lo
	v_cndmask_b32_e32 v93, v92, v52, vcc_lo
	v_cmp_eq_u32_e32 vcc_lo, 10, v0
	s_delay_alu instid0(VALU_DEP_2) | instskip(SKIP_1) | instid1(VALU_DEP_1)
	v_dual_cndmask_b32 v92, v91, v55 :: v_dual_cndmask_b32 v91, v93, v54
	s_waitcnt lgkmcnt(0)
	v_mul_f64 v[88:89], v[91:92], v[88:89]
	s_cbranch_execz .LBB10_55
	s_branch .LBB10_56
.LBB10_54:
                                        ; implicit-def: $vgpr88_vgpr89
.LBB10_55:
	ds_load_b64 v[88:89], v90
.LBB10_56:
	s_and_saveexec_b32 s4, s0
	s_cbranch_execz .LBB10_66
; %bb.57:
	v_dual_mov_b32 v93, 6 :: v_dual_add_nc_u32 v92, -7, v0
	v_add_nc_u32_e32 v91, -6, v0
	s_mov_b32 s5, exec_lo
	s_delay_alu instid0(VALU_DEP_2)
	v_cmpx_lt_u32_e32 6, v92
	s_cbranch_execz .LBB10_61
; %bb.58:
	s_delay_alu instid0(VALU_DEP_2) | instskip(SKIP_3) | instid1(VALU_DEP_1)
	v_and_b32_e32 v92, -8, v91
	s_mov_b32 s6, 0
	s_mov_b64 s[0:1], 13
	s_movk_i32 s7, 0x90
	v_sub_nc_u32_e32 v92, 0, v92
.LBB10_59:                              ; =>This Inner Loop Header: Depth=1
	v_mov_b32_e32 v103, s7
	s_lshl_b32 s8, s0, 1
	s_delay_alu instid0(SALU_CYCLE_1)
	s_add_i32 m0, s8, -13
	v_movrels_b32_e32 v102, v34
	ds_load_b128 v[93:96], v103
	ds_load_b128 v[97:100], v103 offset:16
	s_add_i32 m0, s8, -14
	v_movrels_b32_e32 v101, v34
	s_add_i32 m0, s8, -11
	s_waitcnt lgkmcnt(1)
	s_delay_alu instid0(VALU_DEP_1) | instskip(SKIP_4) | instid1(VALU_DEP_1)
	v_fma_f64 v[88:89], v[101:102], v[93:94], v[88:89]
	v_movrels_b32_e32 v94, v34
	s_add_i32 m0, s8, -12
	v_movrels_b32_e32 v93, v34
	s_add_i32 m0, s8, -9
	v_fma_f64 v[88:89], v[93:94], v[95:96], v[88:89]
	v_movrels_b32_e32 v94, v34
	s_add_i32 m0, s8, -10
	v_movrels_b32_e32 v93, v34
	s_add_i32 m0, s8, -7
	s_waitcnt lgkmcnt(0)
	s_delay_alu instid0(VALU_DEP_1)
	v_fma_f64 v[88:89], v[93:94], v[97:98], v[88:89]
	v_movrels_b32_e32 v94, v34
	s_add_i32 m0, s8, -8
	v_movrels_b32_e32 v93, v34
	s_add_i32 m0, s8, -5
	;; [unrolled: 2-line block ×4, first 2 shown]
	v_fma_f64 v[88:89], v[93:94], v[99:100], v[88:89]
	ds_load_b128 v[93:96], v103 offset:32
	ds_load_b128 v[97:100], v103 offset:48
	s_waitcnt lgkmcnt(1)
	v_fma_f64 v[88:89], v[101:102], v[93:94], v[88:89]
	v_movrels_b32_e32 v94, v34
	s_add_i32 m0, s8, -4
	v_movrels_b32_e32 v93, v34
	s_add_i32 m0, s8, -1
	s_delay_alu instid0(VALU_DEP_1)
	v_fma_f64 v[88:89], v[93:94], v[95:96], v[88:89]
	v_movrels_b32_e32 v94, v34
	s_add_i32 m0, s8, -2
	s_add_u32 s0, s0, 8
	v_movrels_b32_e32 v93, v34
	s_mov_b32 m0, s8
	s_addc_u32 s1, s1, 0
	s_add_i32 s8, s0, -7
	s_add_i32 s7, s7, 64
	s_waitcnt lgkmcnt(0)
	s_delay_alu instid0(VALU_DEP_3) | instskip(SKIP_2) | instid1(VALU_DEP_1)
	v_fma_f64 v[88:89], v[93:94], v[97:98], v[88:89]
	v_movrels_b32_e32 v94, v35
	v_movrels_b32_e32 v93, v34
	v_fma_f64 v[88:89], v[93:94], v[99:100], v[88:89]
	v_add_nc_u32_e32 v93, s0, v92
	s_delay_alu instid0(VALU_DEP_1) | instskip(SKIP_2) | instid1(SALU_CYCLE_1)
	v_cmp_eq_u32_e32 vcc_lo, 13, v93
	v_mov_b32_e32 v93, s8
	s_or_b32 s6, vcc_lo, s6
	s_and_not1_b32 exec_lo, exec_lo, s6
	s_cbranch_execnz .LBB10_59
; %bb.60:
	s_or_b32 exec_lo, exec_lo, s6
.LBB10_61:
	s_delay_alu instid0(SALU_CYCLE_1) | instskip(SKIP_3) | instid1(VALU_DEP_1)
	s_or_b32 exec_lo, exec_lo, s5
	v_and_b32_e32 v56, 7, v91
	s_mov_b32 s5, 0
	s_mov_b32 s1, exec_lo
	v_cmpx_ne_u32_e32 0, v56
	s_cbranch_execz .LBB10_65
; %bb.62:
	v_lshl_add_u32 v57, v93, 3, 0x60
	v_mov_b32_e32 v58, 0
.LBB10_63:                              ; =>This Inner Loop Header: Depth=1
	v_cmp_eq_u32_e32 vcc_lo, 1, v93
	v_cmp_eq_u32_e64 s0, 2, v93
	v_dual_cndmask_b32 v59, v35, v37 :: v_dual_add_nc_u32 v56, -1, v56
	v_cndmask_b32_e32 v60, v34, v36, vcc_lo
	v_cmp_eq_u32_e32 vcc_lo, 3, v93
	s_delay_alu instid0(VALU_DEP_3) | instskip(NEXT) | instid1(VALU_DEP_3)
	v_cndmask_b32_e64 v59, v59, v39, s0
	v_cndmask_b32_e64 v60, v60, v38, s0
	v_cmp_eq_u32_e64 s0, 4, v93
	s_delay_alu instid0(VALU_DEP_2) | instskip(SKIP_1) | instid1(VALU_DEP_2)
	v_dual_cndmask_b32 v59, v59, v41 :: v_dual_cndmask_b32 v60, v60, v40
	v_cmp_eq_u32_e32 vcc_lo, 5, v93
	v_cndmask_b32_e64 v59, v59, v43, s0
	s_delay_alu instid0(VALU_DEP_3) | instskip(SKIP_1) | instid1(VALU_DEP_2)
	v_cndmask_b32_e64 v60, v60, v42, s0
	v_cmp_eq_u32_e64 s0, 6, v93
	v_dual_cndmask_b32 v59, v59, v45 :: v_dual_cndmask_b32 v60, v60, v44
	v_cmp_eq_u32_e32 vcc_lo, 7, v93
	s_delay_alu instid0(VALU_DEP_2) | instskip(NEXT) | instid1(VALU_DEP_3)
	v_cndmask_b32_e64 v61, v59, v47, s0
	v_cndmask_b32_e64 v62, v60, v46, s0
	ds_load_b64 v[59:60], v57
	v_cmp_eq_u32_e64 s0, 8, v93
	v_add_nc_u32_e32 v57, 8, v57
	v_dual_cndmask_b32 v61, v61, v49 :: v_dual_cndmask_b32 v62, v62, v48
	v_cmp_eq_u32_e32 vcc_lo, 9, v93
	s_delay_alu instid0(VALU_DEP_2) | instskip(NEXT) | instid1(VALU_DEP_3)
	v_cndmask_b32_e64 v61, v61, v51, s0
	v_cndmask_b32_e64 v62, v62, v50, s0
	v_cmp_eq_u32_e64 s0, 10, v93
	s_delay_alu instid0(VALU_DEP_3) | instskip(NEXT) | instid1(VALU_DEP_3)
	v_cndmask_b32_e32 v61, v61, v53, vcc_lo
	v_cndmask_b32_e32 v63, v62, v52, vcc_lo
	v_cmp_eq_u32_e32 vcc_lo, 0, v56
	s_delay_alu instid0(VALU_DEP_3) | instskip(NEXT) | instid1(VALU_DEP_3)
	v_cndmask_b32_e64 v62, v61, v55, s0
	v_cndmask_b32_e64 v61, v63, v54, s0
	v_add_co_u32 v93, s0, v93, 1
	s_delay_alu instid0(VALU_DEP_1) | instskip(SKIP_1) | instid1(VALU_DEP_3)
	v_add_co_ci_u32_e64 v58, s0, 0, v58, s0
	s_waitcnt lgkmcnt(0)
	v_fma_f64 v[88:89], v[61:62], v[59:60], v[88:89]
	s_or_b32 s5, vcc_lo, s5
	s_delay_alu instid0(SALU_CYCLE_1)
	s_and_not1_b32 exec_lo, exec_lo, s5
	s_cbranch_execnz .LBB10_63
; %bb.64:
	s_or_b32 exec_lo, exec_lo, s5
.LBB10_65:
	s_delay_alu instid0(SALU_CYCLE_1)
	s_or_b32 exec_lo, exec_lo, s1
.LBB10_66:
	s_delay_alu instid0(SALU_CYCLE_1)
	s_or_b32 exec_lo, exec_lo, s4
	v_mov_b32_e32 v44, 0
	ds_load_b64 v[44:45], v44 offset:40
	s_waitcnt lgkmcnt(0)
	v_mul_f64 v[44:45], v[88:89], v[44:45]
.LBB10_67:
	s_or_b32 exec_lo, exec_lo, s3
	v_cmp_lt_u32_e64 s1, 4, v0
	ds_store_b64 v90, v[42:43]
	s_waitcnt lgkmcnt(0)
	s_barrier
	buffer_gl0_inv
	s_and_saveexec_b32 s4, s1
	s_cbranch_execz .LBB10_83
; %bb.68:
	s_and_not1_b32 vcc_lo, exec_lo, s11
	s_cbranch_vccnz .LBB10_70
; %bb.69:
	v_cmp_eq_u32_e32 vcc_lo, 1, v0
	v_dual_cndmask_b32 v88, v35, v37 :: v_dual_cndmask_b32 v89, v34, v36
	v_cmp_eq_u32_e32 vcc_lo, 2, v0
	s_delay_alu instid0(VALU_DEP_2) | instskip(SKIP_1) | instid1(VALU_DEP_2)
	v_dual_cndmask_b32 v88, v88, v39 :: v_dual_cndmask_b32 v89, v89, v38
	v_cmp_eq_u32_e32 vcc_lo, 3, v0
	v_dual_cndmask_b32 v88, v88, v41 :: v_dual_cndmask_b32 v89, v89, v40
	v_cmp_eq_u32_e32 vcc_lo, 4, v0
	s_delay_alu instid0(VALU_DEP_2) | instskip(SKIP_1) | instid1(VALU_DEP_2)
	v_dual_cndmask_b32 v88, v88, v43 :: v_dual_cndmask_b32 v89, v89, v42
	;; [unrolled: 5-line block ×3, first 2 shown]
	v_cmp_eq_u32_e32 vcc_lo, 7, v0
	v_dual_cndmask_b32 v91, v88, v49 :: v_dual_cndmask_b32 v92, v89, v48
	v_cmp_eq_u32_e32 vcc_lo, 8, v0
	ds_load_b64 v[88:89], v90
	v_dual_cndmask_b32 v91, v91, v51 :: v_dual_cndmask_b32 v92, v92, v50
	v_cmp_eq_u32_e32 vcc_lo, 9, v0
	s_delay_alu instid0(VALU_DEP_2) | instskip(NEXT) | instid1(VALU_DEP_3)
	v_cndmask_b32_e32 v91, v91, v53, vcc_lo
	v_cndmask_b32_e32 v93, v92, v52, vcc_lo
	v_cmp_eq_u32_e32 vcc_lo, 10, v0
	s_delay_alu instid0(VALU_DEP_2) | instskip(SKIP_1) | instid1(VALU_DEP_1)
	v_dual_cndmask_b32 v92, v91, v55 :: v_dual_cndmask_b32 v91, v93, v54
	s_waitcnt lgkmcnt(0)
	v_mul_f64 v[88:89], v[91:92], v[88:89]
	s_cbranch_execz .LBB10_71
	s_branch .LBB10_72
.LBB10_70:
                                        ; implicit-def: $vgpr88_vgpr89
.LBB10_71:
	ds_load_b64 v[88:89], v90
.LBB10_72:
	s_and_saveexec_b32 s5, s2
	s_cbranch_execz .LBB10_82
; %bb.73:
	v_dual_mov_b32 v93, 5 :: v_dual_add_nc_u32 v92, -6, v0
	v_add_nc_u32_e32 v91, -5, v0
	s_mov_b32 s0, exec_lo
	s_delay_alu instid0(VALU_DEP_2)
	v_cmpx_lt_u32_e32 6, v92
	s_cbranch_execz .LBB10_77
; %bb.74:
	s_delay_alu instid0(VALU_DEP_2) | instskip(SKIP_3) | instid1(VALU_DEP_1)
	v_and_b32_e32 v92, -8, v91
	s_mov_b32 s6, 0
	s_mov_b64 s[2:3], 12
	s_movk_i32 s7, 0x88
	v_sub_nc_u32_e32 v92, 0, v92
.LBB10_75:                              ; =>This Inner Loop Header: Depth=1
	v_mov_b32_e32 v103, s7
	s_lshl_b32 s8, s2, 1
	s_delay_alu instid0(SALU_CYCLE_1)
	s_add_i32 m0, s8, -13
	v_movrels_b32_e32 v102, v34
	ds_load_2addr_b64 v[93:96], v103 offset1:1
	ds_load_2addr_b64 v[97:100], v103 offset0:2 offset1:3
	s_add_i32 m0, s8, -14
	v_movrels_b32_e32 v101, v34
	s_add_i32 m0, s8, -11
	s_waitcnt lgkmcnt(1)
	s_delay_alu instid0(VALU_DEP_1) | instskip(SKIP_4) | instid1(VALU_DEP_1)
	v_fma_f64 v[88:89], v[101:102], v[93:94], v[88:89]
	v_movrels_b32_e32 v94, v34
	s_add_i32 m0, s8, -12
	v_movrels_b32_e32 v93, v34
	s_add_i32 m0, s8, -9
	v_fma_f64 v[88:89], v[93:94], v[95:96], v[88:89]
	v_movrels_b32_e32 v94, v34
	s_add_i32 m0, s8, -10
	v_movrels_b32_e32 v93, v34
	s_add_i32 m0, s8, -7
	s_waitcnt lgkmcnt(0)
	s_delay_alu instid0(VALU_DEP_1)
	v_fma_f64 v[88:89], v[93:94], v[97:98], v[88:89]
	v_movrels_b32_e32 v94, v34
	s_add_i32 m0, s8, -8
	v_movrels_b32_e32 v93, v34
	s_add_i32 m0, s8, -5
	;; [unrolled: 2-line block ×4, first 2 shown]
	v_fma_f64 v[88:89], v[93:94], v[99:100], v[88:89]
	ds_load_2addr_b64 v[93:96], v103 offset0:4 offset1:5
	ds_load_2addr_b64 v[97:100], v103 offset0:6 offset1:7
	s_waitcnt lgkmcnt(1)
	v_fma_f64 v[88:89], v[101:102], v[93:94], v[88:89]
	v_movrels_b32_e32 v94, v34
	s_add_i32 m0, s8, -4
	v_movrels_b32_e32 v93, v34
	s_add_i32 m0, s8, -1
	s_delay_alu instid0(VALU_DEP_1)
	v_fma_f64 v[88:89], v[93:94], v[95:96], v[88:89]
	v_movrels_b32_e32 v94, v34
	s_add_i32 m0, s8, -2
	s_add_u32 s2, s2, 8
	v_movrels_b32_e32 v93, v34
	s_mov_b32 m0, s8
	s_addc_u32 s3, s3, 0
	s_add_i32 s8, s2, -7
	s_add_i32 s7, s7, 64
	s_waitcnt lgkmcnt(0)
	s_delay_alu instid0(VALU_DEP_3) | instskip(SKIP_2) | instid1(VALU_DEP_1)
	v_fma_f64 v[88:89], v[93:94], v[97:98], v[88:89]
	v_movrels_b32_e32 v94, v35
	v_movrels_b32_e32 v93, v34
	v_fma_f64 v[88:89], v[93:94], v[99:100], v[88:89]
	v_add_nc_u32_e32 v93, s2, v92
	s_delay_alu instid0(VALU_DEP_1) | instskip(SKIP_2) | instid1(SALU_CYCLE_1)
	v_cmp_eq_u32_e32 vcc_lo, 12, v93
	v_mov_b32_e32 v93, s8
	s_or_b32 s6, vcc_lo, s6
	s_and_not1_b32 exec_lo, exec_lo, s6
	s_cbranch_execnz .LBB10_75
; %bb.76:
	s_or_b32 exec_lo, exec_lo, s6
.LBB10_77:
	s_delay_alu instid0(SALU_CYCLE_1) | instskip(SKIP_3) | instid1(VALU_DEP_1)
	s_or_b32 exec_lo, exec_lo, s0
	v_and_b32_e32 v56, 7, v91
	s_mov_b32 s3, 0
	s_mov_b32 s2, exec_lo
	v_cmpx_ne_u32_e32 0, v56
	s_cbranch_execz .LBB10_81
; %bb.78:
	v_lshl_add_u32 v57, v93, 3, 0x60
	v_mov_b32_e32 v58, 0
.LBB10_79:                              ; =>This Inner Loop Header: Depth=1
	v_cmp_eq_u32_e32 vcc_lo, 1, v93
	v_cmp_eq_u32_e64 s0, 2, v93
	v_dual_cndmask_b32 v59, v35, v37 :: v_dual_add_nc_u32 v56, -1, v56
	v_cndmask_b32_e32 v60, v34, v36, vcc_lo
	v_cmp_eq_u32_e32 vcc_lo, 3, v93
	s_delay_alu instid0(VALU_DEP_3) | instskip(NEXT) | instid1(VALU_DEP_3)
	v_cndmask_b32_e64 v59, v59, v39, s0
	v_cndmask_b32_e64 v60, v60, v38, s0
	v_cmp_eq_u32_e64 s0, 4, v93
	s_delay_alu instid0(VALU_DEP_2) | instskip(SKIP_1) | instid1(VALU_DEP_2)
	v_dual_cndmask_b32 v59, v59, v41 :: v_dual_cndmask_b32 v60, v60, v40
	v_cmp_eq_u32_e32 vcc_lo, 5, v93
	v_cndmask_b32_e64 v59, v59, v43, s0
	s_delay_alu instid0(VALU_DEP_3) | instskip(SKIP_1) | instid1(VALU_DEP_2)
	v_cndmask_b32_e64 v60, v60, v42, s0
	v_cmp_eq_u32_e64 s0, 6, v93
	v_dual_cndmask_b32 v59, v59, v45 :: v_dual_cndmask_b32 v60, v60, v44
	v_cmp_eq_u32_e32 vcc_lo, 7, v93
	s_delay_alu instid0(VALU_DEP_2) | instskip(NEXT) | instid1(VALU_DEP_3)
	v_cndmask_b32_e64 v61, v59, v47, s0
	v_cndmask_b32_e64 v62, v60, v46, s0
	ds_load_b64 v[59:60], v57
	v_cmp_eq_u32_e64 s0, 8, v93
	v_add_nc_u32_e32 v57, 8, v57
	v_dual_cndmask_b32 v61, v61, v49 :: v_dual_cndmask_b32 v62, v62, v48
	v_cmp_eq_u32_e32 vcc_lo, 9, v93
	s_delay_alu instid0(VALU_DEP_2) | instskip(NEXT) | instid1(VALU_DEP_3)
	v_cndmask_b32_e64 v61, v61, v51, s0
	v_cndmask_b32_e64 v62, v62, v50, s0
	v_cmp_eq_u32_e64 s0, 10, v93
	s_delay_alu instid0(VALU_DEP_3) | instskip(NEXT) | instid1(VALU_DEP_3)
	v_cndmask_b32_e32 v61, v61, v53, vcc_lo
	v_cndmask_b32_e32 v63, v62, v52, vcc_lo
	v_cmp_eq_u32_e32 vcc_lo, 0, v56
	s_delay_alu instid0(VALU_DEP_3) | instskip(NEXT) | instid1(VALU_DEP_3)
	v_cndmask_b32_e64 v62, v61, v55, s0
	v_cndmask_b32_e64 v61, v63, v54, s0
	v_add_co_u32 v93, s0, v93, 1
	s_delay_alu instid0(VALU_DEP_1) | instskip(SKIP_1) | instid1(VALU_DEP_3)
	v_add_co_ci_u32_e64 v58, s0, 0, v58, s0
	s_waitcnt lgkmcnt(0)
	v_fma_f64 v[88:89], v[61:62], v[59:60], v[88:89]
	s_or_b32 s3, vcc_lo, s3
	s_delay_alu instid0(SALU_CYCLE_1)
	s_and_not1_b32 exec_lo, exec_lo, s3
	s_cbranch_execnz .LBB10_79
; %bb.80:
	s_or_b32 exec_lo, exec_lo, s3
.LBB10_81:
	s_delay_alu instid0(SALU_CYCLE_1)
	s_or_b32 exec_lo, exec_lo, s2
.LBB10_82:
	s_delay_alu instid0(SALU_CYCLE_1)
	s_or_b32 exec_lo, exec_lo, s5
	v_mov_b32_e32 v42, 0
	ds_load_b64 v[42:43], v42 offset:32
	s_waitcnt lgkmcnt(0)
	v_mul_f64 v[42:43], v[88:89], v[42:43]
.LBB10_83:
	s_or_b32 exec_lo, exec_lo, s4
	v_cmp_lt_u32_e64 s0, 3, v0
	ds_store_b64 v90, v[40:41]
	s_waitcnt lgkmcnt(0)
	s_barrier
	buffer_gl0_inv
	s_and_saveexec_b32 s4, s0
	s_cbranch_execz .LBB10_99
; %bb.84:
	s_and_not1_b32 vcc_lo, exec_lo, s11
	s_cbranch_vccnz .LBB10_86
; %bb.85:
	v_cmp_eq_u32_e32 vcc_lo, 1, v0
	v_dual_cndmask_b32 v88, v35, v37 :: v_dual_cndmask_b32 v89, v34, v36
	v_cmp_eq_u32_e32 vcc_lo, 2, v0
	s_delay_alu instid0(VALU_DEP_2) | instskip(SKIP_1) | instid1(VALU_DEP_2)
	v_dual_cndmask_b32 v88, v88, v39 :: v_dual_cndmask_b32 v89, v89, v38
	v_cmp_eq_u32_e32 vcc_lo, 3, v0
	v_dual_cndmask_b32 v88, v88, v41 :: v_dual_cndmask_b32 v89, v89, v40
	v_cmp_eq_u32_e32 vcc_lo, 4, v0
	s_delay_alu instid0(VALU_DEP_2) | instskip(SKIP_1) | instid1(VALU_DEP_2)
	v_dual_cndmask_b32 v88, v88, v43 :: v_dual_cndmask_b32 v89, v89, v42
	;; [unrolled: 5-line block ×3, first 2 shown]
	v_cmp_eq_u32_e32 vcc_lo, 7, v0
	v_dual_cndmask_b32 v91, v88, v49 :: v_dual_cndmask_b32 v92, v89, v48
	v_cmp_eq_u32_e32 vcc_lo, 8, v0
	ds_load_b64 v[88:89], v90
	v_dual_cndmask_b32 v91, v91, v51 :: v_dual_cndmask_b32 v92, v92, v50
	v_cmp_eq_u32_e32 vcc_lo, 9, v0
	s_delay_alu instid0(VALU_DEP_2) | instskip(NEXT) | instid1(VALU_DEP_3)
	v_cndmask_b32_e32 v91, v91, v53, vcc_lo
	v_cndmask_b32_e32 v93, v92, v52, vcc_lo
	v_cmp_eq_u32_e32 vcc_lo, 10, v0
	s_delay_alu instid0(VALU_DEP_2) | instskip(SKIP_1) | instid1(VALU_DEP_1)
	v_dual_cndmask_b32 v92, v91, v55 :: v_dual_cndmask_b32 v91, v93, v54
	s_waitcnt lgkmcnt(0)
	v_mul_f64 v[88:89], v[91:92], v[88:89]
	s_cbranch_execz .LBB10_87
	s_branch .LBB10_88
.LBB10_86:
                                        ; implicit-def: $vgpr88_vgpr89
.LBB10_87:
	ds_load_b64 v[88:89], v90
.LBB10_88:
	s_and_saveexec_b32 s5, s1
	s_cbranch_execz .LBB10_98
; %bb.89:
	v_dual_mov_b32 v93, 4 :: v_dual_add_nc_u32 v92, -5, v0
	v_add_nc_u32_e32 v91, -4, v0
	s_mov_b32 s1, exec_lo
	s_delay_alu instid0(VALU_DEP_2)
	v_cmpx_lt_u32_e32 6, v92
	s_cbranch_execz .LBB10_93
; %bb.90:
	s_delay_alu instid0(VALU_DEP_2) | instskip(SKIP_3) | instid1(VALU_DEP_1)
	v_and_b32_e32 v92, -8, v91
	s_mov_b32 s6, 0
	s_mov_b64 s[2:3], 5
	s_movk_i32 s7, 0x80
	v_sub_nc_u32_e32 v92, 0, v92
.LBB10_91:                              ; =>This Inner Loop Header: Depth=1
	v_mov_b32_e32 v103, s7
	s_lshl_b32 s8, s2, 1
	s_delay_alu instid0(SALU_CYCLE_1)
	s_add_i32 m0, s8, -1
	s_add_i32 s9, s8, 3
	ds_load_b128 v[93:96], v103
	ds_load_b128 v[97:100], v103 offset:16
	v_movrels_b32_e32 v102, v34
	s_add_i32 m0, s8, -2
	s_add_i32 s10, s8, 2
	v_movrels_b32_e32 v101, v34
	s_mov_b32 m0, s8
	s_waitcnt lgkmcnt(1)
	s_delay_alu instid0(VALU_DEP_1) | instskip(SKIP_4) | instid1(VALU_DEP_1)
	v_fma_f64 v[88:89], v[101:102], v[93:94], v[88:89]
	v_movrels_b32_e32 v94, v35
	v_movrels_b32_e32 v93, v34
	s_mov_b32 m0, s9
	s_add_i32 s9, s8, 5
	v_fma_f64 v[88:89], v[93:94], v[95:96], v[88:89]
	v_movrels_b32_e32 v94, v34
	s_mov_b32 m0, s10
	s_add_i32 s10, s8, 4
	v_movrels_b32_e32 v93, v34
	s_mov_b32 m0, s9
	s_add_i32 s9, s8, 7
	s_waitcnt lgkmcnt(0)
	s_delay_alu instid0(VALU_DEP_1)
	v_fma_f64 v[88:89], v[93:94], v[97:98], v[88:89]
	v_movrels_b32_e32 v94, v34
	s_mov_b32 m0, s10
	s_add_i32 s10, s8, 6
	v_movrels_b32_e32 v93, v34
	s_mov_b32 m0, s9
	s_add_i32 s9, s8, 9
	;; [unrolled: 3-line block ×4, first 2 shown]
	v_fma_f64 v[88:89], v[93:94], v[99:100], v[88:89]
	ds_load_b128 v[93:96], v103 offset:32
	ds_load_b128 v[97:100], v103 offset:48
	s_waitcnt lgkmcnt(1)
	v_fma_f64 v[88:89], v[101:102], v[93:94], v[88:89]
	v_movrels_b32_e32 v94, v34
	s_mov_b32 m0, s10
	s_add_i32 s10, s8, 10
	v_movrels_b32_e32 v93, v34
	s_mov_b32 m0, s9
	s_add_i32 s9, s8, 13
	s_add_i32 s8, s8, 12
	s_add_u32 s2, s2, 8
	s_addc_u32 s3, s3, 0
	s_add_i32 s7, s7, 64
	s_delay_alu instid0(VALU_DEP_3)
	v_fma_f64 v[88:89], v[93:94], v[95:96], v[88:89]
	v_movrels_b32_e32 v94, v34
	s_mov_b32 m0, s10
	v_movrels_b32_e32 v93, v34
	s_mov_b32 m0, s9
	s_waitcnt lgkmcnt(0)
	s_delay_alu instid0(VALU_DEP_1) | instskip(SKIP_4) | instid1(VALU_DEP_1)
	v_fma_f64 v[88:89], v[93:94], v[97:98], v[88:89]
	v_movrels_b32_e32 v94, v34
	s_mov_b32 m0, s8
	s_add_i32 s8, s2, -1
	v_movrels_b32_e32 v93, v34
	v_fma_f64 v[88:89], v[93:94], v[99:100], v[88:89]
	v_add_nc_u32_e32 v93, s2, v92
	s_delay_alu instid0(VALU_DEP_1) | instskip(SKIP_2) | instid1(SALU_CYCLE_1)
	v_cmp_eq_u32_e32 vcc_lo, 5, v93
	v_mov_b32_e32 v93, s8
	s_or_b32 s6, vcc_lo, s6
	s_and_not1_b32 exec_lo, exec_lo, s6
	s_cbranch_execnz .LBB10_91
; %bb.92:
	s_or_b32 exec_lo, exec_lo, s6
.LBB10_93:
	s_delay_alu instid0(SALU_CYCLE_1) | instskip(SKIP_3) | instid1(VALU_DEP_1)
	s_or_b32 exec_lo, exec_lo, s1
	v_and_b32_e32 v56, 7, v91
	s_mov_b32 s3, 0
	s_mov_b32 s2, exec_lo
	v_cmpx_ne_u32_e32 0, v56
	s_cbranch_execz .LBB10_97
; %bb.94:
	v_lshl_add_u32 v57, v93, 3, 0x60
	v_mov_b32_e32 v58, 0
.LBB10_95:                              ; =>This Inner Loop Header: Depth=1
	v_cmp_eq_u32_e32 vcc_lo, 1, v93
	v_cmp_eq_u32_e64 s1, 2, v93
	v_dual_cndmask_b32 v59, v35, v37 :: v_dual_add_nc_u32 v56, -1, v56
	v_cndmask_b32_e32 v60, v34, v36, vcc_lo
	v_cmp_eq_u32_e32 vcc_lo, 3, v93
	s_delay_alu instid0(VALU_DEP_3) | instskip(NEXT) | instid1(VALU_DEP_3)
	v_cndmask_b32_e64 v59, v59, v39, s1
	v_cndmask_b32_e64 v60, v60, v38, s1
	v_cmp_eq_u32_e64 s1, 4, v93
	s_delay_alu instid0(VALU_DEP_2) | instskip(SKIP_1) | instid1(VALU_DEP_2)
	v_dual_cndmask_b32 v59, v59, v41 :: v_dual_cndmask_b32 v60, v60, v40
	v_cmp_eq_u32_e32 vcc_lo, 5, v93
	v_cndmask_b32_e64 v59, v59, v43, s1
	s_delay_alu instid0(VALU_DEP_3) | instskip(SKIP_1) | instid1(VALU_DEP_2)
	v_cndmask_b32_e64 v60, v60, v42, s1
	v_cmp_eq_u32_e64 s1, 6, v93
	v_dual_cndmask_b32 v59, v59, v45 :: v_dual_cndmask_b32 v60, v60, v44
	v_cmp_eq_u32_e32 vcc_lo, 7, v93
	s_delay_alu instid0(VALU_DEP_2) | instskip(NEXT) | instid1(VALU_DEP_3)
	v_cndmask_b32_e64 v61, v59, v47, s1
	v_cndmask_b32_e64 v62, v60, v46, s1
	ds_load_b64 v[59:60], v57
	v_cmp_eq_u32_e64 s1, 8, v93
	v_add_nc_u32_e32 v57, 8, v57
	v_dual_cndmask_b32 v61, v61, v49 :: v_dual_cndmask_b32 v62, v62, v48
	v_cmp_eq_u32_e32 vcc_lo, 9, v93
	s_delay_alu instid0(VALU_DEP_2) | instskip(NEXT) | instid1(VALU_DEP_3)
	v_cndmask_b32_e64 v61, v61, v51, s1
	v_cndmask_b32_e64 v62, v62, v50, s1
	v_cmp_eq_u32_e64 s1, 10, v93
	s_delay_alu instid0(VALU_DEP_3) | instskip(NEXT) | instid1(VALU_DEP_3)
	v_cndmask_b32_e32 v61, v61, v53, vcc_lo
	v_cndmask_b32_e32 v63, v62, v52, vcc_lo
	v_cmp_eq_u32_e32 vcc_lo, 0, v56
	s_delay_alu instid0(VALU_DEP_3) | instskip(NEXT) | instid1(VALU_DEP_3)
	v_cndmask_b32_e64 v62, v61, v55, s1
	v_cndmask_b32_e64 v61, v63, v54, s1
	v_add_co_u32 v93, s1, v93, 1
	s_delay_alu instid0(VALU_DEP_1) | instskip(SKIP_1) | instid1(VALU_DEP_3)
	v_add_co_ci_u32_e64 v58, s1, 0, v58, s1
	s_waitcnt lgkmcnt(0)
	v_fma_f64 v[88:89], v[61:62], v[59:60], v[88:89]
	s_or_b32 s3, vcc_lo, s3
	s_delay_alu instid0(SALU_CYCLE_1)
	s_and_not1_b32 exec_lo, exec_lo, s3
	s_cbranch_execnz .LBB10_95
; %bb.96:
	s_or_b32 exec_lo, exec_lo, s3
.LBB10_97:
	s_delay_alu instid0(SALU_CYCLE_1)
	s_or_b32 exec_lo, exec_lo, s2
.LBB10_98:
	s_delay_alu instid0(SALU_CYCLE_1)
	s_or_b32 exec_lo, exec_lo, s5
	v_mov_b32_e32 v40, 0
	ds_load_b64 v[40:41], v40 offset:24
	s_waitcnt lgkmcnt(0)
	v_mul_f64 v[40:41], v[88:89], v[40:41]
.LBB10_99:
	s_or_b32 exec_lo, exec_lo, s4
	v_cmp_lt_u32_e64 s1, 2, v0
	ds_store_b64 v90, v[38:39]
	s_waitcnt lgkmcnt(0)
	s_barrier
	buffer_gl0_inv
	s_and_saveexec_b32 s4, s1
	s_cbranch_execz .LBB10_115
; %bb.100:
	s_and_not1_b32 vcc_lo, exec_lo, s11
	s_cbranch_vccnz .LBB10_102
; %bb.101:
	v_cmp_eq_u32_e32 vcc_lo, 1, v0
	v_dual_cndmask_b32 v88, v35, v37 :: v_dual_cndmask_b32 v89, v34, v36
	v_cmp_eq_u32_e32 vcc_lo, 2, v0
	s_delay_alu instid0(VALU_DEP_2) | instskip(SKIP_1) | instid1(VALU_DEP_2)
	v_dual_cndmask_b32 v88, v88, v39 :: v_dual_cndmask_b32 v89, v89, v38
	v_cmp_eq_u32_e32 vcc_lo, 3, v0
	v_dual_cndmask_b32 v88, v88, v41 :: v_dual_cndmask_b32 v89, v89, v40
	v_cmp_eq_u32_e32 vcc_lo, 4, v0
	s_delay_alu instid0(VALU_DEP_2) | instskip(SKIP_1) | instid1(VALU_DEP_2)
	v_dual_cndmask_b32 v88, v88, v43 :: v_dual_cndmask_b32 v89, v89, v42
	;; [unrolled: 5-line block ×3, first 2 shown]
	v_cmp_eq_u32_e32 vcc_lo, 7, v0
	v_dual_cndmask_b32 v91, v88, v49 :: v_dual_cndmask_b32 v92, v89, v48
	v_cmp_eq_u32_e32 vcc_lo, 8, v0
	ds_load_b64 v[88:89], v90
	v_dual_cndmask_b32 v91, v91, v51 :: v_dual_cndmask_b32 v92, v92, v50
	v_cmp_eq_u32_e32 vcc_lo, 9, v0
	s_delay_alu instid0(VALU_DEP_2) | instskip(NEXT) | instid1(VALU_DEP_3)
	v_cndmask_b32_e32 v91, v91, v53, vcc_lo
	v_cndmask_b32_e32 v93, v92, v52, vcc_lo
	v_cmp_eq_u32_e32 vcc_lo, 10, v0
	s_delay_alu instid0(VALU_DEP_2) | instskip(SKIP_1) | instid1(VALU_DEP_1)
	v_dual_cndmask_b32 v92, v91, v55 :: v_dual_cndmask_b32 v91, v93, v54
	s_waitcnt lgkmcnt(0)
	v_mul_f64 v[88:89], v[91:92], v[88:89]
	s_cbranch_execz .LBB10_103
	s_branch .LBB10_104
.LBB10_102:
                                        ; implicit-def: $vgpr88_vgpr89
.LBB10_103:
	ds_load_b64 v[88:89], v90
.LBB10_104:
	s_and_saveexec_b32 s5, s0
	s_cbranch_execz .LBB10_114
; %bb.105:
	v_dual_mov_b32 v93, 3 :: v_dual_add_nc_u32 v92, -4, v0
	v_add_nc_u32_e32 v91, -3, v0
	s_mov_b32 s0, exec_lo
	s_delay_alu instid0(VALU_DEP_2)
	v_cmpx_lt_u32_e32 6, v92
	s_cbranch_execz .LBB10_109
; %bb.106:
	s_delay_alu instid0(VALU_DEP_2) | instskip(SKIP_3) | instid1(VALU_DEP_1)
	v_and_b32_e32 v92, -8, v91
	s_mov_b32 s6, 0
	s_mov_b64 s[2:3], 10
	s_movk_i32 s7, 0x78
	v_sub_nc_u32_e32 v92, 0, v92
.LBB10_107:                             ; =>This Inner Loop Header: Depth=1
	v_mov_b32_e32 v103, s7
	s_lshl_b32 s8, s2, 1
	s_delay_alu instid0(SALU_CYCLE_1)
	s_add_i32 m0, s8, -13
	v_movrels_b32_e32 v102, v34
	ds_load_2addr_b64 v[93:96], v103 offset1:1
	ds_load_2addr_b64 v[97:100], v103 offset0:2 offset1:3
	s_add_i32 m0, s8, -14
	v_movrels_b32_e32 v101, v34
	s_add_i32 m0, s8, -11
	s_waitcnt lgkmcnt(1)
	s_delay_alu instid0(VALU_DEP_1) | instskip(SKIP_4) | instid1(VALU_DEP_1)
	v_fma_f64 v[88:89], v[101:102], v[93:94], v[88:89]
	v_movrels_b32_e32 v94, v34
	s_add_i32 m0, s8, -12
	v_movrels_b32_e32 v93, v34
	s_add_i32 m0, s8, -9
	v_fma_f64 v[88:89], v[93:94], v[95:96], v[88:89]
	v_movrels_b32_e32 v94, v34
	s_add_i32 m0, s8, -10
	v_movrels_b32_e32 v93, v34
	s_add_i32 m0, s8, -7
	s_waitcnt lgkmcnt(0)
	s_delay_alu instid0(VALU_DEP_1)
	v_fma_f64 v[88:89], v[93:94], v[97:98], v[88:89]
	v_movrels_b32_e32 v94, v34
	s_add_i32 m0, s8, -8
	v_movrels_b32_e32 v93, v34
	s_add_i32 m0, s8, -5
	;; [unrolled: 2-line block ×4, first 2 shown]
	v_fma_f64 v[88:89], v[93:94], v[99:100], v[88:89]
	ds_load_2addr_b64 v[93:96], v103 offset0:4 offset1:5
	ds_load_2addr_b64 v[97:100], v103 offset0:6 offset1:7
	s_waitcnt lgkmcnt(1)
	v_fma_f64 v[88:89], v[101:102], v[93:94], v[88:89]
	v_movrels_b32_e32 v94, v34
	s_add_i32 m0, s8, -4
	v_movrels_b32_e32 v93, v34
	s_add_i32 m0, s8, -1
	s_delay_alu instid0(VALU_DEP_1)
	v_fma_f64 v[88:89], v[93:94], v[95:96], v[88:89]
	v_movrels_b32_e32 v94, v34
	s_add_i32 m0, s8, -2
	s_add_u32 s2, s2, 8
	v_movrels_b32_e32 v93, v34
	s_mov_b32 m0, s8
	s_addc_u32 s3, s3, 0
	s_add_i32 s8, s2, -7
	s_add_i32 s7, s7, 64
	s_waitcnt lgkmcnt(0)
	s_delay_alu instid0(VALU_DEP_3) | instskip(SKIP_2) | instid1(VALU_DEP_1)
	v_fma_f64 v[88:89], v[93:94], v[97:98], v[88:89]
	v_movrels_b32_e32 v94, v35
	v_movrels_b32_e32 v93, v34
	v_fma_f64 v[88:89], v[93:94], v[99:100], v[88:89]
	v_add_nc_u32_e32 v93, s2, v92
	s_delay_alu instid0(VALU_DEP_1) | instskip(SKIP_2) | instid1(SALU_CYCLE_1)
	v_cmp_eq_u32_e32 vcc_lo, 10, v93
	v_mov_b32_e32 v93, s8
	s_or_b32 s6, vcc_lo, s6
	s_and_not1_b32 exec_lo, exec_lo, s6
	s_cbranch_execnz .LBB10_107
; %bb.108:
	s_or_b32 exec_lo, exec_lo, s6
.LBB10_109:
	s_delay_alu instid0(SALU_CYCLE_1) | instskip(SKIP_3) | instid1(VALU_DEP_1)
	s_or_b32 exec_lo, exec_lo, s0
	v_and_b32_e32 v56, 7, v91
	s_mov_b32 s3, 0
	s_mov_b32 s2, exec_lo
	v_cmpx_ne_u32_e32 0, v56
	s_cbranch_execz .LBB10_113
; %bb.110:
	v_lshl_add_u32 v57, v93, 3, 0x60
	v_mov_b32_e32 v58, 0
.LBB10_111:                             ; =>This Inner Loop Header: Depth=1
	v_cmp_eq_u32_e32 vcc_lo, 1, v93
	v_cmp_eq_u32_e64 s0, 2, v93
	v_dual_cndmask_b32 v59, v35, v37 :: v_dual_add_nc_u32 v56, -1, v56
	v_cndmask_b32_e32 v60, v34, v36, vcc_lo
	v_cmp_eq_u32_e32 vcc_lo, 3, v93
	s_delay_alu instid0(VALU_DEP_3) | instskip(NEXT) | instid1(VALU_DEP_3)
	v_cndmask_b32_e64 v59, v59, v39, s0
	v_cndmask_b32_e64 v60, v60, v38, s0
	v_cmp_eq_u32_e64 s0, 4, v93
	s_delay_alu instid0(VALU_DEP_2) | instskip(SKIP_1) | instid1(VALU_DEP_2)
	v_dual_cndmask_b32 v59, v59, v41 :: v_dual_cndmask_b32 v60, v60, v40
	v_cmp_eq_u32_e32 vcc_lo, 5, v93
	v_cndmask_b32_e64 v59, v59, v43, s0
	s_delay_alu instid0(VALU_DEP_3) | instskip(SKIP_1) | instid1(VALU_DEP_2)
	v_cndmask_b32_e64 v60, v60, v42, s0
	v_cmp_eq_u32_e64 s0, 6, v93
	v_dual_cndmask_b32 v59, v59, v45 :: v_dual_cndmask_b32 v60, v60, v44
	v_cmp_eq_u32_e32 vcc_lo, 7, v93
	s_delay_alu instid0(VALU_DEP_2) | instskip(NEXT) | instid1(VALU_DEP_3)
	v_cndmask_b32_e64 v61, v59, v47, s0
	v_cndmask_b32_e64 v62, v60, v46, s0
	ds_load_b64 v[59:60], v57
	v_cmp_eq_u32_e64 s0, 8, v93
	v_add_nc_u32_e32 v57, 8, v57
	v_dual_cndmask_b32 v61, v61, v49 :: v_dual_cndmask_b32 v62, v62, v48
	v_cmp_eq_u32_e32 vcc_lo, 9, v93
	s_delay_alu instid0(VALU_DEP_2) | instskip(NEXT) | instid1(VALU_DEP_3)
	v_cndmask_b32_e64 v61, v61, v51, s0
	v_cndmask_b32_e64 v62, v62, v50, s0
	v_cmp_eq_u32_e64 s0, 10, v93
	s_delay_alu instid0(VALU_DEP_3) | instskip(NEXT) | instid1(VALU_DEP_3)
	v_cndmask_b32_e32 v61, v61, v53, vcc_lo
	v_cndmask_b32_e32 v63, v62, v52, vcc_lo
	v_cmp_eq_u32_e32 vcc_lo, 0, v56
	s_delay_alu instid0(VALU_DEP_3) | instskip(NEXT) | instid1(VALU_DEP_3)
	v_cndmask_b32_e64 v62, v61, v55, s0
	v_cndmask_b32_e64 v61, v63, v54, s0
	v_add_co_u32 v93, s0, v93, 1
	s_delay_alu instid0(VALU_DEP_1) | instskip(SKIP_1) | instid1(VALU_DEP_3)
	v_add_co_ci_u32_e64 v58, s0, 0, v58, s0
	s_waitcnt lgkmcnt(0)
	v_fma_f64 v[88:89], v[61:62], v[59:60], v[88:89]
	s_or_b32 s3, vcc_lo, s3
	s_delay_alu instid0(SALU_CYCLE_1)
	s_and_not1_b32 exec_lo, exec_lo, s3
	s_cbranch_execnz .LBB10_111
; %bb.112:
	s_or_b32 exec_lo, exec_lo, s3
.LBB10_113:
	s_delay_alu instid0(SALU_CYCLE_1)
	s_or_b32 exec_lo, exec_lo, s2
.LBB10_114:
	s_delay_alu instid0(SALU_CYCLE_1)
	s_or_b32 exec_lo, exec_lo, s5
	v_mov_b32_e32 v38, 0
	ds_load_b64 v[38:39], v38 offset:16
	s_waitcnt lgkmcnt(0)
	v_mul_f64 v[38:39], v[88:89], v[38:39]
.LBB10_115:
	s_or_b32 exec_lo, exec_lo, s4
	v_cmp_lt_u32_e64 s0, 1, v0
	ds_store_b64 v90, v[36:37]
	s_waitcnt lgkmcnt(0)
	s_barrier
	buffer_gl0_inv
	s_and_saveexec_b32 s4, s0
	s_cbranch_execz .LBB10_131
; %bb.116:
	s_and_not1_b32 vcc_lo, exec_lo, s11
	s_cbranch_vccnz .LBB10_118
; %bb.117:
	v_cmp_eq_u32_e32 vcc_lo, 1, v0
	v_dual_cndmask_b32 v88, v35, v37 :: v_dual_cndmask_b32 v89, v34, v36
	v_cmp_eq_u32_e32 vcc_lo, 2, v0
	s_delay_alu instid0(VALU_DEP_2) | instskip(SKIP_1) | instid1(VALU_DEP_2)
	v_dual_cndmask_b32 v88, v88, v39 :: v_dual_cndmask_b32 v89, v89, v38
	v_cmp_eq_u32_e32 vcc_lo, 3, v0
	v_dual_cndmask_b32 v88, v88, v41 :: v_dual_cndmask_b32 v89, v89, v40
	v_cmp_eq_u32_e32 vcc_lo, 4, v0
	s_delay_alu instid0(VALU_DEP_2) | instskip(SKIP_1) | instid1(VALU_DEP_2)
	v_dual_cndmask_b32 v88, v88, v43 :: v_dual_cndmask_b32 v89, v89, v42
	;; [unrolled: 5-line block ×3, first 2 shown]
	v_cmp_eq_u32_e32 vcc_lo, 7, v0
	v_dual_cndmask_b32 v91, v88, v49 :: v_dual_cndmask_b32 v92, v89, v48
	v_cmp_eq_u32_e32 vcc_lo, 8, v0
	ds_load_b64 v[88:89], v90
	v_dual_cndmask_b32 v91, v91, v51 :: v_dual_cndmask_b32 v92, v92, v50
	v_cmp_eq_u32_e32 vcc_lo, 9, v0
	s_delay_alu instid0(VALU_DEP_2) | instskip(NEXT) | instid1(VALU_DEP_3)
	v_cndmask_b32_e32 v91, v91, v53, vcc_lo
	v_cndmask_b32_e32 v93, v92, v52, vcc_lo
	v_cmp_eq_u32_e32 vcc_lo, 10, v0
	s_delay_alu instid0(VALU_DEP_2) | instskip(SKIP_1) | instid1(VALU_DEP_1)
	v_dual_cndmask_b32 v92, v91, v55 :: v_dual_cndmask_b32 v91, v93, v54
	s_waitcnt lgkmcnt(0)
	v_mul_f64 v[88:89], v[91:92], v[88:89]
	s_cbranch_execz .LBB10_119
	s_branch .LBB10_120
.LBB10_118:
                                        ; implicit-def: $vgpr88_vgpr89
.LBB10_119:
	ds_load_b64 v[88:89], v90
.LBB10_120:
	s_and_saveexec_b32 s5, s1
	s_cbranch_execz .LBB10_130
; %bb.121:
	v_dual_mov_b32 v93, 2 :: v_dual_add_nc_u32 v92, -3, v0
	v_add_nc_u32_e32 v91, -2, v0
	s_mov_b32 s1, exec_lo
	s_delay_alu instid0(VALU_DEP_2)
	v_cmpx_lt_u32_e32 6, v92
	s_cbranch_execz .LBB10_125
; %bb.122:
	s_delay_alu instid0(VALU_DEP_2) | instskip(SKIP_3) | instid1(VALU_DEP_1)
	v_and_b32_e32 v92, -8, v91
	s_mov_b32 s6, 0
	s_mov_b64 s[2:3], 9
	s_movk_i32 s7, 0x70
	v_sub_nc_u32_e32 v92, 0, v92
.LBB10_123:                             ; =>This Inner Loop Header: Depth=1
	v_mov_b32_e32 v103, s7
	s_lshl_b32 s8, s2, 1
	s_delay_alu instid0(SALU_CYCLE_1)
	s_add_i32 m0, s8, -13
	v_movrels_b32_e32 v102, v34
	ds_load_b128 v[93:96], v103
	ds_load_b128 v[97:100], v103 offset:16
	s_add_i32 m0, s8, -14
	v_movrels_b32_e32 v101, v34
	s_add_i32 m0, s8, -11
	s_waitcnt lgkmcnt(1)
	s_delay_alu instid0(VALU_DEP_1) | instskip(SKIP_4) | instid1(VALU_DEP_1)
	v_fma_f64 v[88:89], v[101:102], v[93:94], v[88:89]
	v_movrels_b32_e32 v94, v34
	s_add_i32 m0, s8, -12
	v_movrels_b32_e32 v93, v34
	s_add_i32 m0, s8, -9
	v_fma_f64 v[88:89], v[93:94], v[95:96], v[88:89]
	v_movrels_b32_e32 v94, v34
	s_add_i32 m0, s8, -10
	v_movrels_b32_e32 v93, v34
	s_add_i32 m0, s8, -7
	s_waitcnt lgkmcnt(0)
	s_delay_alu instid0(VALU_DEP_1)
	v_fma_f64 v[88:89], v[93:94], v[97:98], v[88:89]
	v_movrels_b32_e32 v94, v34
	s_add_i32 m0, s8, -8
	v_movrels_b32_e32 v93, v34
	s_add_i32 m0, s8, -5
	;; [unrolled: 2-line block ×4, first 2 shown]
	v_fma_f64 v[88:89], v[93:94], v[99:100], v[88:89]
	ds_load_b128 v[93:96], v103 offset:32
	ds_load_b128 v[97:100], v103 offset:48
	s_waitcnt lgkmcnt(1)
	v_fma_f64 v[88:89], v[101:102], v[93:94], v[88:89]
	v_movrels_b32_e32 v94, v34
	s_add_i32 m0, s8, -4
	v_movrels_b32_e32 v93, v34
	s_add_i32 m0, s8, -1
	s_delay_alu instid0(VALU_DEP_1)
	v_fma_f64 v[88:89], v[93:94], v[95:96], v[88:89]
	v_movrels_b32_e32 v94, v34
	s_add_i32 m0, s8, -2
	s_add_u32 s2, s2, 8
	v_movrels_b32_e32 v93, v34
	s_mov_b32 m0, s8
	s_addc_u32 s3, s3, 0
	s_add_i32 s8, s2, -7
	s_add_i32 s7, s7, 64
	s_waitcnt lgkmcnt(0)
	s_delay_alu instid0(VALU_DEP_3) | instskip(SKIP_2) | instid1(VALU_DEP_1)
	v_fma_f64 v[88:89], v[93:94], v[97:98], v[88:89]
	v_movrels_b32_e32 v94, v35
	v_movrels_b32_e32 v93, v34
	v_fma_f64 v[88:89], v[93:94], v[99:100], v[88:89]
	v_add_nc_u32_e32 v93, s2, v92
	s_delay_alu instid0(VALU_DEP_1) | instskip(SKIP_2) | instid1(SALU_CYCLE_1)
	v_cmp_eq_u32_e32 vcc_lo, 9, v93
	v_mov_b32_e32 v93, s8
	s_or_b32 s6, vcc_lo, s6
	s_and_not1_b32 exec_lo, exec_lo, s6
	s_cbranch_execnz .LBB10_123
; %bb.124:
	s_or_b32 exec_lo, exec_lo, s6
.LBB10_125:
	s_delay_alu instid0(SALU_CYCLE_1) | instskip(SKIP_3) | instid1(VALU_DEP_1)
	s_or_b32 exec_lo, exec_lo, s1
	v_and_b32_e32 v56, 7, v91
	s_mov_b32 s3, 0
	s_mov_b32 s2, exec_lo
	v_cmpx_ne_u32_e32 0, v56
	s_cbranch_execz .LBB10_129
; %bb.126:
	v_lshl_add_u32 v57, v93, 3, 0x60
	v_mov_b32_e32 v58, 0
.LBB10_127:                             ; =>This Inner Loop Header: Depth=1
	v_cmp_eq_u32_e32 vcc_lo, 1, v93
	v_cmp_eq_u32_e64 s1, 2, v93
	v_dual_cndmask_b32 v59, v35, v37 :: v_dual_add_nc_u32 v56, -1, v56
	v_cndmask_b32_e32 v60, v34, v36, vcc_lo
	v_cmp_eq_u32_e32 vcc_lo, 3, v93
	s_delay_alu instid0(VALU_DEP_3) | instskip(NEXT) | instid1(VALU_DEP_3)
	v_cndmask_b32_e64 v59, v59, v39, s1
	v_cndmask_b32_e64 v60, v60, v38, s1
	v_cmp_eq_u32_e64 s1, 4, v93
	s_delay_alu instid0(VALU_DEP_2) | instskip(SKIP_1) | instid1(VALU_DEP_2)
	v_dual_cndmask_b32 v59, v59, v41 :: v_dual_cndmask_b32 v60, v60, v40
	v_cmp_eq_u32_e32 vcc_lo, 5, v93
	v_cndmask_b32_e64 v59, v59, v43, s1
	s_delay_alu instid0(VALU_DEP_3) | instskip(SKIP_1) | instid1(VALU_DEP_2)
	v_cndmask_b32_e64 v60, v60, v42, s1
	v_cmp_eq_u32_e64 s1, 6, v93
	v_dual_cndmask_b32 v59, v59, v45 :: v_dual_cndmask_b32 v60, v60, v44
	v_cmp_eq_u32_e32 vcc_lo, 7, v93
	s_delay_alu instid0(VALU_DEP_2) | instskip(NEXT) | instid1(VALU_DEP_3)
	v_cndmask_b32_e64 v61, v59, v47, s1
	v_cndmask_b32_e64 v62, v60, v46, s1
	ds_load_b64 v[59:60], v57
	v_cmp_eq_u32_e64 s1, 8, v93
	v_add_nc_u32_e32 v57, 8, v57
	v_dual_cndmask_b32 v61, v61, v49 :: v_dual_cndmask_b32 v62, v62, v48
	v_cmp_eq_u32_e32 vcc_lo, 9, v93
	s_delay_alu instid0(VALU_DEP_2) | instskip(NEXT) | instid1(VALU_DEP_3)
	v_cndmask_b32_e64 v61, v61, v51, s1
	v_cndmask_b32_e64 v62, v62, v50, s1
	v_cmp_eq_u32_e64 s1, 10, v93
	s_delay_alu instid0(VALU_DEP_3) | instskip(NEXT) | instid1(VALU_DEP_3)
	v_cndmask_b32_e32 v61, v61, v53, vcc_lo
	v_cndmask_b32_e32 v63, v62, v52, vcc_lo
	v_cmp_eq_u32_e32 vcc_lo, 0, v56
	s_delay_alu instid0(VALU_DEP_3) | instskip(NEXT) | instid1(VALU_DEP_3)
	v_cndmask_b32_e64 v62, v61, v55, s1
	v_cndmask_b32_e64 v61, v63, v54, s1
	v_add_co_u32 v93, s1, v93, 1
	s_delay_alu instid0(VALU_DEP_1) | instskip(SKIP_1) | instid1(VALU_DEP_3)
	v_add_co_ci_u32_e64 v58, s1, 0, v58, s1
	s_waitcnt lgkmcnt(0)
	v_fma_f64 v[88:89], v[61:62], v[59:60], v[88:89]
	s_or_b32 s3, vcc_lo, s3
	s_delay_alu instid0(SALU_CYCLE_1)
	s_and_not1_b32 exec_lo, exec_lo, s3
	s_cbranch_execnz .LBB10_127
; %bb.128:
	s_or_b32 exec_lo, exec_lo, s3
.LBB10_129:
	s_delay_alu instid0(SALU_CYCLE_1)
	s_or_b32 exec_lo, exec_lo, s2
.LBB10_130:
	s_delay_alu instid0(SALU_CYCLE_1)
	s_or_b32 exec_lo, exec_lo, s5
	v_mov_b32_e32 v36, 0
	ds_load_b64 v[36:37], v36 offset:8
	s_waitcnt lgkmcnt(0)
	v_mul_f64 v[36:37], v[88:89], v[36:37]
.LBB10_131:
	s_or_b32 exec_lo, exec_lo, s4
	s_mov_b32 s2, 0
	s_mov_b32 s3, exec_lo
	ds_store_b64 v90, v[34:35]
	s_waitcnt lgkmcnt(0)
	s_barrier
	buffer_gl0_inv
	v_cmpx_ne_u32_e32 0, v0
	s_cbranch_execz .LBB10_147
; %bb.132:
	s_and_not1_b32 vcc_lo, exec_lo, s11
	s_cbranch_vccnz .LBB10_134
; %bb.133:
	v_cmp_eq_u32_e32 vcc_lo, 1, v0
	v_dual_cndmask_b32 v88, v35, v37 :: v_dual_cndmask_b32 v89, v34, v36
	v_cmp_eq_u32_e32 vcc_lo, 2, v0
	s_delay_alu instid0(VALU_DEP_2) | instskip(SKIP_1) | instid1(VALU_DEP_2)
	v_dual_cndmask_b32 v88, v88, v39 :: v_dual_cndmask_b32 v89, v89, v38
	v_cmp_eq_u32_e32 vcc_lo, 3, v0
	v_dual_cndmask_b32 v88, v88, v41 :: v_dual_cndmask_b32 v89, v89, v40
	v_cmp_eq_u32_e32 vcc_lo, 4, v0
	s_delay_alu instid0(VALU_DEP_2) | instskip(SKIP_1) | instid1(VALU_DEP_2)
	v_dual_cndmask_b32 v88, v88, v43 :: v_dual_cndmask_b32 v89, v89, v42
	;; [unrolled: 5-line block ×3, first 2 shown]
	v_cmp_eq_u32_e32 vcc_lo, 7, v0
	v_dual_cndmask_b32 v91, v88, v49 :: v_dual_cndmask_b32 v92, v89, v48
	v_cmp_eq_u32_e32 vcc_lo, 8, v0
	ds_load_b64 v[88:89], v90
	v_dual_cndmask_b32 v91, v91, v51 :: v_dual_cndmask_b32 v92, v92, v50
	v_cmp_eq_u32_e32 vcc_lo, 9, v0
	s_delay_alu instid0(VALU_DEP_2) | instskip(NEXT) | instid1(VALU_DEP_3)
	v_cndmask_b32_e32 v91, v91, v53, vcc_lo
	v_cndmask_b32_e32 v93, v92, v52, vcc_lo
	v_cmp_eq_u32_e32 vcc_lo, 10, v0
	s_delay_alu instid0(VALU_DEP_2) | instskip(SKIP_1) | instid1(VALU_DEP_1)
	v_dual_cndmask_b32 v92, v91, v55 :: v_dual_cndmask_b32 v91, v93, v54
	s_waitcnt lgkmcnt(0)
	v_mul_f64 v[88:89], v[91:92], v[88:89]
	s_cbranch_execz .LBB10_135
	s_branch .LBB10_136
.LBB10_134:
                                        ; implicit-def: $vgpr88_vgpr89
.LBB10_135:
	ds_load_b64 v[88:89], v90
.LBB10_136:
	s_and_saveexec_b32 s4, s0
	s_cbranch_execz .LBB10_146
; %bb.137:
	v_dual_mov_b32 v93, 1 :: v_dual_add_nc_u32 v92, -2, v0
	v_add_nc_u32_e32 v91, -1, v0
	s_mov_b32 s5, exec_lo
	s_delay_alu instid0(VALU_DEP_2)
	v_cmpx_lt_u32_e32 6, v92
	s_cbranch_execz .LBB10_141
; %bb.138:
	s_delay_alu instid0(VALU_DEP_2) | instskip(SKIP_3) | instid1(VALU_DEP_1)
	v_and_b32_e32 v92, -8, v91
	s_mov_b32 s6, 0
	s_mov_b64 s[0:1], 8
	s_movk_i32 s7, 0x68
	v_sub_nc_u32_e32 v92, 0, v92
.LBB10_139:                             ; =>This Inner Loop Header: Depth=1
	v_mov_b32_e32 v103, s7
	s_lshl_b32 s8, s0, 1
	s_delay_alu instid0(SALU_CYCLE_1)
	s_add_i32 m0, s8, -13
	v_movrels_b32_e32 v102, v34
	ds_load_2addr_b64 v[93:96], v103 offset1:1
	ds_load_2addr_b64 v[97:100], v103 offset0:2 offset1:3
	s_add_i32 m0, s8, -14
	v_movrels_b32_e32 v101, v34
	s_add_i32 m0, s8, -11
	s_waitcnt lgkmcnt(1)
	s_delay_alu instid0(VALU_DEP_1) | instskip(SKIP_4) | instid1(VALU_DEP_1)
	v_fma_f64 v[88:89], v[101:102], v[93:94], v[88:89]
	v_movrels_b32_e32 v94, v34
	s_add_i32 m0, s8, -12
	v_movrels_b32_e32 v93, v34
	s_add_i32 m0, s8, -9
	v_fma_f64 v[88:89], v[93:94], v[95:96], v[88:89]
	v_movrels_b32_e32 v94, v34
	s_add_i32 m0, s8, -10
	v_movrels_b32_e32 v93, v34
	s_add_i32 m0, s8, -7
	s_waitcnt lgkmcnt(0)
	s_delay_alu instid0(VALU_DEP_1)
	v_fma_f64 v[88:89], v[93:94], v[97:98], v[88:89]
	v_movrels_b32_e32 v94, v34
	s_add_i32 m0, s8, -8
	v_movrels_b32_e32 v93, v34
	s_add_i32 m0, s8, -5
	;; [unrolled: 2-line block ×4, first 2 shown]
	v_fma_f64 v[88:89], v[93:94], v[99:100], v[88:89]
	ds_load_2addr_b64 v[93:96], v103 offset0:4 offset1:5
	ds_load_2addr_b64 v[97:100], v103 offset0:6 offset1:7
	s_waitcnt lgkmcnt(1)
	v_fma_f64 v[88:89], v[101:102], v[93:94], v[88:89]
	v_movrels_b32_e32 v94, v34
	s_add_i32 m0, s8, -4
	v_movrels_b32_e32 v93, v34
	s_add_i32 m0, s8, -1
	s_delay_alu instid0(VALU_DEP_1)
	v_fma_f64 v[88:89], v[93:94], v[95:96], v[88:89]
	v_movrels_b32_e32 v94, v34
	s_add_i32 m0, s8, -2
	s_add_u32 s0, s0, 8
	v_movrels_b32_e32 v93, v34
	s_mov_b32 m0, s8
	s_addc_u32 s1, s1, 0
	s_add_i32 s8, s0, -7
	s_add_i32 s7, s7, 64
	s_waitcnt lgkmcnt(0)
	s_delay_alu instid0(VALU_DEP_3) | instskip(SKIP_2) | instid1(VALU_DEP_1)
	v_fma_f64 v[88:89], v[93:94], v[97:98], v[88:89]
	v_movrels_b32_e32 v94, v35
	v_movrels_b32_e32 v93, v34
	v_fma_f64 v[88:89], v[93:94], v[99:100], v[88:89]
	v_add_nc_u32_e32 v93, s0, v92
	s_delay_alu instid0(VALU_DEP_1) | instskip(SKIP_2) | instid1(SALU_CYCLE_1)
	v_cmp_eq_u32_e32 vcc_lo, 8, v93
	v_mov_b32_e32 v93, s8
	s_or_b32 s6, vcc_lo, s6
	s_and_not1_b32 exec_lo, exec_lo, s6
	s_cbranch_execnz .LBB10_139
; %bb.140:
	s_or_b32 exec_lo, exec_lo, s6
.LBB10_141:
	s_delay_alu instid0(SALU_CYCLE_1) | instskip(SKIP_3) | instid1(VALU_DEP_1)
	s_or_b32 exec_lo, exec_lo, s5
	v_and_b32_e32 v56, 7, v91
	s_mov_b32 s5, 0
	s_mov_b32 s1, exec_lo
	v_cmpx_ne_u32_e32 0, v56
	s_cbranch_execz .LBB10_145
; %bb.142:
	v_lshl_add_u32 v57, v93, 3, 0x60
	v_mov_b32_e32 v58, 0
.LBB10_143:                             ; =>This Inner Loop Header: Depth=1
	v_cmp_eq_u32_e32 vcc_lo, 1, v93
	v_cmp_eq_u32_e64 s0, 2, v93
	v_dual_cndmask_b32 v59, v35, v37 :: v_dual_add_nc_u32 v56, -1, v56
	v_cndmask_b32_e32 v60, v34, v36, vcc_lo
	v_cmp_eq_u32_e32 vcc_lo, 3, v93
	s_delay_alu instid0(VALU_DEP_3) | instskip(NEXT) | instid1(VALU_DEP_3)
	v_cndmask_b32_e64 v59, v59, v39, s0
	v_cndmask_b32_e64 v60, v60, v38, s0
	v_cmp_eq_u32_e64 s0, 4, v93
	s_delay_alu instid0(VALU_DEP_2) | instskip(SKIP_1) | instid1(VALU_DEP_2)
	v_dual_cndmask_b32 v59, v59, v41 :: v_dual_cndmask_b32 v60, v60, v40
	v_cmp_eq_u32_e32 vcc_lo, 5, v93
	v_cndmask_b32_e64 v59, v59, v43, s0
	s_delay_alu instid0(VALU_DEP_3) | instskip(SKIP_1) | instid1(VALU_DEP_2)
	v_cndmask_b32_e64 v60, v60, v42, s0
	v_cmp_eq_u32_e64 s0, 6, v93
	v_dual_cndmask_b32 v59, v59, v45 :: v_dual_cndmask_b32 v60, v60, v44
	v_cmp_eq_u32_e32 vcc_lo, 7, v93
	s_delay_alu instid0(VALU_DEP_2) | instskip(NEXT) | instid1(VALU_DEP_3)
	v_cndmask_b32_e64 v61, v59, v47, s0
	v_cndmask_b32_e64 v62, v60, v46, s0
	ds_load_b64 v[59:60], v57
	v_cmp_eq_u32_e64 s0, 8, v93
	v_add_nc_u32_e32 v57, 8, v57
	v_dual_cndmask_b32 v61, v61, v49 :: v_dual_cndmask_b32 v62, v62, v48
	v_cmp_eq_u32_e32 vcc_lo, 9, v93
	s_delay_alu instid0(VALU_DEP_2) | instskip(NEXT) | instid1(VALU_DEP_3)
	v_cndmask_b32_e64 v61, v61, v51, s0
	v_cndmask_b32_e64 v62, v62, v50, s0
	v_cmp_eq_u32_e64 s0, 10, v93
	s_delay_alu instid0(VALU_DEP_3) | instskip(NEXT) | instid1(VALU_DEP_3)
	v_cndmask_b32_e32 v61, v61, v53, vcc_lo
	v_cndmask_b32_e32 v63, v62, v52, vcc_lo
	v_cmp_eq_u32_e32 vcc_lo, 0, v56
	s_delay_alu instid0(VALU_DEP_3) | instskip(NEXT) | instid1(VALU_DEP_3)
	v_cndmask_b32_e64 v62, v61, v55, s0
	v_cndmask_b32_e64 v61, v63, v54, s0
	v_add_co_u32 v93, s0, v93, 1
	s_delay_alu instid0(VALU_DEP_1) | instskip(SKIP_1) | instid1(VALU_DEP_3)
	v_add_co_ci_u32_e64 v58, s0, 0, v58, s0
	s_waitcnt lgkmcnt(0)
	v_fma_f64 v[88:89], v[61:62], v[59:60], v[88:89]
	s_or_b32 s5, vcc_lo, s5
	s_delay_alu instid0(SALU_CYCLE_1)
	s_and_not1_b32 exec_lo, exec_lo, s5
	s_cbranch_execnz .LBB10_143
; %bb.144:
	s_or_b32 exec_lo, exec_lo, s5
.LBB10_145:
	s_delay_alu instid0(SALU_CYCLE_1)
	s_or_b32 exec_lo, exec_lo, s1
.LBB10_146:
	s_delay_alu instid0(SALU_CYCLE_1)
	s_or_b32 exec_lo, exec_lo, s4
	v_mov_b32_e32 v34, 0
	ds_load_b64 v[34:35], v34
	s_waitcnt lgkmcnt(0)
	v_mul_f64 v[34:35], v[88:89], v[34:35]
.LBB10_147:
	s_or_b32 exec_lo, exec_lo, s3
	s_delay_alu instid0(SALU_CYCLE_1)
	s_and_b32 vcc_lo, exec_lo, s2
	s_cbranch_vccz .LBB10_255
.LBB10_148:
	v_cmp_eq_u32_e64 s0, 0, v0
	s_waitcnt vmcnt(10)
	ds_store_b64 v90, v[4:5]
	s_waitcnt vmcnt(0) lgkmcnt(0)
	s_barrier
	buffer_gl0_inv
	s_and_saveexec_b32 s1, s0
	s_cbranch_execz .LBB10_154
; %bb.149:
	s_and_b32 vcc_lo, exec_lo, s11
	s_cbranch_vccz .LBB10_151
; %bb.150:
	v_cmp_eq_u32_e32 vcc_lo, 1, v0
	v_dual_cndmask_b32 v5, v3, v5 :: v_dual_cndmask_b32 v4, v2, v4
	v_cmp_eq_u32_e32 vcc_lo, 2, v0
	s_delay_alu instid0(VALU_DEP_2) | instskip(SKIP_1) | instid1(VALU_DEP_2)
	v_dual_cndmask_b32 v5, v5, v7 :: v_dual_cndmask_b32 v4, v4, v6
	v_cmp_eq_u32_e32 vcc_lo, 3, v0
	v_dual_cndmask_b32 v5, v5, v9 :: v_dual_cndmask_b32 v4, v4, v8
	v_cmp_eq_u32_e32 vcc_lo, 4, v0
	s_delay_alu instid0(VALU_DEP_2) | instskip(SKIP_1) | instid1(VALU_DEP_2)
	v_dual_cndmask_b32 v5, v5, v11 :: v_dual_cndmask_b32 v4, v4, v10
	;; [unrolled: 5-line block ×3, first 2 shown]
	v_cmp_eq_u32_e32 vcc_lo, 7, v0
	v_dual_cndmask_b32 v24, v5, v17 :: v_dual_cndmask_b32 v25, v4, v16
	v_cmp_eq_u32_e32 vcc_lo, 8, v0
	ds_load_b64 v[4:5], v90
	v_dual_cndmask_b32 v24, v24, v19 :: v_dual_cndmask_b32 v25, v25, v18
	v_cmp_eq_u32_e32 vcc_lo, 9, v0
	s_delay_alu instid0(VALU_DEP_2) | instskip(NEXT) | instid1(VALU_DEP_3)
	v_cndmask_b32_e32 v24, v24, v21, vcc_lo
	v_cndmask_b32_e32 v26, v25, v20, vcc_lo
	v_cmp_eq_u32_e32 vcc_lo, 10, v0
	s_delay_alu instid0(VALU_DEP_2) | instskip(SKIP_1) | instid1(VALU_DEP_1)
	v_dual_cndmask_b32 v25, v24, v23 :: v_dual_cndmask_b32 v24, v26, v22
	s_waitcnt lgkmcnt(0)
	v_mul_f64 v[4:5], v[24:25], v[4:5]
	s_cbranch_execz .LBB10_152
	s_branch .LBB10_153
.LBB10_151:
                                        ; implicit-def: $vgpr4_vgpr5
.LBB10_152:
	ds_load_b64 v[4:5], v90
.LBB10_153:
	v_mov_b32_e32 v24, 0
	ds_load_b64 v[24:25], v24 offset:8
	s_waitcnt lgkmcnt(0)
	v_mul_f64 v[4:5], v[4:5], v[24:25]
.LBB10_154:
	s_or_b32 exec_lo, exec_lo, s1
	v_add_nc_u32_e32 v35, 1, v0
	v_cndmask_b32_e64 v34, 0, 1, s11
	s_mov_b32 s1, exec_lo
	ds_store_b64 v90, v[6:7]
	s_waitcnt lgkmcnt(0)
	s_barrier
	buffer_gl0_inv
	v_cmpx_gt_u32_e32 2, v0
	s_cbranch_execz .LBB10_162
; %bb.155:
	s_and_not1_b32 vcc_lo, exec_lo, s11
	s_cbranch_vccnz .LBB10_157
; %bb.156:
	v_cmp_eq_u32_e32 vcc_lo, 1, v0
	v_dual_cndmask_b32 v24, v3, v5 :: v_dual_cndmask_b32 v25, v2, v4
	v_cmp_eq_u32_e32 vcc_lo, 2, v0
	s_delay_alu instid0(VALU_DEP_2) | instskip(SKIP_1) | instid1(VALU_DEP_2)
	v_dual_cndmask_b32 v24, v24, v7 :: v_dual_cndmask_b32 v25, v25, v6
	v_cmp_eq_u32_e32 vcc_lo, 3, v0
	v_dual_cndmask_b32 v24, v24, v9 :: v_dual_cndmask_b32 v25, v25, v8
	v_cmp_eq_u32_e32 vcc_lo, 4, v0
	s_delay_alu instid0(VALU_DEP_2) | instskip(SKIP_1) | instid1(VALU_DEP_2)
	v_dual_cndmask_b32 v24, v24, v11 :: v_dual_cndmask_b32 v25, v25, v10
	;; [unrolled: 5-line block ×3, first 2 shown]
	v_cmp_eq_u32_e32 vcc_lo, 7, v0
	v_dual_cndmask_b32 v26, v24, v17 :: v_dual_cndmask_b32 v27, v25, v16
	v_cmp_eq_u32_e32 vcc_lo, 8, v0
	ds_load_b64 v[24:25], v90
	v_dual_cndmask_b32 v26, v26, v19 :: v_dual_cndmask_b32 v27, v27, v18
	v_cmp_eq_u32_e32 vcc_lo, 9, v0
	s_delay_alu instid0(VALU_DEP_2) | instskip(NEXT) | instid1(VALU_DEP_3)
	v_cndmask_b32_e32 v26, v26, v21, vcc_lo
	v_cndmask_b32_e32 v28, v27, v20, vcc_lo
	v_cmp_eq_u32_e32 vcc_lo, 10, v0
	s_delay_alu instid0(VALU_DEP_2) | instskip(SKIP_1) | instid1(VALU_DEP_1)
	v_dual_cndmask_b32 v27, v26, v23 :: v_dual_cndmask_b32 v26, v28, v22
	s_waitcnt lgkmcnt(0)
	v_mul_f64 v[24:25], v[26:27], v[24:25]
	s_cbranch_execz .LBB10_158
	s_branch .LBB10_159
.LBB10_157:
                                        ; implicit-def: $vgpr24_vgpr25
.LBB10_158:
	ds_load_b64 v[24:25], v90
.LBB10_159:
	s_and_saveexec_b32 s2, s0
	s_cbranch_execz .LBB10_161
; %bb.160:
	v_cmp_eq_u32_e32 vcc_lo, 1, v35
	v_dual_cndmask_b32 v26, v3, v5 :: v_dual_cndmask_b32 v27, v2, v4
	v_cmp_eq_u32_e32 vcc_lo, 2, v35
	s_delay_alu instid0(VALU_DEP_2) | instskip(SKIP_1) | instid1(VALU_DEP_2)
	v_dual_cndmask_b32 v7, v26, v7 :: v_dual_cndmask_b32 v6, v27, v6
	v_cmp_eq_u32_e32 vcc_lo, 3, v35
	v_dual_cndmask_b32 v7, v7, v9 :: v_dual_cndmask_b32 v6, v6, v8
	v_cmp_eq_u32_e32 vcc_lo, 4, v35
	s_delay_alu instid0(VALU_DEP_2) | instskip(SKIP_1) | instid1(VALU_DEP_2)
	v_dual_cndmask_b32 v7, v7, v11 :: v_dual_cndmask_b32 v6, v6, v10
	;; [unrolled: 5-line block ×3, first 2 shown]
	v_cmp_eq_u32_e32 vcc_lo, 7, v35
	v_dual_cndmask_b32 v26, v7, v17 :: v_dual_cndmask_b32 v27, v6, v16
	v_cmp_eq_u32_e32 vcc_lo, 8, v35
	ds_load_b64 v[6:7], v90 offset:8
	v_dual_cndmask_b32 v26, v26, v19 :: v_dual_cndmask_b32 v27, v27, v18
	v_cmp_eq_u32_e32 vcc_lo, 9, v35
	s_delay_alu instid0(VALU_DEP_2) | instskip(NEXT) | instid1(VALU_DEP_3)
	v_cndmask_b32_e32 v26, v26, v21, vcc_lo
	v_cndmask_b32_e32 v28, v27, v20, vcc_lo
	v_cmp_eq_u32_e32 vcc_lo, 10, v35
	s_delay_alu instid0(VALU_DEP_2) | instskip(SKIP_1) | instid1(VALU_DEP_1)
	v_dual_cndmask_b32 v27, v26, v23 :: v_dual_cndmask_b32 v26, v28, v22
	s_waitcnt lgkmcnt(0)
	v_fma_f64 v[24:25], v[26:27], v[6:7], v[24:25]
.LBB10_161:
	s_or_b32 exec_lo, exec_lo, s2
	v_mov_b32_e32 v6, 0
	ds_load_b64 v[6:7], v6 offset:16
	s_waitcnt lgkmcnt(0)
	v_mul_f64 v[6:7], v[24:25], v[6:7]
.LBB10_162:
	s_or_b32 exec_lo, exec_lo, s1
	v_cmp_gt_u32_e64 s1, 3, v0
	ds_store_b64 v90, v[8:9]
	s_waitcnt lgkmcnt(0)
	s_barrier
	buffer_gl0_inv
	s_and_saveexec_b32 s2, s1
	s_cbranch_execz .LBB10_172
; %bb.163:
	v_cmp_ne_u32_e32 vcc_lo, 1, v34
	s_cbranch_vccnz .LBB10_165
; %bb.164:
	v_cmp_eq_u32_e32 vcc_lo, 1, v0
	v_dual_cndmask_b32 v24, v3, v5 :: v_dual_cndmask_b32 v25, v2, v4
	v_cmp_eq_u32_e32 vcc_lo, 2, v0
	s_delay_alu instid0(VALU_DEP_2) | instskip(SKIP_1) | instid1(VALU_DEP_2)
	v_dual_cndmask_b32 v24, v24, v7 :: v_dual_cndmask_b32 v25, v25, v6
	v_cmp_eq_u32_e32 vcc_lo, 3, v0
	v_dual_cndmask_b32 v24, v24, v9 :: v_dual_cndmask_b32 v25, v25, v8
	v_cmp_eq_u32_e32 vcc_lo, 4, v0
	s_delay_alu instid0(VALU_DEP_2) | instskip(SKIP_1) | instid1(VALU_DEP_2)
	v_dual_cndmask_b32 v24, v24, v11 :: v_dual_cndmask_b32 v25, v25, v10
	;; [unrolled: 5-line block ×3, first 2 shown]
	v_cmp_eq_u32_e32 vcc_lo, 7, v0
	v_dual_cndmask_b32 v26, v24, v17 :: v_dual_cndmask_b32 v27, v25, v16
	v_cmp_eq_u32_e32 vcc_lo, 8, v0
	ds_load_b64 v[24:25], v90
	v_dual_cndmask_b32 v26, v26, v19 :: v_dual_cndmask_b32 v27, v27, v18
	v_cmp_eq_u32_e32 vcc_lo, 9, v0
	s_delay_alu instid0(VALU_DEP_2) | instskip(NEXT) | instid1(VALU_DEP_3)
	v_cndmask_b32_e32 v26, v26, v21, vcc_lo
	v_cndmask_b32_e32 v28, v27, v20, vcc_lo
	v_cmp_eq_u32_e32 vcc_lo, 10, v0
	s_delay_alu instid0(VALU_DEP_2) | instskip(SKIP_1) | instid1(VALU_DEP_1)
	v_dual_cndmask_b32 v27, v26, v23 :: v_dual_cndmask_b32 v26, v28, v22
	s_waitcnt lgkmcnt(0)
	v_mul_f64 v[24:25], v[26:27], v[24:25]
	s_cbranch_execz .LBB10_166
	s_branch .LBB10_167
.LBB10_165:
                                        ; implicit-def: $vgpr24_vgpr25
.LBB10_166:
	ds_load_b64 v[24:25], v90
.LBB10_167:
	s_mov_b32 s3, exec_lo
	v_cmpx_ne_u32_e32 2, v0
	s_cbranch_execz .LBB10_171
; %bb.168:
	v_cmp_eq_u32_e32 vcc_lo, 1, v35
	v_dual_cndmask_b32 v26, v3, v5 :: v_dual_cndmask_b32 v27, v2, v4
	v_cmp_eq_u32_e32 vcc_lo, 2, v35
	s_delay_alu instid0(VALU_DEP_2) | instskip(SKIP_1) | instid1(VALU_DEP_2)
	v_dual_cndmask_b32 v26, v26, v7 :: v_dual_cndmask_b32 v27, v27, v6
	v_cmp_eq_u32_e32 vcc_lo, 3, v35
	v_dual_cndmask_b32 v9, v26, v9 :: v_dual_cndmask_b32 v8, v27, v8
	v_cmp_eq_u32_e32 vcc_lo, 4, v35
	s_delay_alu instid0(VALU_DEP_2) | instskip(SKIP_1) | instid1(VALU_DEP_2)
	v_dual_cndmask_b32 v9, v9, v11 :: v_dual_cndmask_b32 v8, v8, v10
	;; [unrolled: 5-line block ×3, first 2 shown]
	v_cmp_eq_u32_e32 vcc_lo, 7, v35
	v_dual_cndmask_b32 v26, v9, v17 :: v_dual_cndmask_b32 v27, v8, v16
	v_cmp_eq_u32_e32 vcc_lo, 8, v35
	ds_load_b64 v[8:9], v90 offset:8
	v_dual_cndmask_b32 v26, v26, v19 :: v_dual_cndmask_b32 v27, v27, v18
	v_cmp_eq_u32_e32 vcc_lo, 9, v35
	s_delay_alu instid0(VALU_DEP_2) | instskip(NEXT) | instid1(VALU_DEP_3)
	v_cndmask_b32_e32 v26, v26, v21, vcc_lo
	v_cndmask_b32_e32 v28, v27, v20, vcc_lo
	v_cmp_eq_u32_e32 vcc_lo, 10, v35
	s_delay_alu instid0(VALU_DEP_2) | instskip(SKIP_1) | instid1(VALU_DEP_1)
	v_dual_cndmask_b32 v27, v26, v23 :: v_dual_cndmask_b32 v26, v28, v22
	s_waitcnt lgkmcnt(0)
	v_fma_f64 v[24:25], v[26:27], v[8:9], v[24:25]
	s_and_saveexec_b32 s4, s0
	s_cbranch_execz .LBB10_170
; %bb.169:
	v_mov_b32_e32 v8, 0
	ds_load_b64 v[8:9], v8 offset:112
	s_waitcnt lgkmcnt(0)
	v_fma_f64 v[24:25], v[6:7], v[8:9], v[24:25]
.LBB10_170:
	s_or_b32 exec_lo, exec_lo, s4
.LBB10_171:
	s_delay_alu instid0(SALU_CYCLE_1)
	s_or_b32 exec_lo, exec_lo, s3
	v_mov_b32_e32 v8, 0
	ds_load_b64 v[8:9], v8 offset:24
	s_waitcnt lgkmcnt(0)
	v_mul_f64 v[8:9], v[24:25], v[8:9]
.LBB10_172:
	s_or_b32 exec_lo, exec_lo, s2
	s_delay_alu instid0(SALU_CYCLE_1)
	s_mov_b32 s3, exec_lo
	ds_store_b64 v90, v[10:11]
	s_waitcnt lgkmcnt(0)
	s_barrier
	buffer_gl0_inv
	v_cmpx_gt_u32_e32 4, v0
	s_cbranch_execz .LBB10_182
; %bb.173:
	v_cmp_ne_u32_e32 vcc_lo, 1, v34
	s_cbranch_vccnz .LBB10_175
; %bb.174:
	v_cmp_eq_u32_e32 vcc_lo, 1, v0
	v_dual_cndmask_b32 v24, v3, v5 :: v_dual_cndmask_b32 v25, v2, v4
	v_cmp_eq_u32_e32 vcc_lo, 2, v0
	s_delay_alu instid0(VALU_DEP_2) | instskip(SKIP_1) | instid1(VALU_DEP_2)
	v_dual_cndmask_b32 v24, v24, v7 :: v_dual_cndmask_b32 v25, v25, v6
	v_cmp_eq_u32_e32 vcc_lo, 3, v0
	v_dual_cndmask_b32 v24, v24, v9 :: v_dual_cndmask_b32 v25, v25, v8
	v_cmp_eq_u32_e32 vcc_lo, 4, v0
	s_delay_alu instid0(VALU_DEP_2) | instskip(SKIP_1) | instid1(VALU_DEP_2)
	v_dual_cndmask_b32 v24, v24, v11 :: v_dual_cndmask_b32 v25, v25, v10
	v_cmp_eq_u32_e32 vcc_lo, 5, v0
	v_dual_cndmask_b32 v24, v24, v13 :: v_dual_cndmask_b32 v25, v25, v12
	v_cmp_eq_u32_e32 vcc_lo, 6, v0
	s_delay_alu instid0(VALU_DEP_2) | instskip(SKIP_1) | instid1(VALU_DEP_2)
	v_dual_cndmask_b32 v24, v24, v15 :: v_dual_cndmask_b32 v25, v25, v14
	v_cmp_eq_u32_e32 vcc_lo, 7, v0
	v_dual_cndmask_b32 v26, v24, v17 :: v_dual_cndmask_b32 v27, v25, v16
	v_cmp_eq_u32_e32 vcc_lo, 8, v0
	ds_load_b64 v[24:25], v90
	v_dual_cndmask_b32 v26, v26, v19 :: v_dual_cndmask_b32 v27, v27, v18
	v_cmp_eq_u32_e32 vcc_lo, 9, v0
	s_delay_alu instid0(VALU_DEP_2) | instskip(NEXT) | instid1(VALU_DEP_3)
	v_cndmask_b32_e32 v26, v26, v21, vcc_lo
	v_cndmask_b32_e32 v28, v27, v20, vcc_lo
	v_cmp_eq_u32_e32 vcc_lo, 10, v0
	s_delay_alu instid0(VALU_DEP_2) | instskip(SKIP_1) | instid1(VALU_DEP_1)
	v_dual_cndmask_b32 v27, v26, v23 :: v_dual_cndmask_b32 v26, v28, v22
	s_waitcnt lgkmcnt(0)
	v_mul_f64 v[24:25], v[26:27], v[24:25]
	s_cbranch_execz .LBB10_176
	s_branch .LBB10_177
.LBB10_175:
                                        ; implicit-def: $vgpr24_vgpr25
.LBB10_176:
	ds_load_b64 v[24:25], v90
.LBB10_177:
	s_mov_b32 s4, exec_lo
	v_cmpx_ne_u32_e32 3, v0
	s_cbranch_execz .LBB10_181
; %bb.178:
	v_lshl_add_u32 v28, v0, 3, 0x68
	v_dual_mov_b32 v27, v1 :: v_dual_mov_b32 v26, v0
	s_mov_b32 s5, 0
.LBB10_179:                             ; =>This Inner Loop Header: Depth=1
	s_delay_alu instid0(VALU_DEP_1) | instskip(NEXT) | instid1(VALU_DEP_2)
	v_add_co_u32 v26, vcc_lo, v26, 1
	v_add_co_ci_u32_e32 v27, vcc_lo, 0, v27, vcc_lo
	s_delay_alu instid0(VALU_DEP_2) | instskip(SKIP_3) | instid1(VALU_DEP_2)
	v_cmp_eq_u32_e32 vcc_lo, 1, v26
	v_cmp_eq_u32_e64 s2, 2, v26
	v_dual_cndmask_b32 v29, v3, v5 :: v_dual_cndmask_b32 v30, v2, v4
	v_cmp_eq_u32_e32 vcc_lo, 3, v26
	v_cndmask_b32_e64 v29, v29, v7, s2
	s_delay_alu instid0(VALU_DEP_3) | instskip(SKIP_1) | instid1(VALU_DEP_2)
	v_cndmask_b32_e64 v30, v30, v6, s2
	v_cmp_eq_u32_e64 s2, 4, v26
	v_dual_cndmask_b32 v29, v29, v9 :: v_dual_cndmask_b32 v30, v30, v8
	v_cmp_eq_u32_e32 vcc_lo, 5, v26
	s_delay_alu instid0(VALU_DEP_2) | instskip(NEXT) | instid1(VALU_DEP_3)
	v_cndmask_b32_e64 v29, v29, v11, s2
	v_cndmask_b32_e64 v30, v30, v10, s2
	v_cmp_eq_u32_e64 s2, 6, v26
	s_delay_alu instid0(VALU_DEP_2) | instskip(SKIP_1) | instid1(VALU_DEP_2)
	v_dual_cndmask_b32 v29, v29, v13 :: v_dual_cndmask_b32 v30, v30, v12
	v_cmp_eq_u32_e32 vcc_lo, 7, v26
	v_cndmask_b32_e64 v31, v29, v15, s2
	s_delay_alu instid0(VALU_DEP_3)
	v_cndmask_b32_e64 v32, v30, v14, s2
	ds_load_b64 v[29:30], v28
	v_cmp_eq_u32_e64 s2, 8, v26
	v_dual_cndmask_b32 v31, v31, v17 :: v_dual_add_nc_u32 v28, 8, v28
	v_cndmask_b32_e32 v32, v32, v16, vcc_lo
	v_cmp_eq_u32_e32 vcc_lo, 9, v26
	s_delay_alu instid0(VALU_DEP_3) | instskip(NEXT) | instid1(VALU_DEP_3)
	v_cndmask_b32_e64 v31, v31, v19, s2
	v_cndmask_b32_e64 v32, v32, v18, s2
	v_cmp_eq_u32_e64 s2, 10, v26
	s_delay_alu instid0(VALU_DEP_3) | instskip(NEXT) | instid1(VALU_DEP_3)
	v_cndmask_b32_e32 v31, v31, v21, vcc_lo
	v_cndmask_b32_e32 v33, v32, v20, vcc_lo
	v_cmp_lt_u32_e32 vcc_lo, 2, v26
	s_delay_alu instid0(VALU_DEP_3) | instskip(NEXT) | instid1(VALU_DEP_3)
	v_cndmask_b32_e64 v32, v31, v23, s2
	v_cndmask_b32_e64 v31, v33, v22, s2
	s_or_b32 s5, vcc_lo, s5
	s_waitcnt lgkmcnt(0)
	s_delay_alu instid0(VALU_DEP_1)
	v_fma_f64 v[24:25], v[31:32], v[29:30], v[24:25]
	s_and_not1_b32 exec_lo, exec_lo, s5
	s_cbranch_execnz .LBB10_179
; %bb.180:
	s_or_b32 exec_lo, exec_lo, s5
.LBB10_181:
	s_delay_alu instid0(SALU_CYCLE_1)
	s_or_b32 exec_lo, exec_lo, s4
	v_mov_b32_e32 v10, 0
	ds_load_b64 v[10:11], v10 offset:32
	s_waitcnt lgkmcnt(0)
	v_mul_f64 v[10:11], v[24:25], v[10:11]
.LBB10_182:
	s_or_b32 exec_lo, exec_lo, s3
	v_cmp_gt_u32_e64 s2, 5, v0
	ds_store_b64 v90, v[12:13]
	s_waitcnt lgkmcnt(0)
	s_barrier
	buffer_gl0_inv
	s_and_saveexec_b32 s4, s2
	s_cbranch_execz .LBB10_192
; %bb.183:
	v_cmp_ne_u32_e32 vcc_lo, 1, v34
	s_cbranch_vccnz .LBB10_185
; %bb.184:
	v_cmp_eq_u32_e32 vcc_lo, 1, v0
	v_dual_cndmask_b32 v24, v3, v5 :: v_dual_cndmask_b32 v25, v2, v4
	v_cmp_eq_u32_e32 vcc_lo, 2, v0
	s_delay_alu instid0(VALU_DEP_2) | instskip(SKIP_1) | instid1(VALU_DEP_2)
	v_dual_cndmask_b32 v24, v24, v7 :: v_dual_cndmask_b32 v25, v25, v6
	v_cmp_eq_u32_e32 vcc_lo, 3, v0
	v_dual_cndmask_b32 v24, v24, v9 :: v_dual_cndmask_b32 v25, v25, v8
	v_cmp_eq_u32_e32 vcc_lo, 4, v0
	s_delay_alu instid0(VALU_DEP_2) | instskip(SKIP_1) | instid1(VALU_DEP_2)
	v_dual_cndmask_b32 v24, v24, v11 :: v_dual_cndmask_b32 v25, v25, v10
	v_cmp_eq_u32_e32 vcc_lo, 5, v0
	v_dual_cndmask_b32 v24, v24, v13 :: v_dual_cndmask_b32 v25, v25, v12
	v_cmp_eq_u32_e32 vcc_lo, 6, v0
	s_delay_alu instid0(VALU_DEP_2) | instskip(SKIP_1) | instid1(VALU_DEP_2)
	v_dual_cndmask_b32 v24, v24, v15 :: v_dual_cndmask_b32 v25, v25, v14
	v_cmp_eq_u32_e32 vcc_lo, 7, v0
	v_dual_cndmask_b32 v26, v24, v17 :: v_dual_cndmask_b32 v27, v25, v16
	v_cmp_eq_u32_e32 vcc_lo, 8, v0
	ds_load_b64 v[24:25], v90
	v_dual_cndmask_b32 v26, v26, v19 :: v_dual_cndmask_b32 v27, v27, v18
	v_cmp_eq_u32_e32 vcc_lo, 9, v0
	s_delay_alu instid0(VALU_DEP_2) | instskip(NEXT) | instid1(VALU_DEP_3)
	v_cndmask_b32_e32 v26, v26, v21, vcc_lo
	v_cndmask_b32_e32 v28, v27, v20, vcc_lo
	v_cmp_eq_u32_e32 vcc_lo, 10, v0
	s_delay_alu instid0(VALU_DEP_2) | instskip(SKIP_1) | instid1(VALU_DEP_1)
	v_dual_cndmask_b32 v27, v26, v23 :: v_dual_cndmask_b32 v26, v28, v22
	s_waitcnt lgkmcnt(0)
	v_mul_f64 v[24:25], v[26:27], v[24:25]
	s_cbranch_execz .LBB10_186
	s_branch .LBB10_187
.LBB10_185:
                                        ; implicit-def: $vgpr24_vgpr25
.LBB10_186:
	ds_load_b64 v[24:25], v90
.LBB10_187:
	s_mov_b32 s5, exec_lo
	v_cmpx_ne_u32_e32 4, v0
	s_cbranch_execz .LBB10_191
; %bb.188:
	v_lshl_add_u32 v28, v0, 3, 0x68
	v_dual_mov_b32 v27, v1 :: v_dual_mov_b32 v26, v0
	s_mov_b32 s6, 0
.LBB10_189:                             ; =>This Inner Loop Header: Depth=1
	s_delay_alu instid0(VALU_DEP_1) | instskip(NEXT) | instid1(VALU_DEP_2)
	v_add_co_u32 v26, vcc_lo, v26, 1
	v_add_co_ci_u32_e32 v27, vcc_lo, 0, v27, vcc_lo
	s_delay_alu instid0(VALU_DEP_2) | instskip(SKIP_3) | instid1(VALU_DEP_2)
	v_cmp_eq_u32_e32 vcc_lo, 1, v26
	v_cmp_eq_u32_e64 s3, 2, v26
	v_dual_cndmask_b32 v29, v3, v5 :: v_dual_cndmask_b32 v30, v2, v4
	v_cmp_eq_u32_e32 vcc_lo, 3, v26
	v_cndmask_b32_e64 v29, v29, v7, s3
	s_delay_alu instid0(VALU_DEP_3) | instskip(SKIP_1) | instid1(VALU_DEP_2)
	v_cndmask_b32_e64 v30, v30, v6, s3
	v_cmp_eq_u32_e64 s3, 4, v26
	v_dual_cndmask_b32 v29, v29, v9 :: v_dual_cndmask_b32 v30, v30, v8
	v_cmp_eq_u32_e32 vcc_lo, 5, v26
	s_delay_alu instid0(VALU_DEP_2) | instskip(NEXT) | instid1(VALU_DEP_3)
	v_cndmask_b32_e64 v29, v29, v11, s3
	v_cndmask_b32_e64 v30, v30, v10, s3
	v_cmp_eq_u32_e64 s3, 6, v26
	s_delay_alu instid0(VALU_DEP_2) | instskip(SKIP_1) | instid1(VALU_DEP_2)
	v_dual_cndmask_b32 v29, v29, v13 :: v_dual_cndmask_b32 v30, v30, v12
	v_cmp_eq_u32_e32 vcc_lo, 7, v26
	v_cndmask_b32_e64 v31, v29, v15, s3
	s_delay_alu instid0(VALU_DEP_3)
	v_cndmask_b32_e64 v32, v30, v14, s3
	ds_load_b64 v[29:30], v28
	v_cmp_eq_u32_e64 s3, 8, v26
	v_dual_cndmask_b32 v31, v31, v17 :: v_dual_add_nc_u32 v28, 8, v28
	v_cndmask_b32_e32 v32, v32, v16, vcc_lo
	v_cmp_eq_u32_e32 vcc_lo, 9, v26
	s_delay_alu instid0(VALU_DEP_3) | instskip(NEXT) | instid1(VALU_DEP_3)
	v_cndmask_b32_e64 v31, v31, v19, s3
	v_cndmask_b32_e64 v32, v32, v18, s3
	v_cmp_eq_u32_e64 s3, 10, v26
	s_delay_alu instid0(VALU_DEP_3) | instskip(NEXT) | instid1(VALU_DEP_3)
	v_cndmask_b32_e32 v31, v31, v21, vcc_lo
	v_cndmask_b32_e32 v33, v32, v20, vcc_lo
	v_cmp_lt_u32_e32 vcc_lo, 3, v26
	s_delay_alu instid0(VALU_DEP_3) | instskip(NEXT) | instid1(VALU_DEP_3)
	v_cndmask_b32_e64 v32, v31, v23, s3
	v_cndmask_b32_e64 v31, v33, v22, s3
	s_or_b32 s6, vcc_lo, s6
	s_waitcnt lgkmcnt(0)
	s_delay_alu instid0(VALU_DEP_1)
	v_fma_f64 v[24:25], v[31:32], v[29:30], v[24:25]
	s_and_not1_b32 exec_lo, exec_lo, s6
	s_cbranch_execnz .LBB10_189
; %bb.190:
	s_or_b32 exec_lo, exec_lo, s6
.LBB10_191:
	s_delay_alu instid0(SALU_CYCLE_1)
	s_or_b32 exec_lo, exec_lo, s5
	v_mov_b32_e32 v12, 0
	ds_load_b64 v[12:13], v12 offset:40
	s_waitcnt lgkmcnt(0)
	v_mul_f64 v[12:13], v[24:25], v[12:13]
.LBB10_192:
	s_or_b32 exec_lo, exec_lo, s4
	s_delay_alu instid0(SALU_CYCLE_1)
	s_mov_b32 s4, exec_lo
	ds_store_b64 v90, v[14:15]
	s_waitcnt lgkmcnt(0)
	s_barrier
	buffer_gl0_inv
	v_cmpx_gt_u32_e32 6, v0
	s_cbranch_execz .LBB10_202
; %bb.193:
	v_cmp_ne_u32_e32 vcc_lo, 1, v34
	s_cbranch_vccnz .LBB10_195
; %bb.194:
	v_cmp_eq_u32_e32 vcc_lo, 1, v0
	v_dual_cndmask_b32 v24, v3, v5 :: v_dual_cndmask_b32 v25, v2, v4
	v_cmp_eq_u32_e32 vcc_lo, 2, v0
	s_delay_alu instid0(VALU_DEP_2) | instskip(SKIP_1) | instid1(VALU_DEP_2)
	v_dual_cndmask_b32 v24, v24, v7 :: v_dual_cndmask_b32 v25, v25, v6
	v_cmp_eq_u32_e32 vcc_lo, 3, v0
	v_dual_cndmask_b32 v24, v24, v9 :: v_dual_cndmask_b32 v25, v25, v8
	v_cmp_eq_u32_e32 vcc_lo, 4, v0
	s_delay_alu instid0(VALU_DEP_2) | instskip(SKIP_1) | instid1(VALU_DEP_2)
	v_dual_cndmask_b32 v24, v24, v11 :: v_dual_cndmask_b32 v25, v25, v10
	v_cmp_eq_u32_e32 vcc_lo, 5, v0
	v_dual_cndmask_b32 v24, v24, v13 :: v_dual_cndmask_b32 v25, v25, v12
	v_cmp_eq_u32_e32 vcc_lo, 6, v0
	s_delay_alu instid0(VALU_DEP_2) | instskip(SKIP_1) | instid1(VALU_DEP_2)
	v_dual_cndmask_b32 v24, v24, v15 :: v_dual_cndmask_b32 v25, v25, v14
	v_cmp_eq_u32_e32 vcc_lo, 7, v0
	v_dual_cndmask_b32 v26, v24, v17 :: v_dual_cndmask_b32 v27, v25, v16
	v_cmp_eq_u32_e32 vcc_lo, 8, v0
	ds_load_b64 v[24:25], v90
	v_dual_cndmask_b32 v26, v26, v19 :: v_dual_cndmask_b32 v27, v27, v18
	v_cmp_eq_u32_e32 vcc_lo, 9, v0
	s_delay_alu instid0(VALU_DEP_2) | instskip(NEXT) | instid1(VALU_DEP_3)
	v_cndmask_b32_e32 v26, v26, v21, vcc_lo
	v_cndmask_b32_e32 v28, v27, v20, vcc_lo
	v_cmp_eq_u32_e32 vcc_lo, 10, v0
	s_delay_alu instid0(VALU_DEP_2) | instskip(SKIP_1) | instid1(VALU_DEP_1)
	v_dual_cndmask_b32 v27, v26, v23 :: v_dual_cndmask_b32 v26, v28, v22
	s_waitcnt lgkmcnt(0)
	v_mul_f64 v[24:25], v[26:27], v[24:25]
	s_cbranch_execz .LBB10_196
	s_branch .LBB10_197
.LBB10_195:
                                        ; implicit-def: $vgpr24_vgpr25
.LBB10_196:
	ds_load_b64 v[24:25], v90
.LBB10_197:
	s_mov_b32 s5, exec_lo
	v_cmpx_ne_u32_e32 5, v0
	s_cbranch_execz .LBB10_201
; %bb.198:
	v_lshl_add_u32 v28, v0, 3, 0x68
	v_dual_mov_b32 v27, v1 :: v_dual_mov_b32 v26, v0
	s_mov_b32 s6, 0
.LBB10_199:                             ; =>This Inner Loop Header: Depth=1
	s_delay_alu instid0(VALU_DEP_1) | instskip(NEXT) | instid1(VALU_DEP_2)
	v_add_co_u32 v26, vcc_lo, v26, 1
	v_add_co_ci_u32_e32 v27, vcc_lo, 0, v27, vcc_lo
	s_delay_alu instid0(VALU_DEP_2) | instskip(SKIP_3) | instid1(VALU_DEP_2)
	v_cmp_eq_u32_e32 vcc_lo, 1, v26
	v_cmp_eq_u32_e64 s3, 2, v26
	v_dual_cndmask_b32 v29, v3, v5 :: v_dual_cndmask_b32 v30, v2, v4
	v_cmp_eq_u32_e32 vcc_lo, 3, v26
	v_cndmask_b32_e64 v29, v29, v7, s3
	s_delay_alu instid0(VALU_DEP_3) | instskip(SKIP_1) | instid1(VALU_DEP_2)
	v_cndmask_b32_e64 v30, v30, v6, s3
	v_cmp_eq_u32_e64 s3, 4, v26
	v_dual_cndmask_b32 v29, v29, v9 :: v_dual_cndmask_b32 v30, v30, v8
	v_cmp_eq_u32_e32 vcc_lo, 5, v26
	s_delay_alu instid0(VALU_DEP_2) | instskip(NEXT) | instid1(VALU_DEP_3)
	v_cndmask_b32_e64 v29, v29, v11, s3
	v_cndmask_b32_e64 v30, v30, v10, s3
	v_cmp_eq_u32_e64 s3, 6, v26
	s_delay_alu instid0(VALU_DEP_2) | instskip(SKIP_1) | instid1(VALU_DEP_2)
	v_dual_cndmask_b32 v29, v29, v13 :: v_dual_cndmask_b32 v30, v30, v12
	v_cmp_eq_u32_e32 vcc_lo, 7, v26
	v_cndmask_b32_e64 v31, v29, v15, s3
	s_delay_alu instid0(VALU_DEP_3)
	v_cndmask_b32_e64 v32, v30, v14, s3
	ds_load_b64 v[29:30], v28
	v_cmp_eq_u32_e64 s3, 8, v26
	v_dual_cndmask_b32 v31, v31, v17 :: v_dual_add_nc_u32 v28, 8, v28
	v_cndmask_b32_e32 v32, v32, v16, vcc_lo
	v_cmp_eq_u32_e32 vcc_lo, 9, v26
	s_delay_alu instid0(VALU_DEP_3) | instskip(NEXT) | instid1(VALU_DEP_3)
	v_cndmask_b32_e64 v31, v31, v19, s3
	v_cndmask_b32_e64 v32, v32, v18, s3
	v_cmp_eq_u32_e64 s3, 10, v26
	s_delay_alu instid0(VALU_DEP_3) | instskip(NEXT) | instid1(VALU_DEP_3)
	v_cndmask_b32_e32 v31, v31, v21, vcc_lo
	v_cndmask_b32_e32 v33, v32, v20, vcc_lo
	v_cmp_lt_u32_e32 vcc_lo, 4, v26
	s_delay_alu instid0(VALU_DEP_3) | instskip(NEXT) | instid1(VALU_DEP_3)
	v_cndmask_b32_e64 v32, v31, v23, s3
	v_cndmask_b32_e64 v31, v33, v22, s3
	s_or_b32 s6, vcc_lo, s6
	s_waitcnt lgkmcnt(0)
	s_delay_alu instid0(VALU_DEP_1)
	v_fma_f64 v[24:25], v[31:32], v[29:30], v[24:25]
	s_and_not1_b32 exec_lo, exec_lo, s6
	s_cbranch_execnz .LBB10_199
; %bb.200:
	s_or_b32 exec_lo, exec_lo, s6
.LBB10_201:
	s_delay_alu instid0(SALU_CYCLE_1)
	s_or_b32 exec_lo, exec_lo, s5
	v_mov_b32_e32 v14, 0
	ds_load_b64 v[14:15], v14 offset:48
	s_waitcnt lgkmcnt(0)
	v_mul_f64 v[14:15], v[24:25], v[14:15]
.LBB10_202:
	s_or_b32 exec_lo, exec_lo, s4
	v_cmp_gt_u32_e64 s4, 7, v0
	ds_store_b64 v90, v[16:17]
	s_waitcnt lgkmcnt(0)
	s_barrier
	buffer_gl0_inv
	s_and_saveexec_b32 s5, s4
	s_cbranch_execz .LBB10_212
; %bb.203:
	v_cmp_ne_u32_e32 vcc_lo, 1, v34
	s_cbranch_vccnz .LBB10_205
; %bb.204:
	v_cmp_eq_u32_e32 vcc_lo, 1, v0
	v_dual_cndmask_b32 v24, v3, v5 :: v_dual_cndmask_b32 v25, v2, v4
	v_cmp_eq_u32_e32 vcc_lo, 2, v0
	s_delay_alu instid0(VALU_DEP_2) | instskip(SKIP_1) | instid1(VALU_DEP_2)
	v_dual_cndmask_b32 v24, v24, v7 :: v_dual_cndmask_b32 v25, v25, v6
	v_cmp_eq_u32_e32 vcc_lo, 3, v0
	v_dual_cndmask_b32 v24, v24, v9 :: v_dual_cndmask_b32 v25, v25, v8
	v_cmp_eq_u32_e32 vcc_lo, 4, v0
	s_delay_alu instid0(VALU_DEP_2) | instskip(SKIP_1) | instid1(VALU_DEP_2)
	v_dual_cndmask_b32 v24, v24, v11 :: v_dual_cndmask_b32 v25, v25, v10
	;; [unrolled: 5-line block ×3, first 2 shown]
	v_cmp_eq_u32_e32 vcc_lo, 7, v0
	v_dual_cndmask_b32 v26, v24, v17 :: v_dual_cndmask_b32 v27, v25, v16
	v_cmp_eq_u32_e32 vcc_lo, 8, v0
	ds_load_b64 v[24:25], v90
	v_dual_cndmask_b32 v26, v26, v19 :: v_dual_cndmask_b32 v27, v27, v18
	v_cmp_eq_u32_e32 vcc_lo, 9, v0
	s_delay_alu instid0(VALU_DEP_2) | instskip(NEXT) | instid1(VALU_DEP_3)
	v_cndmask_b32_e32 v26, v26, v21, vcc_lo
	v_cndmask_b32_e32 v28, v27, v20, vcc_lo
	v_cmp_eq_u32_e32 vcc_lo, 10, v0
	s_delay_alu instid0(VALU_DEP_2) | instskip(SKIP_1) | instid1(VALU_DEP_1)
	v_dual_cndmask_b32 v27, v26, v23 :: v_dual_cndmask_b32 v26, v28, v22
	s_waitcnt lgkmcnt(0)
	v_mul_f64 v[24:25], v[26:27], v[24:25]
	s_cbranch_execz .LBB10_206
	s_branch .LBB10_207
.LBB10_205:
                                        ; implicit-def: $vgpr24_vgpr25
.LBB10_206:
	ds_load_b64 v[24:25], v90
.LBB10_207:
	s_mov_b32 s6, exec_lo
	v_cmpx_ne_u32_e32 6, v0
	s_cbranch_execz .LBB10_211
; %bb.208:
	v_lshl_add_u32 v28, v0, 3, 0x68
	v_dual_mov_b32 v27, v1 :: v_dual_mov_b32 v26, v0
	s_mov_b32 s7, 0
.LBB10_209:                             ; =>This Inner Loop Header: Depth=1
	s_delay_alu instid0(VALU_DEP_1) | instskip(NEXT) | instid1(VALU_DEP_2)
	v_add_co_u32 v26, vcc_lo, v26, 1
	v_add_co_ci_u32_e32 v27, vcc_lo, 0, v27, vcc_lo
	s_delay_alu instid0(VALU_DEP_2) | instskip(SKIP_3) | instid1(VALU_DEP_2)
	v_cmp_eq_u32_e32 vcc_lo, 1, v26
	v_cmp_eq_u32_e64 s3, 2, v26
	v_dual_cndmask_b32 v29, v3, v5 :: v_dual_cndmask_b32 v30, v2, v4
	v_cmp_eq_u32_e32 vcc_lo, 3, v26
	v_cndmask_b32_e64 v29, v29, v7, s3
	s_delay_alu instid0(VALU_DEP_3) | instskip(SKIP_1) | instid1(VALU_DEP_2)
	v_cndmask_b32_e64 v30, v30, v6, s3
	v_cmp_eq_u32_e64 s3, 4, v26
	v_dual_cndmask_b32 v29, v29, v9 :: v_dual_cndmask_b32 v30, v30, v8
	v_cmp_eq_u32_e32 vcc_lo, 5, v26
	s_delay_alu instid0(VALU_DEP_2) | instskip(NEXT) | instid1(VALU_DEP_3)
	v_cndmask_b32_e64 v29, v29, v11, s3
	v_cndmask_b32_e64 v30, v30, v10, s3
	v_cmp_eq_u32_e64 s3, 6, v26
	s_delay_alu instid0(VALU_DEP_2) | instskip(SKIP_1) | instid1(VALU_DEP_2)
	v_dual_cndmask_b32 v29, v29, v13 :: v_dual_cndmask_b32 v30, v30, v12
	v_cmp_eq_u32_e32 vcc_lo, 7, v26
	v_cndmask_b32_e64 v31, v29, v15, s3
	s_delay_alu instid0(VALU_DEP_3)
	v_cndmask_b32_e64 v32, v30, v14, s3
	ds_load_b64 v[29:30], v28
	v_cmp_eq_u32_e64 s3, 8, v26
	v_dual_cndmask_b32 v31, v31, v17 :: v_dual_add_nc_u32 v28, 8, v28
	v_cndmask_b32_e32 v32, v32, v16, vcc_lo
	v_cmp_eq_u32_e32 vcc_lo, 9, v26
	s_delay_alu instid0(VALU_DEP_3) | instskip(NEXT) | instid1(VALU_DEP_3)
	v_cndmask_b32_e64 v31, v31, v19, s3
	v_cndmask_b32_e64 v32, v32, v18, s3
	v_cmp_eq_u32_e64 s3, 10, v26
	s_delay_alu instid0(VALU_DEP_3) | instskip(NEXT) | instid1(VALU_DEP_3)
	v_cndmask_b32_e32 v31, v31, v21, vcc_lo
	v_cndmask_b32_e32 v33, v32, v20, vcc_lo
	v_cmp_lt_u32_e32 vcc_lo, 5, v26
	s_delay_alu instid0(VALU_DEP_3) | instskip(NEXT) | instid1(VALU_DEP_3)
	v_cndmask_b32_e64 v32, v31, v23, s3
	v_cndmask_b32_e64 v31, v33, v22, s3
	s_or_b32 s7, vcc_lo, s7
	s_waitcnt lgkmcnt(0)
	s_delay_alu instid0(VALU_DEP_1)
	v_fma_f64 v[24:25], v[31:32], v[29:30], v[24:25]
	s_and_not1_b32 exec_lo, exec_lo, s7
	s_cbranch_execnz .LBB10_209
; %bb.210:
	s_or_b32 exec_lo, exec_lo, s7
.LBB10_211:
	s_delay_alu instid0(SALU_CYCLE_1)
	s_or_b32 exec_lo, exec_lo, s6
	v_mov_b32_e32 v16, 0
	ds_load_b64 v[16:17], v16 offset:56
	s_waitcnt lgkmcnt(0)
	v_mul_f64 v[16:17], v[24:25], v[16:17]
.LBB10_212:
	s_or_b32 exec_lo, exec_lo, s5
	s_delay_alu instid0(SALU_CYCLE_1)
	s_mov_b32 s5, exec_lo
	ds_store_b64 v90, v[18:19]
	s_waitcnt lgkmcnt(0)
	s_barrier
	buffer_gl0_inv
	v_cmpx_gt_u32_e32 8, v0
	s_cbranch_execz .LBB10_222
; %bb.213:
	v_cmp_ne_u32_e32 vcc_lo, 1, v34
	s_cbranch_vccnz .LBB10_215
; %bb.214:
	v_cmp_eq_u32_e32 vcc_lo, 1, v0
	v_dual_cndmask_b32 v24, v3, v5 :: v_dual_cndmask_b32 v25, v2, v4
	v_cmp_eq_u32_e32 vcc_lo, 2, v0
	s_delay_alu instid0(VALU_DEP_2) | instskip(SKIP_1) | instid1(VALU_DEP_2)
	v_dual_cndmask_b32 v24, v24, v7 :: v_dual_cndmask_b32 v25, v25, v6
	v_cmp_eq_u32_e32 vcc_lo, 3, v0
	v_dual_cndmask_b32 v24, v24, v9 :: v_dual_cndmask_b32 v25, v25, v8
	v_cmp_eq_u32_e32 vcc_lo, 4, v0
	s_delay_alu instid0(VALU_DEP_2) | instskip(SKIP_1) | instid1(VALU_DEP_2)
	v_dual_cndmask_b32 v24, v24, v11 :: v_dual_cndmask_b32 v25, v25, v10
	;; [unrolled: 5-line block ×3, first 2 shown]
	v_cmp_eq_u32_e32 vcc_lo, 7, v0
	v_dual_cndmask_b32 v26, v24, v17 :: v_dual_cndmask_b32 v27, v25, v16
	v_cmp_eq_u32_e32 vcc_lo, 8, v0
	ds_load_b64 v[24:25], v90
	v_dual_cndmask_b32 v26, v26, v19 :: v_dual_cndmask_b32 v27, v27, v18
	v_cmp_eq_u32_e32 vcc_lo, 9, v0
	s_delay_alu instid0(VALU_DEP_2) | instskip(NEXT) | instid1(VALU_DEP_3)
	v_cndmask_b32_e32 v26, v26, v21, vcc_lo
	v_cndmask_b32_e32 v28, v27, v20, vcc_lo
	v_cmp_eq_u32_e32 vcc_lo, 10, v0
	s_delay_alu instid0(VALU_DEP_2) | instskip(SKIP_1) | instid1(VALU_DEP_1)
	v_dual_cndmask_b32 v27, v26, v23 :: v_dual_cndmask_b32 v26, v28, v22
	s_waitcnt lgkmcnt(0)
	v_mul_f64 v[24:25], v[26:27], v[24:25]
	s_cbranch_execz .LBB10_216
	s_branch .LBB10_217
.LBB10_215:
                                        ; implicit-def: $vgpr24_vgpr25
.LBB10_216:
	ds_load_b64 v[24:25], v90
.LBB10_217:
	s_mov_b32 s6, exec_lo
	v_cmpx_ne_u32_e32 7, v0
	s_cbranch_execz .LBB10_221
; %bb.218:
	v_lshl_add_u32 v28, v0, 3, 0x68
	v_dual_mov_b32 v27, v1 :: v_dual_mov_b32 v26, v0
	s_mov_b32 s7, 0
.LBB10_219:                             ; =>This Inner Loop Header: Depth=1
	s_delay_alu instid0(VALU_DEP_1) | instskip(NEXT) | instid1(VALU_DEP_2)
	v_add_co_u32 v26, vcc_lo, v26, 1
	v_add_co_ci_u32_e32 v27, vcc_lo, 0, v27, vcc_lo
	s_delay_alu instid0(VALU_DEP_2) | instskip(SKIP_3) | instid1(VALU_DEP_2)
	v_cmp_eq_u32_e32 vcc_lo, 1, v26
	v_cmp_eq_u32_e64 s3, 2, v26
	v_dual_cndmask_b32 v29, v3, v5 :: v_dual_cndmask_b32 v30, v2, v4
	v_cmp_eq_u32_e32 vcc_lo, 3, v26
	v_cndmask_b32_e64 v29, v29, v7, s3
	s_delay_alu instid0(VALU_DEP_3) | instskip(SKIP_1) | instid1(VALU_DEP_2)
	v_cndmask_b32_e64 v30, v30, v6, s3
	v_cmp_eq_u32_e64 s3, 4, v26
	v_dual_cndmask_b32 v29, v29, v9 :: v_dual_cndmask_b32 v30, v30, v8
	v_cmp_eq_u32_e32 vcc_lo, 5, v26
	s_delay_alu instid0(VALU_DEP_2) | instskip(NEXT) | instid1(VALU_DEP_3)
	v_cndmask_b32_e64 v29, v29, v11, s3
	v_cndmask_b32_e64 v30, v30, v10, s3
	v_cmp_eq_u32_e64 s3, 6, v26
	s_delay_alu instid0(VALU_DEP_2) | instskip(SKIP_1) | instid1(VALU_DEP_2)
	v_dual_cndmask_b32 v29, v29, v13 :: v_dual_cndmask_b32 v30, v30, v12
	v_cmp_eq_u32_e32 vcc_lo, 7, v26
	v_cndmask_b32_e64 v31, v29, v15, s3
	s_delay_alu instid0(VALU_DEP_3)
	v_cndmask_b32_e64 v32, v30, v14, s3
	ds_load_b64 v[29:30], v28
	v_cmp_eq_u32_e64 s3, 8, v26
	v_dual_cndmask_b32 v31, v31, v17 :: v_dual_add_nc_u32 v28, 8, v28
	v_cndmask_b32_e32 v32, v32, v16, vcc_lo
	v_cmp_eq_u32_e32 vcc_lo, 9, v26
	s_delay_alu instid0(VALU_DEP_3) | instskip(NEXT) | instid1(VALU_DEP_3)
	v_cndmask_b32_e64 v31, v31, v19, s3
	v_cndmask_b32_e64 v32, v32, v18, s3
	v_cmp_eq_u32_e64 s3, 10, v26
	s_delay_alu instid0(VALU_DEP_3) | instskip(NEXT) | instid1(VALU_DEP_3)
	v_cndmask_b32_e32 v31, v31, v21, vcc_lo
	v_cndmask_b32_e32 v33, v32, v20, vcc_lo
	v_cmp_lt_u32_e32 vcc_lo, 6, v26
	s_delay_alu instid0(VALU_DEP_3) | instskip(NEXT) | instid1(VALU_DEP_3)
	v_cndmask_b32_e64 v32, v31, v23, s3
	v_cndmask_b32_e64 v31, v33, v22, s3
	s_or_b32 s7, vcc_lo, s7
	s_waitcnt lgkmcnt(0)
	s_delay_alu instid0(VALU_DEP_1)
	v_fma_f64 v[24:25], v[31:32], v[29:30], v[24:25]
	s_and_not1_b32 exec_lo, exec_lo, s7
	s_cbranch_execnz .LBB10_219
; %bb.220:
	s_or_b32 exec_lo, exec_lo, s7
.LBB10_221:
	s_delay_alu instid0(SALU_CYCLE_1)
	s_or_b32 exec_lo, exec_lo, s6
	v_mov_b32_e32 v18, 0
	ds_load_b64 v[18:19], v18 offset:64
	s_waitcnt lgkmcnt(0)
	v_mul_f64 v[18:19], v[24:25], v[18:19]
.LBB10_222:
	s_or_b32 exec_lo, exec_lo, s5
	v_cmp_gt_u32_e64 s3, 9, v0
	ds_store_b64 v90, v[20:21]
	s_waitcnt lgkmcnt(0)
	s_barrier
	buffer_gl0_inv
	s_and_saveexec_b32 s5, s3
	s_cbranch_execz .LBB10_244
; %bb.223:
	v_cmp_ne_u32_e32 vcc_lo, 1, v34
	s_cbranch_vccnz .LBB10_225
; %bb.224:
	v_cmp_eq_u32_e32 vcc_lo, 1, v0
	v_dual_cndmask_b32 v24, v3, v5 :: v_dual_cndmask_b32 v25, v2, v4
	v_cmp_eq_u32_e32 vcc_lo, 2, v0
	s_delay_alu instid0(VALU_DEP_2) | instskip(SKIP_1) | instid1(VALU_DEP_2)
	v_dual_cndmask_b32 v24, v24, v7 :: v_dual_cndmask_b32 v25, v25, v6
	v_cmp_eq_u32_e32 vcc_lo, 3, v0
	v_dual_cndmask_b32 v24, v24, v9 :: v_dual_cndmask_b32 v25, v25, v8
	v_cmp_eq_u32_e32 vcc_lo, 4, v0
	s_delay_alu instid0(VALU_DEP_2) | instskip(SKIP_1) | instid1(VALU_DEP_2)
	v_dual_cndmask_b32 v24, v24, v11 :: v_dual_cndmask_b32 v25, v25, v10
	v_cmp_eq_u32_e32 vcc_lo, 5, v0
	v_dual_cndmask_b32 v24, v24, v13 :: v_dual_cndmask_b32 v25, v25, v12
	v_cmp_eq_u32_e32 vcc_lo, 6, v0
	s_delay_alu instid0(VALU_DEP_2) | instskip(SKIP_1) | instid1(VALU_DEP_2)
	v_dual_cndmask_b32 v24, v24, v15 :: v_dual_cndmask_b32 v25, v25, v14
	v_cmp_eq_u32_e32 vcc_lo, 7, v0
	v_dual_cndmask_b32 v26, v24, v17 :: v_dual_cndmask_b32 v27, v25, v16
	v_cmp_eq_u32_e32 vcc_lo, 8, v0
	ds_load_b64 v[24:25], v90
	v_dual_cndmask_b32 v26, v26, v19 :: v_dual_cndmask_b32 v27, v27, v18
	v_cmp_eq_u32_e32 vcc_lo, 9, v0
	s_delay_alu instid0(VALU_DEP_2) | instskip(NEXT) | instid1(VALU_DEP_3)
	v_cndmask_b32_e32 v26, v26, v21, vcc_lo
	v_cndmask_b32_e32 v28, v27, v20, vcc_lo
	v_cmp_eq_u32_e32 vcc_lo, 10, v0
	s_delay_alu instid0(VALU_DEP_2) | instskip(SKIP_1) | instid1(VALU_DEP_1)
	v_dual_cndmask_b32 v27, v26, v23 :: v_dual_cndmask_b32 v26, v28, v22
	s_waitcnt lgkmcnt(0)
	v_mul_f64 v[24:25], v[26:27], v[24:25]
	s_cbranch_execz .LBB10_226
	s_branch .LBB10_227
.LBB10_225:
                                        ; implicit-def: $vgpr24_vgpr25
.LBB10_226:
	ds_load_b64 v[24:25], v90
.LBB10_227:
	s_mov_b32 s6, exec_lo
	v_cmpx_ne_u32_e32 8, v0
	s_cbranch_execz .LBB10_243
; %bb.228:
	v_cmp_eq_u32_e32 vcc_lo, 1, v35
	v_dual_cndmask_b32 v26, v3, v5 :: v_dual_cndmask_b32 v27, v2, v4
	v_cmp_eq_u32_e32 vcc_lo, 2, v35
	s_delay_alu instid0(VALU_DEP_2) | instskip(SKIP_1) | instid1(VALU_DEP_2)
	v_dual_cndmask_b32 v26, v26, v7 :: v_dual_cndmask_b32 v27, v27, v6
	v_cmp_eq_u32_e32 vcc_lo, 3, v35
	v_dual_cndmask_b32 v26, v26, v9 :: v_dual_cndmask_b32 v27, v27, v8
	v_cmp_eq_u32_e32 vcc_lo, 4, v35
	s_delay_alu instid0(VALU_DEP_2) | instskip(SKIP_1) | instid1(VALU_DEP_2)
	v_dual_cndmask_b32 v26, v26, v11 :: v_dual_cndmask_b32 v27, v27, v10
	;; [unrolled: 5-line block ×3, first 2 shown]
	v_cmp_eq_u32_e32 vcc_lo, 7, v35
	v_dual_cndmask_b32 v28, v26, v17 :: v_dual_cndmask_b32 v29, v27, v16
	v_cmp_eq_u32_e32 vcc_lo, 8, v35
	ds_load_b64 v[26:27], v90 offset:8
	v_dual_cndmask_b32 v28, v28, v19 :: v_dual_cndmask_b32 v29, v29, v18
	v_cmp_eq_u32_e32 vcc_lo, 9, v35
	s_delay_alu instid0(VALU_DEP_2) | instskip(NEXT) | instid1(VALU_DEP_3)
	v_cndmask_b32_e32 v28, v28, v21, vcc_lo
	v_cndmask_b32_e32 v30, v29, v20, vcc_lo
	v_cmp_eq_u32_e32 vcc_lo, 10, v35
	s_delay_alu instid0(VALU_DEP_2) | instskip(SKIP_1) | instid1(VALU_DEP_1)
	v_dual_cndmask_b32 v29, v28, v23 :: v_dual_cndmask_b32 v28, v30, v22
	s_waitcnt lgkmcnt(0)
	v_fma_f64 v[24:25], v[28:29], v[26:27], v[24:25]
	s_and_saveexec_b32 s7, s4
	s_cbranch_execz .LBB10_242
; %bb.229:
	v_add_nc_u32_e32 v28, 2, v0
	s_mov_b32 s4, exec_lo
	s_delay_alu instid0(VALU_DEP_1) | instskip(SKIP_2) | instid1(VALU_DEP_2)
	v_cmp_eq_u32_e32 vcc_lo, 1, v28
	v_dual_cndmask_b32 v26, v3, v5 :: v_dual_cndmask_b32 v27, v2, v4
	v_cmp_eq_u32_e32 vcc_lo, 2, v28
	v_dual_cndmask_b32 v27, v27, v6 :: v_dual_cndmask_b32 v26, v26, v7
	v_cmp_eq_u32_e32 vcc_lo, 3, v28
	s_delay_alu instid0(VALU_DEP_2) | instskip(SKIP_1) | instid1(VALU_DEP_2)
	v_dual_cndmask_b32 v27, v27, v8 :: v_dual_cndmask_b32 v26, v26, v9
	v_cmp_eq_u32_e32 vcc_lo, 4, v28
	v_dual_cndmask_b32 v27, v27, v10 :: v_dual_cndmask_b32 v26, v26, v11
	v_cmp_eq_u32_e32 vcc_lo, 5, v28
	s_delay_alu instid0(VALU_DEP_2) | instskip(SKIP_1) | instid1(VALU_DEP_2)
	v_dual_cndmask_b32 v27, v27, v12 :: v_dual_cndmask_b32 v26, v26, v13
	v_cmp_eq_u32_e32 vcc_lo, 6, v28
	v_dual_cndmask_b32 v27, v27, v14 :: v_dual_cndmask_b32 v26, v26, v15
	v_cmp_eq_u32_e32 vcc_lo, 7, v28
	s_delay_alu instid0(VALU_DEP_2) | instskip(SKIP_4) | instid1(VALU_DEP_2)
	v_dual_cndmask_b32 v29, v26, v17 :: v_dual_cndmask_b32 v30, v27, v16
	v_cmp_eq_u32_e32 vcc_lo, 8, v28
	ds_load_b64 v[26:27], v90 offset:16
	v_dual_cndmask_b32 v29, v29, v19 :: v_dual_cndmask_b32 v30, v30, v18
	v_cmp_eq_u32_e32 vcc_lo, 9, v28
	v_dual_cndmask_b32 v29, v29, v21 :: v_dual_cndmask_b32 v30, v30, v20
	v_cmp_eq_u32_e32 vcc_lo, 10, v28
	s_delay_alu instid0(VALU_DEP_2) | instskip(SKIP_1) | instid1(VALU_DEP_1)
	v_dual_cndmask_b32 v29, v29, v23 :: v_dual_cndmask_b32 v28, v30, v22
	s_waitcnt lgkmcnt(0)
	v_fma_f64 v[24:25], v[28:29], v[26:27], v[24:25]
	v_cmpx_ne_u32_e32 6, v0
	s_cbranch_execz .LBB10_241
; %bb.230:
	v_add_nc_u32_e32 v28, 3, v0
	s_delay_alu instid0(VALU_DEP_1) | instskip(SKIP_2) | instid1(VALU_DEP_2)
	v_cmp_eq_u32_e32 vcc_lo, 1, v28
	v_dual_cndmask_b32 v26, v3, v5 :: v_dual_cndmask_b32 v27, v2, v4
	v_cmp_eq_u32_e32 vcc_lo, 2, v28
	v_dual_cndmask_b32 v27, v27, v6 :: v_dual_cndmask_b32 v26, v26, v7
	v_cmp_eq_u32_e32 vcc_lo, 3, v28
	s_delay_alu instid0(VALU_DEP_2) | instskip(SKIP_1) | instid1(VALU_DEP_2)
	v_dual_cndmask_b32 v27, v27, v8 :: v_dual_cndmask_b32 v26, v26, v9
	v_cmp_eq_u32_e32 vcc_lo, 4, v28
	v_dual_cndmask_b32 v27, v27, v10 :: v_dual_cndmask_b32 v26, v26, v11
	v_cmp_eq_u32_e32 vcc_lo, 5, v28
	s_delay_alu instid0(VALU_DEP_2) | instskip(SKIP_1) | instid1(VALU_DEP_2)
	v_dual_cndmask_b32 v27, v27, v12 :: v_dual_cndmask_b32 v26, v26, v13
	v_cmp_eq_u32_e32 vcc_lo, 6, v28
	v_dual_cndmask_b32 v27, v27, v14 :: v_dual_cndmask_b32 v26, v26, v15
	v_cmp_eq_u32_e32 vcc_lo, 7, v28
	s_delay_alu instid0(VALU_DEP_2) | instskip(SKIP_4) | instid1(VALU_DEP_2)
	v_dual_cndmask_b32 v29, v26, v17 :: v_dual_cndmask_b32 v30, v27, v16
	v_cmp_eq_u32_e32 vcc_lo, 8, v28
	ds_load_b64 v[26:27], v90 offset:24
	v_dual_cndmask_b32 v29, v29, v19 :: v_dual_cndmask_b32 v30, v30, v18
	v_cmp_eq_u32_e32 vcc_lo, 9, v28
	v_dual_cndmask_b32 v29, v29, v21 :: v_dual_cndmask_b32 v30, v30, v20
	v_cmp_eq_u32_e32 vcc_lo, 10, v28
	s_delay_alu instid0(VALU_DEP_2) | instskip(SKIP_1) | instid1(VALU_DEP_1)
	v_dual_cndmask_b32 v29, v29, v23 :: v_dual_cndmask_b32 v28, v30, v22
	s_waitcnt lgkmcnt(0)
	v_fma_f64 v[24:25], v[28:29], v[26:27], v[24:25]
	s_and_saveexec_b32 s8, s2
	s_cbranch_execz .LBB10_240
; %bb.231:
	v_add_nc_u32_e32 v28, 4, v0
	s_mov_b32 s2, exec_lo
	s_delay_alu instid0(VALU_DEP_1) | instskip(SKIP_2) | instid1(VALU_DEP_2)
	v_cmp_eq_u32_e32 vcc_lo, 1, v28
	v_dual_cndmask_b32 v26, v3, v5 :: v_dual_cndmask_b32 v27, v2, v4
	v_cmp_eq_u32_e32 vcc_lo, 2, v28
	v_dual_cndmask_b32 v27, v27, v6 :: v_dual_cndmask_b32 v26, v26, v7
	v_cmp_eq_u32_e32 vcc_lo, 3, v28
	s_delay_alu instid0(VALU_DEP_2) | instskip(SKIP_1) | instid1(VALU_DEP_2)
	v_dual_cndmask_b32 v27, v27, v8 :: v_dual_cndmask_b32 v26, v26, v9
	v_cmp_eq_u32_e32 vcc_lo, 4, v28
	v_dual_cndmask_b32 v27, v27, v10 :: v_dual_cndmask_b32 v26, v26, v11
	v_cmp_eq_u32_e32 vcc_lo, 5, v28
	s_delay_alu instid0(VALU_DEP_2) | instskip(SKIP_1) | instid1(VALU_DEP_2)
	v_dual_cndmask_b32 v27, v27, v12 :: v_dual_cndmask_b32 v26, v26, v13
	v_cmp_eq_u32_e32 vcc_lo, 6, v28
	v_dual_cndmask_b32 v27, v27, v14 :: v_dual_cndmask_b32 v26, v26, v15
	v_cmp_eq_u32_e32 vcc_lo, 7, v28
	s_delay_alu instid0(VALU_DEP_2) | instskip(SKIP_4) | instid1(VALU_DEP_2)
	v_dual_cndmask_b32 v29, v26, v17 :: v_dual_cndmask_b32 v30, v27, v16
	v_cmp_eq_u32_e32 vcc_lo, 8, v28
	ds_load_b64 v[26:27], v90 offset:32
	v_dual_cndmask_b32 v29, v29, v19 :: v_dual_cndmask_b32 v30, v30, v18
	v_cmp_eq_u32_e32 vcc_lo, 9, v28
	v_dual_cndmask_b32 v29, v29, v21 :: v_dual_cndmask_b32 v30, v30, v20
	v_cmp_eq_u32_e32 vcc_lo, 10, v28
	s_delay_alu instid0(VALU_DEP_2) | instskip(SKIP_1) | instid1(VALU_DEP_1)
	v_dual_cndmask_b32 v29, v29, v23 :: v_dual_cndmask_b32 v28, v30, v22
	s_waitcnt lgkmcnt(0)
	v_fma_f64 v[24:25], v[28:29], v[26:27], v[24:25]
	v_cmpx_ne_u32_e32 4, v0
	s_cbranch_execz .LBB10_239
; %bb.232:
	v_add_nc_u32_e32 v28, 5, v0
	s_delay_alu instid0(VALU_DEP_1) | instskip(SKIP_2) | instid1(VALU_DEP_2)
	v_cmp_eq_u32_e32 vcc_lo, 1, v28
	v_dual_cndmask_b32 v26, v3, v5 :: v_dual_cndmask_b32 v27, v2, v4
	v_cmp_eq_u32_e32 vcc_lo, 2, v28
	v_dual_cndmask_b32 v27, v27, v6 :: v_dual_cndmask_b32 v26, v26, v7
	v_cmp_eq_u32_e32 vcc_lo, 3, v28
	s_delay_alu instid0(VALU_DEP_2) | instskip(SKIP_1) | instid1(VALU_DEP_2)
	v_dual_cndmask_b32 v27, v27, v8 :: v_dual_cndmask_b32 v26, v26, v9
	v_cmp_eq_u32_e32 vcc_lo, 4, v28
	v_dual_cndmask_b32 v27, v27, v10 :: v_dual_cndmask_b32 v26, v26, v11
	v_cmp_eq_u32_e32 vcc_lo, 5, v28
	s_delay_alu instid0(VALU_DEP_2) | instskip(SKIP_1) | instid1(VALU_DEP_2)
	v_dual_cndmask_b32 v27, v27, v12 :: v_dual_cndmask_b32 v26, v26, v13
	v_cmp_eq_u32_e32 vcc_lo, 6, v28
	v_dual_cndmask_b32 v27, v27, v14 :: v_dual_cndmask_b32 v26, v26, v15
	v_cmp_eq_u32_e32 vcc_lo, 7, v28
	s_delay_alu instid0(VALU_DEP_2) | instskip(SKIP_4) | instid1(VALU_DEP_2)
	v_dual_cndmask_b32 v29, v26, v17 :: v_dual_cndmask_b32 v30, v27, v16
	v_cmp_eq_u32_e32 vcc_lo, 8, v28
	ds_load_b64 v[26:27], v90 offset:40
	v_dual_cndmask_b32 v29, v29, v19 :: v_dual_cndmask_b32 v30, v30, v18
	v_cmp_eq_u32_e32 vcc_lo, 9, v28
	v_dual_cndmask_b32 v29, v29, v21 :: v_dual_cndmask_b32 v30, v30, v20
	v_cmp_eq_u32_e32 vcc_lo, 10, v28
	s_delay_alu instid0(VALU_DEP_2) | instskip(SKIP_1) | instid1(VALU_DEP_1)
	v_dual_cndmask_b32 v29, v29, v23 :: v_dual_cndmask_b32 v28, v30, v22
	s_waitcnt lgkmcnt(0)
	v_fma_f64 v[24:25], v[28:29], v[26:27], v[24:25]
	s_and_saveexec_b32 s9, s1
	s_cbranch_execz .LBB10_238
; %bb.233:
	v_add_nc_u32_e32 v28, 6, v0
	s_mov_b32 s1, exec_lo
	s_delay_alu instid0(VALU_DEP_1) | instskip(SKIP_2) | instid1(VALU_DEP_2)
	v_cmp_eq_u32_e32 vcc_lo, 1, v28
	v_dual_cndmask_b32 v26, v3, v5 :: v_dual_cndmask_b32 v27, v2, v4
	v_cmp_eq_u32_e32 vcc_lo, 2, v28
	v_dual_cndmask_b32 v27, v27, v6 :: v_dual_cndmask_b32 v26, v26, v7
	v_cmp_eq_u32_e32 vcc_lo, 3, v28
	s_delay_alu instid0(VALU_DEP_2) | instskip(SKIP_1) | instid1(VALU_DEP_2)
	v_dual_cndmask_b32 v27, v27, v8 :: v_dual_cndmask_b32 v26, v26, v9
	v_cmp_eq_u32_e32 vcc_lo, 4, v28
	v_dual_cndmask_b32 v27, v27, v10 :: v_dual_cndmask_b32 v26, v26, v11
	v_cmp_eq_u32_e32 vcc_lo, 5, v28
	s_delay_alu instid0(VALU_DEP_2) | instskip(SKIP_1) | instid1(VALU_DEP_2)
	v_dual_cndmask_b32 v27, v27, v12 :: v_dual_cndmask_b32 v26, v26, v13
	v_cmp_eq_u32_e32 vcc_lo, 6, v28
	v_dual_cndmask_b32 v27, v27, v14 :: v_dual_cndmask_b32 v26, v26, v15
	v_cmp_eq_u32_e32 vcc_lo, 7, v28
	s_delay_alu instid0(VALU_DEP_2) | instskip(SKIP_4) | instid1(VALU_DEP_2)
	v_dual_cndmask_b32 v29, v26, v17 :: v_dual_cndmask_b32 v30, v27, v16
	v_cmp_eq_u32_e32 vcc_lo, 8, v28
	ds_load_b64 v[26:27], v90 offset:48
	v_dual_cndmask_b32 v29, v29, v19 :: v_dual_cndmask_b32 v30, v30, v18
	v_cmp_eq_u32_e32 vcc_lo, 9, v28
	v_dual_cndmask_b32 v29, v29, v21 :: v_dual_cndmask_b32 v30, v30, v20
	v_cmp_eq_u32_e32 vcc_lo, 10, v28
	s_delay_alu instid0(VALU_DEP_2) | instskip(SKIP_1) | instid1(VALU_DEP_1)
	v_dual_cndmask_b32 v29, v29, v23 :: v_dual_cndmask_b32 v28, v30, v22
	s_waitcnt lgkmcnt(0)
	v_fma_f64 v[24:25], v[28:29], v[26:27], v[24:25]
	v_cmpx_ne_u32_e32 2, v0
	s_cbranch_execz .LBB10_237
; %bb.234:
	v_add_nc_u32_e32 v28, 7, v0
	s_delay_alu instid0(VALU_DEP_1) | instskip(SKIP_2) | instid1(VALU_DEP_2)
	v_cmp_eq_u32_e32 vcc_lo, 1, v28
	v_dual_cndmask_b32 v26, v3, v5 :: v_dual_cndmask_b32 v27, v2, v4
	v_cmp_eq_u32_e32 vcc_lo, 2, v28
	v_dual_cndmask_b32 v27, v27, v6 :: v_dual_cndmask_b32 v26, v26, v7
	v_cmp_eq_u32_e32 vcc_lo, 3, v28
	s_delay_alu instid0(VALU_DEP_2) | instskip(SKIP_1) | instid1(VALU_DEP_2)
	v_dual_cndmask_b32 v27, v27, v8 :: v_dual_cndmask_b32 v26, v26, v9
	v_cmp_eq_u32_e32 vcc_lo, 4, v28
	v_dual_cndmask_b32 v27, v27, v10 :: v_dual_cndmask_b32 v26, v26, v11
	v_cmp_eq_u32_e32 vcc_lo, 5, v28
	s_delay_alu instid0(VALU_DEP_2) | instskip(SKIP_1) | instid1(VALU_DEP_2)
	v_dual_cndmask_b32 v27, v27, v12 :: v_dual_cndmask_b32 v26, v26, v13
	v_cmp_eq_u32_e32 vcc_lo, 6, v28
	v_dual_cndmask_b32 v27, v27, v14 :: v_dual_cndmask_b32 v26, v26, v15
	v_cmp_eq_u32_e32 vcc_lo, 7, v28
	s_delay_alu instid0(VALU_DEP_2) | instskip(SKIP_4) | instid1(VALU_DEP_2)
	v_dual_cndmask_b32 v29, v26, v17 :: v_dual_cndmask_b32 v30, v27, v16
	v_cmp_eq_u32_e32 vcc_lo, 8, v28
	ds_load_b64 v[26:27], v90 offset:56
	v_dual_cndmask_b32 v29, v29, v19 :: v_dual_cndmask_b32 v30, v30, v18
	v_cmp_eq_u32_e32 vcc_lo, 9, v28
	v_dual_cndmask_b32 v21, v29, v21 :: v_dual_cndmask_b32 v20, v30, v20
	v_cmp_eq_u32_e32 vcc_lo, 10, v28
	s_delay_alu instid0(VALU_DEP_2) | instskip(SKIP_1) | instid1(VALU_DEP_1)
	v_dual_cndmask_b32 v21, v21, v23 :: v_dual_cndmask_b32 v20, v20, v22
	s_waitcnt lgkmcnt(0)
	v_fma_f64 v[24:25], v[20:21], v[26:27], v[24:25]
	s_and_saveexec_b32 s10, s0
	s_cbranch_execz .LBB10_236
; %bb.235:
	ds_load_b64 v[20:21], v90 offset:64
	s_waitcnt lgkmcnt(0)
	v_fma_f64 v[24:25], v[18:19], v[20:21], v[24:25]
.LBB10_236:
	s_or_b32 exec_lo, exec_lo, s10
.LBB10_237:
	s_delay_alu instid0(SALU_CYCLE_1)
	s_or_b32 exec_lo, exec_lo, s1
.LBB10_238:
	s_delay_alu instid0(SALU_CYCLE_1)
	s_or_b32 exec_lo, exec_lo, s9
.LBB10_239:
	s_delay_alu instid0(SALU_CYCLE_1)
	s_or_b32 exec_lo, exec_lo, s2
.LBB10_240:
	s_delay_alu instid0(SALU_CYCLE_1)
	s_or_b32 exec_lo, exec_lo, s8
.LBB10_241:
	s_delay_alu instid0(SALU_CYCLE_1)
	s_or_b32 exec_lo, exec_lo, s4
.LBB10_242:
	s_delay_alu instid0(SALU_CYCLE_1)
	s_or_b32 exec_lo, exec_lo, s7
.LBB10_243:
	s_delay_alu instid0(SALU_CYCLE_1)
	s_or_b32 exec_lo, exec_lo, s6
	v_mov_b32_e32 v20, 0
	ds_load_b64 v[20:21], v20 offset:72
	s_waitcnt lgkmcnt(0)
	v_mul_f64 v[20:21], v[24:25], v[20:21]
.LBB10_244:
	s_or_b32 exec_lo, exec_lo, s5
	s_delay_alu instid0(SALU_CYCLE_1)
	s_mov_b32 s1, exec_lo
	ds_store_b64 v90, v[22:23]
	s_waitcnt lgkmcnt(0)
	s_barrier
	buffer_gl0_inv
	v_cmpx_ne_u32_e32 10, v0
	s_cbranch_execz .LBB10_254
; %bb.245:
	v_cmp_ne_u32_e32 vcc_lo, 1, v34
	s_cbranch_vccnz .LBB10_247
; %bb.246:
	v_cmp_eq_u32_e32 vcc_lo, 1, v0
	v_dual_cndmask_b32 v24, v3, v5 :: v_dual_cndmask_b32 v25, v2, v4
	v_cmp_eq_u32_e32 vcc_lo, 2, v0
	s_delay_alu instid0(VALU_DEP_2) | instskip(SKIP_1) | instid1(VALU_DEP_2)
	v_dual_cndmask_b32 v24, v24, v7 :: v_dual_cndmask_b32 v25, v25, v6
	v_cmp_eq_u32_e32 vcc_lo, 3, v0
	v_dual_cndmask_b32 v24, v24, v9 :: v_dual_cndmask_b32 v25, v25, v8
	v_cmp_eq_u32_e32 vcc_lo, 4, v0
	s_delay_alu instid0(VALU_DEP_2) | instskip(SKIP_1) | instid1(VALU_DEP_2)
	v_dual_cndmask_b32 v24, v24, v11 :: v_dual_cndmask_b32 v25, v25, v10
	;; [unrolled: 5-line block ×3, first 2 shown]
	v_cmp_eq_u32_e32 vcc_lo, 7, v0
	v_dual_cndmask_b32 v26, v24, v17 :: v_dual_cndmask_b32 v27, v25, v16
	v_cmp_eq_u32_e32 vcc_lo, 8, v0
	ds_load_b64 v[24:25], v90
	v_dual_cndmask_b32 v26, v26, v19 :: v_dual_cndmask_b32 v27, v27, v18
	v_cmp_eq_u32_e32 vcc_lo, 9, v0
	s_delay_alu instid0(VALU_DEP_2) | instskip(NEXT) | instid1(VALU_DEP_3)
	v_cndmask_b32_e32 v26, v26, v21, vcc_lo
	v_cndmask_b32_e32 v28, v27, v20, vcc_lo
	v_cmp_eq_u32_e32 vcc_lo, 10, v0
	s_delay_alu instid0(VALU_DEP_2) | instskip(SKIP_1) | instid1(VALU_DEP_1)
	v_dual_cndmask_b32 v27, v26, v23 :: v_dual_cndmask_b32 v26, v28, v22
	s_waitcnt lgkmcnt(0)
	v_mul_f64 v[24:25], v[26:27], v[24:25]
	s_cbranch_execz .LBB10_248
	s_branch .LBB10_249
.LBB10_247:
                                        ; implicit-def: $vgpr24_vgpr25
.LBB10_248:
	ds_load_b64 v[24:25], v90
.LBB10_249:
	s_and_saveexec_b32 s2, s3
	s_cbranch_execz .LBB10_253
; %bb.250:
	v_lshl_add_u32 v26, v0, 3, 0x68
	s_mov_b32 s3, 0
.LBB10_251:                             ; =>This Inner Loop Header: Depth=1
	v_add_co_u32 v0, vcc_lo, v0, 1
	v_add_co_ci_u32_e32 v1, vcc_lo, 0, v1, vcc_lo
	s_delay_alu instid0(VALU_DEP_2) | instskip(SKIP_3) | instid1(VALU_DEP_2)
	v_cmp_eq_u32_e32 vcc_lo, 1, v0
	v_cmp_eq_u32_e64 s0, 2, v0
	v_dual_cndmask_b32 v27, v3, v5 :: v_dual_cndmask_b32 v28, v2, v4
	v_cmp_eq_u32_e32 vcc_lo, 3, v0
	v_cndmask_b32_e64 v27, v27, v7, s0
	s_delay_alu instid0(VALU_DEP_3) | instskip(SKIP_1) | instid1(VALU_DEP_2)
	v_cndmask_b32_e64 v28, v28, v6, s0
	v_cmp_eq_u32_e64 s0, 4, v0
	v_dual_cndmask_b32 v27, v27, v9 :: v_dual_cndmask_b32 v28, v28, v8
	v_cmp_eq_u32_e32 vcc_lo, 5, v0
	s_delay_alu instid0(VALU_DEP_2) | instskip(NEXT) | instid1(VALU_DEP_3)
	v_cndmask_b32_e64 v27, v27, v11, s0
	v_cndmask_b32_e64 v28, v28, v10, s0
	v_cmp_eq_u32_e64 s0, 6, v0
	s_delay_alu instid0(VALU_DEP_2) | instskip(SKIP_1) | instid1(VALU_DEP_2)
	v_dual_cndmask_b32 v27, v27, v13 :: v_dual_cndmask_b32 v28, v28, v12
	v_cmp_eq_u32_e32 vcc_lo, 7, v0
	v_cndmask_b32_e64 v29, v27, v15, s0
	s_delay_alu instid0(VALU_DEP_3)
	v_cndmask_b32_e64 v30, v28, v14, s0
	ds_load_b64 v[27:28], v26
	v_cmp_eq_u32_e64 s0, 8, v0
	v_dual_cndmask_b32 v29, v29, v17 :: v_dual_add_nc_u32 v26, 8, v26
	v_cndmask_b32_e32 v30, v30, v16, vcc_lo
	v_cmp_eq_u32_e32 vcc_lo, 9, v0
	s_delay_alu instid0(VALU_DEP_3) | instskip(NEXT) | instid1(VALU_DEP_3)
	v_cndmask_b32_e64 v29, v29, v19, s0
	v_cndmask_b32_e64 v30, v30, v18, s0
	v_cmp_eq_u32_e64 s0, 10, v0
	s_delay_alu instid0(VALU_DEP_3) | instskip(NEXT) | instid1(VALU_DEP_3)
	v_cndmask_b32_e32 v29, v29, v21, vcc_lo
	v_cndmask_b32_e32 v31, v30, v20, vcc_lo
	v_cmp_lt_u32_e32 vcc_lo, 8, v0
	s_delay_alu instid0(VALU_DEP_3) | instskip(NEXT) | instid1(VALU_DEP_3)
	v_cndmask_b32_e64 v30, v29, v23, s0
	v_cndmask_b32_e64 v29, v31, v22, s0
	s_or_b32 s3, vcc_lo, s3
	s_waitcnt lgkmcnt(0)
	s_delay_alu instid0(VALU_DEP_1)
	v_fma_f64 v[24:25], v[29:30], v[27:28], v[24:25]
	s_and_not1_b32 exec_lo, exec_lo, s3
	s_cbranch_execnz .LBB10_251
; %bb.252:
	s_or_b32 exec_lo, exec_lo, s3
.LBB10_253:
	s_delay_alu instid0(SALU_CYCLE_1)
	s_or_b32 exec_lo, exec_lo, s2
	v_mov_b32_e32 v0, 0
	ds_load_b64 v[0:1], v0 offset:80
	s_waitcnt lgkmcnt(0)
	v_mul_f64 v[22:23], v[24:25], v[0:1]
.LBB10_254:
	s_or_b32 exec_lo, exec_lo, s1
	v_dual_mov_b32 v65, v33 :: v_dual_mov_b32 v64, v32
	v_dual_mov_b32 v63, v31 :: v_dual_mov_b32 v62, v30
	;; [unrolled: 1-line block ×16, first 2 shown]
.LBB10_255:
	s_clause 0xa
	global_store_b64 v[68:69], v[34:35], off
	global_store_b64 v[70:71], v[36:37], off
	;; [unrolled: 1-line block ×11, first 2 shown]
.LBB10_256:
	s_nop 0
	s_sendmsg sendmsg(MSG_DEALLOC_VGPRS)
	s_endpgm
	.section	.rodata,"a",@progbits
	.p2align	6, 0x0
	.amdhsa_kernel _ZN9rocsolver6v33100L18trti2_kernel_smallILi11EdPdEEv13rocblas_fill_17rocblas_diagonal_T1_iil
		.amdhsa_group_segment_fixed_size 184
		.amdhsa_private_segment_fixed_size 0
		.amdhsa_kernarg_size 32
		.amdhsa_user_sgpr_count 15
		.amdhsa_user_sgpr_dispatch_ptr 0
		.amdhsa_user_sgpr_queue_ptr 0
		.amdhsa_user_sgpr_kernarg_segment_ptr 1
		.amdhsa_user_sgpr_dispatch_id 0
		.amdhsa_user_sgpr_private_segment_size 0
		.amdhsa_wavefront_size32 1
		.amdhsa_uses_dynamic_stack 0
		.amdhsa_enable_private_segment 0
		.amdhsa_system_sgpr_workgroup_id_x 1
		.amdhsa_system_sgpr_workgroup_id_y 0
		.amdhsa_system_sgpr_workgroup_id_z 0
		.amdhsa_system_sgpr_workgroup_info 0
		.amdhsa_system_vgpr_workitem_id 0
		.amdhsa_next_free_vgpr 104
		.amdhsa_next_free_sgpr 24
		.amdhsa_reserve_vcc 1
		.amdhsa_float_round_mode_32 0
		.amdhsa_float_round_mode_16_64 0
		.amdhsa_float_denorm_mode_32 3
		.amdhsa_float_denorm_mode_16_64 3
		.amdhsa_dx10_clamp 1
		.amdhsa_ieee_mode 1
		.amdhsa_fp16_overflow 0
		.amdhsa_workgroup_processor_mode 1
		.amdhsa_memory_ordered 1
		.amdhsa_forward_progress 0
		.amdhsa_shared_vgpr_count 0
		.amdhsa_exception_fp_ieee_invalid_op 0
		.amdhsa_exception_fp_denorm_src 0
		.amdhsa_exception_fp_ieee_div_zero 0
		.amdhsa_exception_fp_ieee_overflow 0
		.amdhsa_exception_fp_ieee_underflow 0
		.amdhsa_exception_fp_ieee_inexact 0
		.amdhsa_exception_int_div_zero 0
	.end_amdhsa_kernel
	.section	.text._ZN9rocsolver6v33100L18trti2_kernel_smallILi11EdPdEEv13rocblas_fill_17rocblas_diagonal_T1_iil,"axG",@progbits,_ZN9rocsolver6v33100L18trti2_kernel_smallILi11EdPdEEv13rocblas_fill_17rocblas_diagonal_T1_iil,comdat
.Lfunc_end10:
	.size	_ZN9rocsolver6v33100L18trti2_kernel_smallILi11EdPdEEv13rocblas_fill_17rocblas_diagonal_T1_iil, .Lfunc_end10-_ZN9rocsolver6v33100L18trti2_kernel_smallILi11EdPdEEv13rocblas_fill_17rocblas_diagonal_T1_iil
                                        ; -- End function
	.section	.AMDGPU.csdata,"",@progbits
; Kernel info:
; codeLenInByte = 16032
; NumSgprs: 26
; NumVgprs: 104
; ScratchSize: 0
; MemoryBound: 0
; FloatMode: 240
; IeeeMode: 1
; LDSByteSize: 184 bytes/workgroup (compile time only)
; SGPRBlocks: 3
; VGPRBlocks: 12
; NumSGPRsForWavesPerEU: 26
; NumVGPRsForWavesPerEU: 104
; Occupancy: 12
; WaveLimiterHint : 0
; COMPUTE_PGM_RSRC2:SCRATCH_EN: 0
; COMPUTE_PGM_RSRC2:USER_SGPR: 15
; COMPUTE_PGM_RSRC2:TRAP_HANDLER: 0
; COMPUTE_PGM_RSRC2:TGID_X_EN: 1
; COMPUTE_PGM_RSRC2:TGID_Y_EN: 0
; COMPUTE_PGM_RSRC2:TGID_Z_EN: 0
; COMPUTE_PGM_RSRC2:TIDIG_COMP_CNT: 0
	.section	.text._ZN9rocsolver6v33100L18trti2_kernel_smallILi12EdPdEEv13rocblas_fill_17rocblas_diagonal_T1_iil,"axG",@progbits,_ZN9rocsolver6v33100L18trti2_kernel_smallILi12EdPdEEv13rocblas_fill_17rocblas_diagonal_T1_iil,comdat
	.globl	_ZN9rocsolver6v33100L18trti2_kernel_smallILi12EdPdEEv13rocblas_fill_17rocblas_diagonal_T1_iil ; -- Begin function _ZN9rocsolver6v33100L18trti2_kernel_smallILi12EdPdEEv13rocblas_fill_17rocblas_diagonal_T1_iil
	.p2align	8
	.type	_ZN9rocsolver6v33100L18trti2_kernel_smallILi12EdPdEEv13rocblas_fill_17rocblas_diagonal_T1_iil,@function
_ZN9rocsolver6v33100L18trti2_kernel_smallILi12EdPdEEv13rocblas_fill_17rocblas_diagonal_T1_iil: ; @_ZN9rocsolver6v33100L18trti2_kernel_smallILi12EdPdEEv13rocblas_fill_17rocblas_diagonal_T1_iil
; %bb.0:
	s_mov_b32 s2, exec_lo
	v_cmpx_gt_u32_e32 12, v0
	s_cbranch_execz .LBB11_282
; %bb.1:
	s_load_b256 s[16:23], s[0:1], 0x0
	s_ashr_i32 s2, s15, 31
	v_lshlrev_b32_e32 v36, 3, v0
	v_mov_b32_e32 v34, 0
	v_mov_b32_e32 v35, 0xbff00000
	s_waitcnt lgkmcnt(0)
	v_add3_u32 v1, s21, s21, v0
	s_mul_i32 s3, s15, s23
	s_mul_hi_u32 s4, s15, s22
	s_mul_i32 s5, s2, s22
	s_add_i32 s3, s4, s3
	v_add_nc_u32_e32 v3, s21, v1
	v_ashrrev_i32_e32 v2, 31, v1
	s_mul_i32 s2, s15, s22
	s_add_i32 s3, s3, s5
	s_ashr_i32 s1, s20, 31
	v_add_nc_u32_e32 v5, s21, v3
	s_lshl_b64 s[2:3], s[2:3], 3
	s_mov_b32 s0, s20
	v_lshlrev_b64 v[1:2], 3, v[1:2]
	s_add_u32 s2, s18, s2
	s_addc_u32 s3, s19, s3
	s_lshl_b64 s[0:1], s[0:1], 3
	v_ashrrev_i32_e32 v6, 31, v5
	v_ashrrev_i32_e32 v4, 31, v3
	s_add_u32 s0, s2, s0
	s_addc_u32 s1, s3, s1
	v_add_co_u32 v66, vcc_lo, s0, v1
	v_add_co_u32 v68, s2, s0, v36
	s_mov_b32 s4, s21
	s_ashr_i32 s5, s21, 31
	v_add_co_ci_u32_e32 v67, vcc_lo, s1, v2, vcc_lo
	v_lshlrev_b64 v[1:2], 3, v[5:6]
	v_add_nc_u32_e32 v5, s21, v5
	v_add_co_ci_u32_e64 v69, null, s1, 0, s2
	v_lshlrev_b64 v[3:4], 3, v[3:4]
	s_lshl_b64 s[2:3], s[4:5], 3
	s_delay_alu instid0(VALU_DEP_3) | instskip(SKIP_2) | instid1(VALU_DEP_4)
	v_add_nc_u32_e32 v12, s21, v5
	v_add_co_u32 v70, vcc_lo, v68, s2
	v_add_co_ci_u32_e32 v71, vcc_lo, s3, v69, vcc_lo
	v_add_co_u32 v72, vcc_lo, s0, v3
	v_ashrrev_i32_e32 v6, 31, v5
	v_add_co_ci_u32_e32 v73, vcc_lo, s1, v4, vcc_lo
	v_add_co_u32 v74, vcc_lo, s0, v1
	v_add_nc_u32_e32 v14, s21, v12
	v_add_co_ci_u32_e32 v75, vcc_lo, s1, v2, vcc_lo
	v_lshlrev_b64 v[1:2], 3, v[5:6]
	v_ashrrev_i32_e32 v13, 31, v12
	s_delay_alu instid0(VALU_DEP_4)
	v_ashrrev_i32_e32 v15, 31, v14
	v_add_nc_u32_e32 v16, s21, v14
	s_clause 0x3
	global_load_b64 v[4:5], v[70:71], off
	global_load_b64 v[6:7], v[66:67], off
	;; [unrolled: 1-line block ×4, first 2 shown]
	s_cmpk_lg_i32 s17, 0x84
	v_lshlrev_b64 v[12:13], 3, v[12:13]
	v_add_co_u32 v76, vcc_lo, s0, v1
	v_add_co_ci_u32_e32 v77, vcc_lo, s1, v2, vcc_lo
	v_lshlrev_b64 v[1:2], 3, v[14:15]
	v_ashrrev_i32_e32 v17, 31, v16
	v_add_nc_u32_e32 v14, s21, v16
	v_add_co_u32 v78, vcc_lo, s0, v12
	v_add_co_ci_u32_e32 v79, vcc_lo, s1, v13, vcc_lo
	s_delay_alu instid0(VALU_DEP_4) | instskip(NEXT) | instid1(VALU_DEP_4)
	v_lshlrev_b64 v[12:13], 3, v[16:17]
	v_ashrrev_i32_e32 v15, 31, v14
	v_add_nc_u32_e32 v16, s21, v14
	v_add_co_u32 v80, vcc_lo, s0, v1
	v_add_co_ci_u32_e32 v81, vcc_lo, s1, v2, vcc_lo
	s_delay_alu instid0(VALU_DEP_4) | instskip(NEXT) | instid1(VALU_DEP_4)
	v_lshlrev_b64 v[1:2], 3, v[14:15]
	v_add_nc_u32_e32 v14, s21, v16
	v_ashrrev_i32_e32 v17, 31, v16
	v_add_co_u32 v88, vcc_lo, s0, v12
	v_add_co_ci_u32_e32 v89, vcc_lo, s1, v13, vcc_lo
	s_delay_alu instid0(VALU_DEP_4) | instskip(NEXT) | instid1(VALU_DEP_4)
	v_ashrrev_i32_e32 v15, 31, v14
	v_lshlrev_b64 v[12:13], 3, v[16:17]
	v_add_co_u32 v84, vcc_lo, s0, v1
	v_add_co_ci_u32_e32 v85, vcc_lo, s1, v2, vcc_lo
	s_delay_alu instid0(VALU_DEP_4) | instskip(NEXT) | instid1(VALU_DEP_4)
	v_lshlrev_b64 v[1:2], 3, v[14:15]
	v_add_co_u32 v86, vcc_lo, s0, v12
	v_add_co_ci_u32_e32 v87, vcc_lo, s1, v13, vcc_lo
	s_cselect_b32 s12, -1, 0
	s_delay_alu instid0(VALU_DEP_3) | instskip(NEXT) | instid1(VALU_DEP_4)
	v_add_co_u32 v82, vcc_lo, s0, v1
	v_add_co_ci_u32_e32 v83, vcc_lo, s1, v2, vcc_lo
	v_mov_b32_e32 v1, 0
	s_clause 0x7
	global_load_b64 v[12:13], v[76:77], off
	global_load_b64 v[14:15], v[78:79], off
	;; [unrolled: 1-line block ×6, first 2 shown]
	global_load_b64 v[2:3], v36, s[0:1]
	global_load_b64 v[24:25], v[82:83], off
	v_cmp_eq_u32_e64 s0, 0, v0
	s_cmpk_eq_i32 s17, 0x84
	s_cbranch_scc1 .LBB11_3
; %bb.2:
	v_cmp_eq_u32_e64 s1, 1, v0
	v_cmp_eq_u32_e64 s2, 2, v0
	;; [unrolled: 1-line block ×5, first 2 shown]
	s_waitcnt vmcnt(1)
	v_cndmask_b32_e64 v26, v3, v5, s1
	v_cndmask_b32_e64 v27, v2, v4, s1
	v_cmp_eq_u32_e64 s6, 6, v0
	v_cmp_eq_u32_e64 s7, 7, v0
	;; [unrolled: 1-line block ×3, first 2 shown]
	v_cndmask_b32_e64 v26, v26, v7, s2
	v_cndmask_b32_e64 v27, v27, v6, s2
	v_cmp_eq_u32_e64 s9, 9, v0
	v_cmp_eq_u32_e64 s10, 10, v0
	;; [unrolled: 1-line block ×3, first 2 shown]
	v_cndmask_b32_e64 v26, v26, v9, s3
	v_cndmask_b32_e64 v27, v27, v8, s3
	s_delay_alu instid0(VALU_DEP_2) | instskip(NEXT) | instid1(VALU_DEP_2)
	v_cndmask_b32_e64 v26, v26, v11, s4
	v_cndmask_b32_e64 v27, v27, v10, s4
	s_delay_alu instid0(VALU_DEP_2) | instskip(NEXT) | instid1(VALU_DEP_2)
	;; [unrolled: 3-line block ×7, first 2 shown]
	v_cndmask_b32_e64 v26, v26, v23, s10
	v_cndmask_b32_e64 v28, v27, v22, s10
	s_waitcnt vmcnt(0)
	s_delay_alu instid0(VALU_DEP_2) | instskip(NEXT) | instid1(VALU_DEP_2)
	v_cndmask_b32_e64 v27, v26, v25, s11
	v_cndmask_b32_e64 v26, v28, v24, s11
	s_delay_alu instid0(VALU_DEP_1) | instskip(SKIP_1) | instid1(VALU_DEP_2)
	v_div_scale_f64 v[28:29], null, v[26:27], v[26:27], 1.0
	v_div_scale_f64 v[34:35], vcc_lo, 1.0, v[26:27], 1.0
	v_rcp_f64_e32 v[30:31], v[28:29]
	s_waitcnt_depctr 0xfff
	v_fma_f64 v[32:33], -v[28:29], v[30:31], 1.0
	s_delay_alu instid0(VALU_DEP_1) | instskip(NEXT) | instid1(VALU_DEP_1)
	v_fma_f64 v[30:31], v[30:31], v[32:33], v[30:31]
	v_fma_f64 v[32:33], -v[28:29], v[30:31], 1.0
	s_delay_alu instid0(VALU_DEP_1) | instskip(NEXT) | instid1(VALU_DEP_1)
	v_fma_f64 v[30:31], v[30:31], v[32:33], v[30:31]
	v_mul_f64 v[32:33], v[34:35], v[30:31]
	s_delay_alu instid0(VALU_DEP_1) | instskip(NEXT) | instid1(VALU_DEP_1)
	v_fma_f64 v[28:29], -v[28:29], v[32:33], v[34:35]
	v_div_fmas_f64 v[28:29], v[28:29], v[30:31], v[32:33]
	s_delay_alu instid0(VALU_DEP_1) | instskip(NEXT) | instid1(VALU_DEP_1)
	v_div_fixup_f64 v[34:35], v[28:29], v[26:27], 1.0
	v_cndmask_b32_e64 v25, v25, v35, s11
	s_delay_alu instid0(VALU_DEP_2)
	v_cndmask_b32_e64 v24, v24, v34, s11
	v_cndmask_b32_e64 v23, v23, v35, s10
	v_cndmask_b32_e64 v22, v22, v34, s10
	v_cndmask_b32_e64 v21, v21, v35, s9
	v_cndmask_b32_e64 v20, v20, v34, s9
	v_cndmask_b32_e64 v19, v19, v35, s8
	v_cndmask_b32_e64 v18, v18, v34, s8
	v_cndmask_b32_e64 v17, v17, v35, s7
	v_cndmask_b32_e64 v16, v16, v34, s7
	v_cndmask_b32_e64 v15, v15, v35, s6
	v_cndmask_b32_e64 v14, v14, v34, s6
	v_cndmask_b32_e64 v13, v13, v35, s5
	v_cndmask_b32_e64 v12, v12, v34, s5
	v_cndmask_b32_e64 v11, v11, v35, s4
	v_cndmask_b32_e64 v10, v10, v34, s4
	v_cndmask_b32_e64 v9, v9, v35, s3
	v_cndmask_b32_e64 v8, v8, v34, s3
	v_cndmask_b32_e64 v7, v7, v35, s2
	v_cndmask_b32_e64 v6, v6, v34, s2
	v_cndmask_b32_e64 v5, v5, v35, s1
	v_cndmask_b32_e64 v4, v4, v34, s1
	v_cndmask_b32_e64 v3, v3, v35, s0
	v_cndmask_b32_e64 v2, v2, v34, s0
	v_xor_b32_e32 v35, 0x80000000, v35
.LBB11_3:
	v_add_nc_u32_e32 v92, 0x60, v36
	s_cmpk_eq_i32 s16, 0x79
	ds_store_b64 v36, v[34:35]
	s_cbranch_scc1 .LBB11_7
; %bb.4:
	s_waitcnt vmcnt(0)
	v_dual_mov_b32 v65, v33 :: v_dual_mov_b32 v64, v32
	v_dual_mov_b32 v63, v31 :: v_dual_mov_b32 v62, v30
	;; [unrolled: 1-line block ×16, first 2 shown]
	v_cmp_eq_u32_e64 s0, 11, v0
	ds_store_b64 v92, v[22:23]
	s_waitcnt lgkmcnt(0)
	s_barrier
	buffer_gl0_inv
	s_and_saveexec_b32 s1, s0
	s_cbranch_execz .LBB11_11
; %bb.5:
	s_and_b32 vcc_lo, exec_lo, s12
	s_cbranch_vccz .LBB11_8
; %bb.6:
	v_cmp_eq_u32_e32 vcc_lo, 1, v0
	v_dual_cndmask_b32 v34, v3, v5 :: v_dual_cndmask_b32 v35, v2, v4
	v_cmp_eq_u32_e32 vcc_lo, 2, v0
	s_delay_alu instid0(VALU_DEP_2) | instskip(SKIP_1) | instid1(VALU_DEP_2)
	v_dual_cndmask_b32 v34, v34, v7 :: v_dual_cndmask_b32 v35, v35, v6
	v_cmp_eq_u32_e32 vcc_lo, 3, v0
	v_dual_cndmask_b32 v34, v34, v9 :: v_dual_cndmask_b32 v35, v35, v8
	v_cmp_eq_u32_e32 vcc_lo, 4, v0
	s_delay_alu instid0(VALU_DEP_2) | instskip(SKIP_1) | instid1(VALU_DEP_2)
	v_dual_cndmask_b32 v34, v34, v11 :: v_dual_cndmask_b32 v35, v35, v10
	;; [unrolled: 5-line block ×3, first 2 shown]
	v_cmp_eq_u32_e32 vcc_lo, 7, v0
	v_dual_cndmask_b32 v34, v34, v17 :: v_dual_cndmask_b32 v35, v35, v16
	v_cmp_eq_u32_e32 vcc_lo, 8, v0
	s_delay_alu instid0(VALU_DEP_2) | instskip(SKIP_4) | instid1(VALU_DEP_2)
	v_dual_cndmask_b32 v36, v34, v19 :: v_dual_cndmask_b32 v37, v35, v18
	v_cmp_eq_u32_e32 vcc_lo, 9, v0
	ds_load_b64 v[34:35], v92
	v_dual_cndmask_b32 v36, v36, v21 :: v_dual_cndmask_b32 v37, v37, v20
	v_cmp_eq_u32_e32 vcc_lo, 10, v0
	v_cndmask_b32_e32 v36, v36, v23, vcc_lo
	s_delay_alu instid0(VALU_DEP_3) | instskip(SKIP_1) | instid1(VALU_DEP_2)
	v_cndmask_b32_e32 v38, v37, v22, vcc_lo
	v_cmp_eq_u32_e32 vcc_lo, 11, v0
	v_dual_cndmask_b32 v37, v36, v25 :: v_dual_cndmask_b32 v36, v38, v24
	s_waitcnt lgkmcnt(0)
	s_delay_alu instid0(VALU_DEP_1)
	v_mul_f64 v[34:35], v[36:37], v[34:35]
	s_cbranch_execz .LBB11_9
	s_branch .LBB11_10
.LBB11_7:
                                        ; implicit-def: $vgpr34_vgpr35_vgpr36_vgpr37_vgpr38_vgpr39_vgpr40_vgpr41_vgpr42_vgpr43_vgpr44_vgpr45_vgpr46_vgpr47_vgpr48_vgpr49_vgpr50_vgpr51_vgpr52_vgpr53_vgpr54_vgpr55_vgpr56_vgpr57_vgpr58_vgpr59_vgpr60_vgpr61_vgpr62_vgpr63_vgpr64_vgpr65
	s_cbranch_execnz .LBB11_164
	s_branch .LBB11_281
.LBB11_8:
                                        ; implicit-def: $vgpr34_vgpr35
.LBB11_9:
	ds_load_b64 v[34:35], v92
.LBB11_10:
	v_mov_b32_e32 v36, 0
	v_dual_mov_b32 v38, v6 :: v_dual_mov_b32 v41, v9
	v_dual_mov_b32 v40, v8 :: v_dual_mov_b32 v43, v11
	ds_load_b64 v[36:37], v36 offset:80
	v_dual_mov_b32 v42, v10 :: v_dual_mov_b32 v45, v13
	v_dual_mov_b32 v44, v12 :: v_dual_mov_b32 v47, v15
	;; [unrolled: 1-line block ×7, first 2 shown]
	s_waitcnt lgkmcnt(0)
	v_mul_f64 v[54:55], v[34:35], v[36:37]
	v_dual_mov_b32 v34, v2 :: v_dual_mov_b32 v37, v5
	v_dual_mov_b32 v35, v3 :: v_dual_mov_b32 v36, v4
.LBB11_11:
	s_or_b32 exec_lo, exec_lo, s1
	v_cmp_lt_u32_e64 s1, 9, v0
	ds_store_b64 v92, v[52:53]
	s_waitcnt lgkmcnt(0)
	s_barrier
	buffer_gl0_inv
	s_and_saveexec_b32 s2, s1
	s_cbranch_execz .LBB11_19
; %bb.12:
	s_and_not1_b32 vcc_lo, exec_lo, s12
	s_cbranch_vccnz .LBB11_14
; %bb.13:
	v_cmp_eq_u32_e32 vcc_lo, 1, v0
	v_dual_cndmask_b32 v58, v35, v37 :: v_dual_cndmask_b32 v59, v34, v36
	v_cmp_eq_u32_e32 vcc_lo, 2, v0
	s_delay_alu instid0(VALU_DEP_2) | instskip(SKIP_1) | instid1(VALU_DEP_2)
	v_dual_cndmask_b32 v58, v58, v39 :: v_dual_cndmask_b32 v59, v59, v38
	v_cmp_eq_u32_e32 vcc_lo, 3, v0
	v_dual_cndmask_b32 v58, v58, v41 :: v_dual_cndmask_b32 v59, v59, v40
	v_cmp_eq_u32_e32 vcc_lo, 4, v0
	s_delay_alu instid0(VALU_DEP_2) | instskip(SKIP_1) | instid1(VALU_DEP_2)
	v_dual_cndmask_b32 v58, v58, v43 :: v_dual_cndmask_b32 v59, v59, v42
	;; [unrolled: 5-line block ×3, first 2 shown]
	v_cmp_eq_u32_e32 vcc_lo, 7, v0
	v_dual_cndmask_b32 v58, v58, v49 :: v_dual_cndmask_b32 v59, v59, v48
	v_cmp_eq_u32_e32 vcc_lo, 8, v0
	s_delay_alu instid0(VALU_DEP_2) | instskip(SKIP_4) | instid1(VALU_DEP_2)
	v_dual_cndmask_b32 v60, v58, v51 :: v_dual_cndmask_b32 v61, v59, v50
	v_cmp_eq_u32_e32 vcc_lo, 9, v0
	ds_load_b64 v[58:59], v92
	v_dual_cndmask_b32 v53, v60, v53 :: v_dual_cndmask_b32 v52, v61, v52
	v_cmp_eq_u32_e32 vcc_lo, 10, v0
	v_dual_cndmask_b32 v53, v53, v55 :: v_dual_cndmask_b32 v52, v52, v54
	v_cmp_eq_u32_e32 vcc_lo, 11, v0
	s_delay_alu instid0(VALU_DEP_2) | instskip(SKIP_1) | instid1(VALU_DEP_1)
	v_dual_cndmask_b32 v53, v53, v57 :: v_dual_cndmask_b32 v52, v52, v56
	s_waitcnt lgkmcnt(0)
	v_mul_f64 v[52:53], v[52:53], v[58:59]
	s_cbranch_execz .LBB11_15
	s_branch .LBB11_16
.LBB11_14:
                                        ; implicit-def: $vgpr52_vgpr53
.LBB11_15:
	ds_load_b64 v[52:53], v92
.LBB11_16:
	s_and_saveexec_b32 s3, s0
	s_cbranch_execz .LBB11_18
; %bb.17:
	v_mov_b32_e32 v58, 0
	ds_load_b64 v[58:59], v58 offset:176
	s_waitcnt lgkmcnt(0)
	v_fma_f64 v[52:53], v[54:55], v[58:59], v[52:53]
.LBB11_18:
	s_or_b32 exec_lo, exec_lo, s3
	v_mov_b32_e32 v58, 0
	ds_load_b64 v[58:59], v58 offset:72
	s_waitcnt lgkmcnt(0)
	v_mul_f64 v[52:53], v[52:53], v[58:59]
.LBB11_19:
	s_or_b32 exec_lo, exec_lo, s2
	v_cmp_lt_u32_e64 s0, 8, v0
	ds_store_b64 v92, v[50:51]
	s_waitcnt lgkmcnt(0)
	s_barrier
	buffer_gl0_inv
	s_and_saveexec_b32 s4, s0
	s_cbranch_execz .LBB11_35
; %bb.20:
	s_and_not1_b32 vcc_lo, exec_lo, s12
	s_cbranch_vccnz .LBB11_22
; %bb.21:
	v_cmp_eq_u32_e32 vcc_lo, 1, v0
	v_dual_cndmask_b32 v90, v35, v37 :: v_dual_cndmask_b32 v91, v34, v36
	v_cmp_eq_u32_e32 vcc_lo, 2, v0
	s_delay_alu instid0(VALU_DEP_2) | instskip(SKIP_1) | instid1(VALU_DEP_2)
	v_dual_cndmask_b32 v90, v90, v39 :: v_dual_cndmask_b32 v91, v91, v38
	v_cmp_eq_u32_e32 vcc_lo, 3, v0
	v_dual_cndmask_b32 v90, v90, v41 :: v_dual_cndmask_b32 v91, v91, v40
	v_cmp_eq_u32_e32 vcc_lo, 4, v0
	s_delay_alu instid0(VALU_DEP_2) | instskip(SKIP_1) | instid1(VALU_DEP_2)
	v_dual_cndmask_b32 v90, v90, v43 :: v_dual_cndmask_b32 v91, v91, v42
	;; [unrolled: 5-line block ×3, first 2 shown]
	v_cmp_eq_u32_e32 vcc_lo, 7, v0
	v_dual_cndmask_b32 v90, v90, v49 :: v_dual_cndmask_b32 v91, v91, v48
	v_cmp_eq_u32_e32 vcc_lo, 8, v0
	s_delay_alu instid0(VALU_DEP_2) | instskip(SKIP_4) | instid1(VALU_DEP_2)
	v_dual_cndmask_b32 v93, v90, v51 :: v_dual_cndmask_b32 v94, v91, v50
	v_cmp_eq_u32_e32 vcc_lo, 9, v0
	ds_load_b64 v[90:91], v92
	v_dual_cndmask_b32 v93, v93, v53 :: v_dual_cndmask_b32 v94, v94, v52
	v_cmp_eq_u32_e32 vcc_lo, 10, v0
	v_cndmask_b32_e32 v93, v93, v55, vcc_lo
	s_delay_alu instid0(VALU_DEP_3) | instskip(SKIP_1) | instid1(VALU_DEP_2)
	v_cndmask_b32_e32 v95, v94, v54, vcc_lo
	v_cmp_eq_u32_e32 vcc_lo, 11, v0
	v_dual_cndmask_b32 v94, v93, v57 :: v_dual_cndmask_b32 v93, v95, v56
	s_waitcnt lgkmcnt(0)
	s_delay_alu instid0(VALU_DEP_1)
	v_mul_f64 v[90:91], v[93:94], v[90:91]
	s_cbranch_execz .LBB11_23
	s_branch .LBB11_24
.LBB11_22:
                                        ; implicit-def: $vgpr90_vgpr91
.LBB11_23:
	ds_load_b64 v[90:91], v92
.LBB11_24:
	s_and_saveexec_b32 s5, s1
	s_cbranch_execz .LBB11_34
; %bb.25:
	v_dual_mov_b32 v95, 9 :: v_dual_add_nc_u32 v94, -10, v0
	v_add_nc_u32_e32 v93, -9, v0
	s_mov_b32 s1, exec_lo
	s_delay_alu instid0(VALU_DEP_2)
	v_cmpx_lt_u32_e32 6, v94
	s_cbranch_execz .LBB11_29
; %bb.26:
	s_delay_alu instid0(VALU_DEP_2) | instskip(SKIP_3) | instid1(VALU_DEP_1)
	v_and_b32_e32 v94, -8, v93
	s_mov_b32 s6, 0
	s_mov_b64 s[2:3], 16
	s_movk_i32 s7, 0xa8
	v_sub_nc_u32_e32 v94, 0, v94
.LBB11_27:                              ; =>This Inner Loop Header: Depth=1
	v_mov_b32_e32 v105, s7
	s_lshl_b32 s8, s2, 1
	s_delay_alu instid0(SALU_CYCLE_1)
	s_add_i32 m0, s8, -13
	v_movrels_b32_e32 v104, v34
	ds_load_2addr_b64 v[95:98], v105 offset1:1
	ds_load_2addr_b64 v[99:102], v105 offset0:2 offset1:3
	s_add_i32 m0, s8, -14
	v_movrels_b32_e32 v103, v34
	s_add_i32 m0, s8, -11
	s_waitcnt lgkmcnt(1)
	s_delay_alu instid0(VALU_DEP_1) | instskip(SKIP_4) | instid1(VALU_DEP_1)
	v_fma_f64 v[90:91], v[103:104], v[95:96], v[90:91]
	v_movrels_b32_e32 v96, v34
	s_add_i32 m0, s8, -12
	v_movrels_b32_e32 v95, v34
	s_add_i32 m0, s8, -9
	v_fma_f64 v[90:91], v[95:96], v[97:98], v[90:91]
	v_movrels_b32_e32 v96, v34
	s_add_i32 m0, s8, -10
	v_movrels_b32_e32 v95, v34
	s_add_i32 m0, s8, -7
	s_waitcnt lgkmcnt(0)
	s_delay_alu instid0(VALU_DEP_1)
	v_fma_f64 v[90:91], v[95:96], v[99:100], v[90:91]
	v_movrels_b32_e32 v96, v34
	s_add_i32 m0, s8, -8
	v_movrels_b32_e32 v95, v34
	s_add_i32 m0, s8, -5
	;; [unrolled: 2-line block ×4, first 2 shown]
	v_fma_f64 v[90:91], v[95:96], v[101:102], v[90:91]
	ds_load_2addr_b64 v[95:98], v105 offset0:4 offset1:5
	ds_load_2addr_b64 v[99:102], v105 offset0:6 offset1:7
	s_waitcnt lgkmcnt(1)
	v_fma_f64 v[90:91], v[103:104], v[95:96], v[90:91]
	v_movrels_b32_e32 v96, v34
	s_add_i32 m0, s8, -4
	v_movrels_b32_e32 v95, v34
	s_add_i32 m0, s8, -1
	s_delay_alu instid0(VALU_DEP_1)
	v_fma_f64 v[90:91], v[95:96], v[97:98], v[90:91]
	v_movrels_b32_e32 v96, v34
	s_add_i32 m0, s8, -2
	s_add_u32 s2, s2, 8
	v_movrels_b32_e32 v95, v34
	s_mov_b32 m0, s8
	s_addc_u32 s3, s3, 0
	s_add_i32 s8, s2, -7
	s_add_i32 s7, s7, 64
	s_waitcnt lgkmcnt(0)
	s_delay_alu instid0(VALU_DEP_3) | instskip(SKIP_2) | instid1(VALU_DEP_1)
	v_fma_f64 v[90:91], v[95:96], v[99:100], v[90:91]
	v_movrels_b32_e32 v96, v35
	v_movrels_b32_e32 v95, v34
	v_fma_f64 v[90:91], v[95:96], v[101:102], v[90:91]
	v_add_nc_u32_e32 v95, s2, v94
	s_delay_alu instid0(VALU_DEP_1) | instskip(SKIP_2) | instid1(SALU_CYCLE_1)
	v_cmp_eq_u32_e32 vcc_lo, 16, v95
	v_mov_b32_e32 v95, s8
	s_or_b32 s6, vcc_lo, s6
	s_and_not1_b32 exec_lo, exec_lo, s6
	s_cbranch_execnz .LBB11_27
; %bb.28:
	s_or_b32 exec_lo, exec_lo, s6
.LBB11_29:
	s_delay_alu instid0(SALU_CYCLE_1) | instskip(SKIP_3) | instid1(VALU_DEP_1)
	s_or_b32 exec_lo, exec_lo, s1
	v_and_b32_e32 v58, 7, v93
	s_mov_b32 s3, 0
	s_mov_b32 s2, exec_lo
	v_cmpx_ne_u32_e32 0, v58
	s_cbranch_execz .LBB11_33
; %bb.30:
	v_lshl_add_u32 v59, v95, 3, 0x60
	v_mov_b32_e32 v60, 0
.LBB11_31:                              ; =>This Inner Loop Header: Depth=1
	v_cmp_eq_u32_e32 vcc_lo, 1, v95
	v_cmp_eq_u32_e64 s1, 2, v95
	v_dual_cndmask_b32 v61, v35, v37 :: v_dual_add_nc_u32 v58, -1, v58
	v_cndmask_b32_e32 v62, v34, v36, vcc_lo
	v_cmp_eq_u32_e32 vcc_lo, 3, v95
	s_delay_alu instid0(VALU_DEP_3) | instskip(NEXT) | instid1(VALU_DEP_3)
	v_cndmask_b32_e64 v61, v61, v39, s1
	v_cndmask_b32_e64 v62, v62, v38, s1
	v_cmp_eq_u32_e64 s1, 4, v95
	s_delay_alu instid0(VALU_DEP_2) | instskip(SKIP_1) | instid1(VALU_DEP_2)
	v_dual_cndmask_b32 v61, v61, v41 :: v_dual_cndmask_b32 v62, v62, v40
	v_cmp_eq_u32_e32 vcc_lo, 5, v95
	v_cndmask_b32_e64 v61, v61, v43, s1
	s_delay_alu instid0(VALU_DEP_3) | instskip(SKIP_1) | instid1(VALU_DEP_2)
	v_cndmask_b32_e64 v62, v62, v42, s1
	v_cmp_eq_u32_e64 s1, 6, v95
	v_dual_cndmask_b32 v61, v61, v45 :: v_dual_cndmask_b32 v62, v62, v44
	v_cmp_eq_u32_e32 vcc_lo, 7, v95
	s_delay_alu instid0(VALU_DEP_2) | instskip(NEXT) | instid1(VALU_DEP_3)
	v_cndmask_b32_e64 v61, v61, v47, s1
	v_cndmask_b32_e64 v62, v62, v46, s1
	v_cmp_eq_u32_e64 s1, 8, v95
	s_delay_alu instid0(VALU_DEP_2)
	v_dual_cndmask_b32 v63, v61, v49 :: v_dual_cndmask_b32 v64, v62, v48
	ds_load_b64 v[61:62], v59
	v_cmp_eq_u32_e32 vcc_lo, 9, v95
	v_add_nc_u32_e32 v59, 8, v59
	v_cndmask_b32_e64 v63, v63, v51, s1
	v_cndmask_b32_e64 v64, v64, v50, s1
	v_cmp_eq_u32_e64 s1, 10, v95
	s_delay_alu instid0(VALU_DEP_2) | instskip(SKIP_1) | instid1(VALU_DEP_2)
	v_dual_cndmask_b32 v63, v63, v53 :: v_dual_cndmask_b32 v64, v64, v52
	v_cmp_eq_u32_e32 vcc_lo, 11, v95
	v_cndmask_b32_e64 v63, v63, v55, s1
	s_delay_alu instid0(VALU_DEP_3) | instskip(SKIP_1) | instid1(VALU_DEP_1)
	v_cndmask_b32_e64 v65, v64, v54, s1
	v_add_co_u32 v95, s1, v95, 1
	v_add_co_ci_u32_e64 v60, s1, 0, v60, s1
	s_delay_alu instid0(VALU_DEP_3) | instskip(SKIP_2) | instid1(VALU_DEP_2)
	v_dual_cndmask_b32 v64, v63, v57 :: v_dual_cndmask_b32 v63, v65, v56
	v_cmp_eq_u32_e32 vcc_lo, 0, v58
	s_waitcnt lgkmcnt(0)
	v_fma_f64 v[90:91], v[63:64], v[61:62], v[90:91]
	s_or_b32 s3, vcc_lo, s3
	s_delay_alu instid0(SALU_CYCLE_1)
	s_and_not1_b32 exec_lo, exec_lo, s3
	s_cbranch_execnz .LBB11_31
; %bb.32:
	s_or_b32 exec_lo, exec_lo, s3
.LBB11_33:
	s_delay_alu instid0(SALU_CYCLE_1)
	s_or_b32 exec_lo, exec_lo, s2
.LBB11_34:
	s_delay_alu instid0(SALU_CYCLE_1)
	s_or_b32 exec_lo, exec_lo, s5
	v_mov_b32_e32 v50, 0
	ds_load_b64 v[50:51], v50 offset:64
	s_waitcnt lgkmcnt(0)
	v_mul_f64 v[50:51], v[90:91], v[50:51]
.LBB11_35:
	s_or_b32 exec_lo, exec_lo, s4
	v_cmp_lt_u32_e64 s1, 7, v0
	ds_store_b64 v92, v[48:49]
	s_waitcnt lgkmcnt(0)
	s_barrier
	buffer_gl0_inv
	s_and_saveexec_b32 s4, s1
	s_cbranch_execz .LBB11_51
; %bb.36:
	s_and_not1_b32 vcc_lo, exec_lo, s12
	s_cbranch_vccnz .LBB11_38
; %bb.37:
	v_cmp_eq_u32_e32 vcc_lo, 1, v0
	v_dual_cndmask_b32 v90, v35, v37 :: v_dual_cndmask_b32 v91, v34, v36
	v_cmp_eq_u32_e32 vcc_lo, 2, v0
	s_delay_alu instid0(VALU_DEP_2) | instskip(SKIP_1) | instid1(VALU_DEP_2)
	v_dual_cndmask_b32 v90, v90, v39 :: v_dual_cndmask_b32 v91, v91, v38
	v_cmp_eq_u32_e32 vcc_lo, 3, v0
	v_dual_cndmask_b32 v90, v90, v41 :: v_dual_cndmask_b32 v91, v91, v40
	v_cmp_eq_u32_e32 vcc_lo, 4, v0
	s_delay_alu instid0(VALU_DEP_2) | instskip(SKIP_1) | instid1(VALU_DEP_2)
	v_dual_cndmask_b32 v90, v90, v43 :: v_dual_cndmask_b32 v91, v91, v42
	;; [unrolled: 5-line block ×3, first 2 shown]
	v_cmp_eq_u32_e32 vcc_lo, 7, v0
	v_dual_cndmask_b32 v90, v90, v49 :: v_dual_cndmask_b32 v91, v91, v48
	v_cmp_eq_u32_e32 vcc_lo, 8, v0
	s_delay_alu instid0(VALU_DEP_2) | instskip(SKIP_4) | instid1(VALU_DEP_2)
	v_dual_cndmask_b32 v93, v90, v51 :: v_dual_cndmask_b32 v94, v91, v50
	v_cmp_eq_u32_e32 vcc_lo, 9, v0
	ds_load_b64 v[90:91], v92
	v_dual_cndmask_b32 v93, v93, v53 :: v_dual_cndmask_b32 v94, v94, v52
	v_cmp_eq_u32_e32 vcc_lo, 10, v0
	v_cndmask_b32_e32 v93, v93, v55, vcc_lo
	s_delay_alu instid0(VALU_DEP_3) | instskip(SKIP_1) | instid1(VALU_DEP_2)
	v_cndmask_b32_e32 v95, v94, v54, vcc_lo
	v_cmp_eq_u32_e32 vcc_lo, 11, v0
	v_dual_cndmask_b32 v94, v93, v57 :: v_dual_cndmask_b32 v93, v95, v56
	s_waitcnt lgkmcnt(0)
	s_delay_alu instid0(VALU_DEP_1)
	v_mul_f64 v[90:91], v[93:94], v[90:91]
	s_cbranch_execz .LBB11_39
	s_branch .LBB11_40
.LBB11_38:
                                        ; implicit-def: $vgpr90_vgpr91
.LBB11_39:
	ds_load_b64 v[90:91], v92
.LBB11_40:
	s_and_saveexec_b32 s5, s0
	s_cbranch_execz .LBB11_50
; %bb.41:
	v_add_nc_u32_e32 v93, -9, v0
	s_delay_alu instid0(VALU_DEP_1)
	v_cmp_lt_u32_e32 vcc_lo, 6, v93
	v_mov_b32_e32 v93, 8
	s_and_saveexec_b32 s0, vcc_lo
	s_cbranch_execz .LBB11_45
; %bb.42:
	v_and_b32_e32 v93, 8, v0
	s_mov_b32 s6, 0
	s_mov_b64 s[2:3], 15
	s_movk_i32 s7, 0xa0
	s_delay_alu instid0(VALU_DEP_1)
	v_sub_nc_u32_e32 v94, 0, v93
.LBB11_43:                              ; =>This Inner Loop Header: Depth=1
	v_mov_b32_e32 v93, s7
	s_lshl_b32 s8, s2, 1
	s_delay_alu instid0(SALU_CYCLE_1)
	s_add_i32 m0, s8, -13
	v_movrels_b32_e32 v104, v34
	ds_load_b128 v[95:98], v93
	ds_load_b128 v[99:102], v93 offset:16
	s_add_i32 m0, s8, -14
	v_movrels_b32_e32 v103, v34
	s_add_i32 m0, s8, -11
	s_waitcnt lgkmcnt(1)
	s_delay_alu instid0(VALU_DEP_1) | instskip(SKIP_4) | instid1(VALU_DEP_1)
	v_fma_f64 v[90:91], v[103:104], v[95:96], v[90:91]
	v_movrels_b32_e32 v96, v34
	s_add_i32 m0, s8, -12
	v_movrels_b32_e32 v95, v34
	s_add_i32 m0, s8, -9
	v_fma_f64 v[90:91], v[95:96], v[97:98], v[90:91]
	v_movrels_b32_e32 v96, v34
	s_add_i32 m0, s8, -10
	v_movrels_b32_e32 v95, v34
	s_add_i32 m0, s8, -7
	s_waitcnt lgkmcnt(0)
	s_delay_alu instid0(VALU_DEP_1)
	v_fma_f64 v[90:91], v[95:96], v[99:100], v[90:91]
	v_movrels_b32_e32 v96, v34
	s_add_i32 m0, s8, -8
	v_movrels_b32_e32 v95, v34
	s_add_i32 m0, s8, -5
	;; [unrolled: 2-line block ×4, first 2 shown]
	v_fma_f64 v[90:91], v[95:96], v[101:102], v[90:91]
	ds_load_b128 v[95:98], v93 offset:32
	ds_load_b128 v[99:102], v93 offset:48
	s_waitcnt lgkmcnt(1)
	v_fma_f64 v[90:91], v[103:104], v[95:96], v[90:91]
	v_movrels_b32_e32 v96, v34
	s_add_i32 m0, s8, -4
	v_movrels_b32_e32 v95, v34
	s_add_i32 m0, s8, -1
	s_delay_alu instid0(VALU_DEP_1)
	v_fma_f64 v[90:91], v[95:96], v[97:98], v[90:91]
	v_movrels_b32_e32 v96, v34
	s_add_i32 m0, s8, -2
	s_add_u32 s2, s2, 8
	v_movrels_b32_e32 v95, v34
	s_mov_b32 m0, s8
	v_add_nc_u32_e32 v93, s2, v94
	s_addc_u32 s3, s3, 0
	s_add_i32 s8, s2, -7
	s_add_i32 s7, s7, 64
	s_delay_alu instid0(VALU_DEP_1)
	v_cmp_eq_u32_e32 vcc_lo, 7, v93
	v_mov_b32_e32 v93, s8
	s_or_b32 s6, vcc_lo, s6
	s_waitcnt lgkmcnt(0)
	v_fma_f64 v[90:91], v[95:96], v[99:100], v[90:91]
	v_movrels_b32_e32 v96, v35
	v_movrels_b32_e32 v95, v34
	s_delay_alu instid0(VALU_DEP_1)
	v_fma_f64 v[90:91], v[95:96], v[101:102], v[90:91]
	s_and_not1_b32 exec_lo, exec_lo, s6
	s_cbranch_execnz .LBB11_43
; %bb.44:
	s_or_b32 exec_lo, exec_lo, s6
.LBB11_45:
	s_delay_alu instid0(SALU_CYCLE_1) | instskip(SKIP_3) | instid1(VALU_DEP_1)
	s_or_b32 exec_lo, exec_lo, s0
	v_and_b32_e32 v58, 7, v0
	s_mov_b32 s3, 0
	s_mov_b32 s2, exec_lo
	v_cmpx_ne_u32_e32 0, v58
	s_cbranch_execz .LBB11_49
; %bb.46:
	v_lshl_add_u32 v59, v93, 3, 0x60
	v_mov_b32_e32 v60, 0
.LBB11_47:                              ; =>This Inner Loop Header: Depth=1
	v_cmp_eq_u32_e32 vcc_lo, 1, v93
	v_cmp_eq_u32_e64 s0, 2, v93
	v_dual_cndmask_b32 v61, v35, v37 :: v_dual_add_nc_u32 v58, -1, v58
	v_cndmask_b32_e32 v62, v34, v36, vcc_lo
	v_cmp_eq_u32_e32 vcc_lo, 3, v93
	s_delay_alu instid0(VALU_DEP_3) | instskip(NEXT) | instid1(VALU_DEP_3)
	v_cndmask_b32_e64 v61, v61, v39, s0
	v_cndmask_b32_e64 v62, v62, v38, s0
	v_cmp_eq_u32_e64 s0, 4, v93
	s_delay_alu instid0(VALU_DEP_2) | instskip(SKIP_1) | instid1(VALU_DEP_2)
	v_dual_cndmask_b32 v61, v61, v41 :: v_dual_cndmask_b32 v62, v62, v40
	v_cmp_eq_u32_e32 vcc_lo, 5, v93
	v_cndmask_b32_e64 v61, v61, v43, s0
	s_delay_alu instid0(VALU_DEP_3) | instskip(SKIP_1) | instid1(VALU_DEP_2)
	v_cndmask_b32_e64 v62, v62, v42, s0
	v_cmp_eq_u32_e64 s0, 6, v93
	v_dual_cndmask_b32 v61, v61, v45 :: v_dual_cndmask_b32 v62, v62, v44
	v_cmp_eq_u32_e32 vcc_lo, 7, v93
	s_delay_alu instid0(VALU_DEP_2) | instskip(NEXT) | instid1(VALU_DEP_3)
	v_cndmask_b32_e64 v61, v61, v47, s0
	v_cndmask_b32_e64 v62, v62, v46, s0
	v_cmp_eq_u32_e64 s0, 8, v93
	s_delay_alu instid0(VALU_DEP_2)
	v_dual_cndmask_b32 v63, v61, v49 :: v_dual_cndmask_b32 v64, v62, v48
	ds_load_b64 v[61:62], v59
	v_cmp_eq_u32_e32 vcc_lo, 9, v93
	v_add_nc_u32_e32 v59, 8, v59
	v_cndmask_b32_e64 v63, v63, v51, s0
	v_cndmask_b32_e64 v64, v64, v50, s0
	v_cmp_eq_u32_e64 s0, 10, v93
	s_delay_alu instid0(VALU_DEP_2) | instskip(SKIP_1) | instid1(VALU_DEP_2)
	v_dual_cndmask_b32 v63, v63, v53 :: v_dual_cndmask_b32 v64, v64, v52
	v_cmp_eq_u32_e32 vcc_lo, 11, v93
	v_cndmask_b32_e64 v63, v63, v55, s0
	s_delay_alu instid0(VALU_DEP_3) | instskip(SKIP_1) | instid1(VALU_DEP_1)
	v_cndmask_b32_e64 v65, v64, v54, s0
	v_add_co_u32 v93, s0, v93, 1
	v_add_co_ci_u32_e64 v60, s0, 0, v60, s0
	s_delay_alu instid0(VALU_DEP_3) | instskip(SKIP_2) | instid1(VALU_DEP_2)
	v_dual_cndmask_b32 v64, v63, v57 :: v_dual_cndmask_b32 v63, v65, v56
	v_cmp_eq_u32_e32 vcc_lo, 0, v58
	s_waitcnt lgkmcnt(0)
	v_fma_f64 v[90:91], v[63:64], v[61:62], v[90:91]
	s_or_b32 s3, vcc_lo, s3
	s_delay_alu instid0(SALU_CYCLE_1)
	s_and_not1_b32 exec_lo, exec_lo, s3
	s_cbranch_execnz .LBB11_47
; %bb.48:
	s_or_b32 exec_lo, exec_lo, s3
.LBB11_49:
	s_delay_alu instid0(SALU_CYCLE_1)
	s_or_b32 exec_lo, exec_lo, s2
.LBB11_50:
	s_delay_alu instid0(SALU_CYCLE_1)
	s_or_b32 exec_lo, exec_lo, s5
	v_mov_b32_e32 v48, 0
	ds_load_b64 v[48:49], v48 offset:56
	s_waitcnt lgkmcnt(0)
	v_mul_f64 v[48:49], v[90:91], v[48:49]
.LBB11_51:
	s_or_b32 exec_lo, exec_lo, s4
	v_cmp_lt_u32_e64 s0, 6, v0
	ds_store_b64 v92, v[46:47]
	s_waitcnt lgkmcnt(0)
	s_barrier
	buffer_gl0_inv
	s_and_saveexec_b32 s4, s0
	s_cbranch_execz .LBB11_67
; %bb.52:
	s_and_not1_b32 vcc_lo, exec_lo, s12
	s_cbranch_vccnz .LBB11_54
; %bb.53:
	v_cmp_eq_u32_e32 vcc_lo, 1, v0
	v_dual_cndmask_b32 v90, v35, v37 :: v_dual_cndmask_b32 v91, v34, v36
	v_cmp_eq_u32_e32 vcc_lo, 2, v0
	s_delay_alu instid0(VALU_DEP_2) | instskip(SKIP_1) | instid1(VALU_DEP_2)
	v_dual_cndmask_b32 v90, v90, v39 :: v_dual_cndmask_b32 v91, v91, v38
	v_cmp_eq_u32_e32 vcc_lo, 3, v0
	v_dual_cndmask_b32 v90, v90, v41 :: v_dual_cndmask_b32 v91, v91, v40
	v_cmp_eq_u32_e32 vcc_lo, 4, v0
	s_delay_alu instid0(VALU_DEP_2) | instskip(SKIP_1) | instid1(VALU_DEP_2)
	v_dual_cndmask_b32 v90, v90, v43 :: v_dual_cndmask_b32 v91, v91, v42
	;; [unrolled: 5-line block ×3, first 2 shown]
	v_cmp_eq_u32_e32 vcc_lo, 7, v0
	v_dual_cndmask_b32 v90, v90, v49 :: v_dual_cndmask_b32 v91, v91, v48
	v_cmp_eq_u32_e32 vcc_lo, 8, v0
	s_delay_alu instid0(VALU_DEP_2) | instskip(SKIP_4) | instid1(VALU_DEP_2)
	v_dual_cndmask_b32 v93, v90, v51 :: v_dual_cndmask_b32 v94, v91, v50
	v_cmp_eq_u32_e32 vcc_lo, 9, v0
	ds_load_b64 v[90:91], v92
	v_dual_cndmask_b32 v93, v93, v53 :: v_dual_cndmask_b32 v94, v94, v52
	v_cmp_eq_u32_e32 vcc_lo, 10, v0
	v_cndmask_b32_e32 v93, v93, v55, vcc_lo
	s_delay_alu instid0(VALU_DEP_3) | instskip(SKIP_1) | instid1(VALU_DEP_2)
	v_cndmask_b32_e32 v95, v94, v54, vcc_lo
	v_cmp_eq_u32_e32 vcc_lo, 11, v0
	v_dual_cndmask_b32 v94, v93, v57 :: v_dual_cndmask_b32 v93, v95, v56
	s_waitcnt lgkmcnt(0)
	s_delay_alu instid0(VALU_DEP_1)
	v_mul_f64 v[90:91], v[93:94], v[90:91]
	s_cbranch_execz .LBB11_55
	s_branch .LBB11_56
.LBB11_54:
                                        ; implicit-def: $vgpr90_vgpr91
.LBB11_55:
	ds_load_b64 v[90:91], v92
.LBB11_56:
	s_and_saveexec_b32 s5, s1
	s_cbranch_execz .LBB11_66
; %bb.57:
	v_dual_mov_b32 v95, 7 :: v_dual_add_nc_u32 v94, -8, v0
	v_add_nc_u32_e32 v93, -7, v0
	s_mov_b32 s1, exec_lo
	s_delay_alu instid0(VALU_DEP_2)
	v_cmpx_lt_u32_e32 6, v94
	s_cbranch_execz .LBB11_61
; %bb.58:
	s_delay_alu instid0(VALU_DEP_2) | instskip(SKIP_3) | instid1(VALU_DEP_1)
	v_and_b32_e32 v94, -8, v93
	s_mov_b32 s6, 0
	s_mov_b64 s[2:3], 14
	s_movk_i32 s7, 0x98
	v_sub_nc_u32_e32 v94, 0, v94
.LBB11_59:                              ; =>This Inner Loop Header: Depth=1
	v_mov_b32_e32 v105, s7
	s_lshl_b32 s8, s2, 1
	s_delay_alu instid0(SALU_CYCLE_1)
	s_add_i32 m0, s8, -13
	v_movrels_b32_e32 v104, v34
	ds_load_2addr_b64 v[95:98], v105 offset1:1
	ds_load_2addr_b64 v[99:102], v105 offset0:2 offset1:3
	s_add_i32 m0, s8, -14
	v_movrels_b32_e32 v103, v34
	s_add_i32 m0, s8, -11
	s_waitcnt lgkmcnt(1)
	s_delay_alu instid0(VALU_DEP_1) | instskip(SKIP_4) | instid1(VALU_DEP_1)
	v_fma_f64 v[90:91], v[103:104], v[95:96], v[90:91]
	v_movrels_b32_e32 v96, v34
	s_add_i32 m0, s8, -12
	v_movrels_b32_e32 v95, v34
	s_add_i32 m0, s8, -9
	v_fma_f64 v[90:91], v[95:96], v[97:98], v[90:91]
	v_movrels_b32_e32 v96, v34
	s_add_i32 m0, s8, -10
	v_movrels_b32_e32 v95, v34
	s_add_i32 m0, s8, -7
	s_waitcnt lgkmcnt(0)
	s_delay_alu instid0(VALU_DEP_1)
	v_fma_f64 v[90:91], v[95:96], v[99:100], v[90:91]
	v_movrels_b32_e32 v96, v34
	s_add_i32 m0, s8, -8
	v_movrels_b32_e32 v95, v34
	s_add_i32 m0, s8, -5
	;; [unrolled: 2-line block ×4, first 2 shown]
	v_fma_f64 v[90:91], v[95:96], v[101:102], v[90:91]
	ds_load_2addr_b64 v[95:98], v105 offset0:4 offset1:5
	ds_load_2addr_b64 v[99:102], v105 offset0:6 offset1:7
	s_waitcnt lgkmcnt(1)
	v_fma_f64 v[90:91], v[103:104], v[95:96], v[90:91]
	v_movrels_b32_e32 v96, v34
	s_add_i32 m0, s8, -4
	v_movrels_b32_e32 v95, v34
	s_add_i32 m0, s8, -1
	s_delay_alu instid0(VALU_DEP_1)
	v_fma_f64 v[90:91], v[95:96], v[97:98], v[90:91]
	v_movrels_b32_e32 v96, v34
	s_add_i32 m0, s8, -2
	s_add_u32 s2, s2, 8
	v_movrels_b32_e32 v95, v34
	s_mov_b32 m0, s8
	s_addc_u32 s3, s3, 0
	s_add_i32 s8, s2, -7
	s_add_i32 s7, s7, 64
	s_waitcnt lgkmcnt(0)
	s_delay_alu instid0(VALU_DEP_3) | instskip(SKIP_2) | instid1(VALU_DEP_1)
	v_fma_f64 v[90:91], v[95:96], v[99:100], v[90:91]
	v_movrels_b32_e32 v96, v35
	v_movrels_b32_e32 v95, v34
	v_fma_f64 v[90:91], v[95:96], v[101:102], v[90:91]
	v_add_nc_u32_e32 v95, s2, v94
	s_delay_alu instid0(VALU_DEP_1) | instskip(SKIP_2) | instid1(SALU_CYCLE_1)
	v_cmp_eq_u32_e32 vcc_lo, 14, v95
	v_mov_b32_e32 v95, s8
	s_or_b32 s6, vcc_lo, s6
	s_and_not1_b32 exec_lo, exec_lo, s6
	s_cbranch_execnz .LBB11_59
; %bb.60:
	s_or_b32 exec_lo, exec_lo, s6
.LBB11_61:
	s_delay_alu instid0(SALU_CYCLE_1) | instskip(SKIP_3) | instid1(VALU_DEP_1)
	s_or_b32 exec_lo, exec_lo, s1
	v_and_b32_e32 v58, 7, v93
	s_mov_b32 s3, 0
	s_mov_b32 s2, exec_lo
	v_cmpx_ne_u32_e32 0, v58
	s_cbranch_execz .LBB11_65
; %bb.62:
	v_lshl_add_u32 v59, v95, 3, 0x60
	v_mov_b32_e32 v60, 0
.LBB11_63:                              ; =>This Inner Loop Header: Depth=1
	v_cmp_eq_u32_e32 vcc_lo, 1, v95
	v_cmp_eq_u32_e64 s1, 2, v95
	v_dual_cndmask_b32 v61, v35, v37 :: v_dual_add_nc_u32 v58, -1, v58
	v_cndmask_b32_e32 v62, v34, v36, vcc_lo
	v_cmp_eq_u32_e32 vcc_lo, 3, v95
	s_delay_alu instid0(VALU_DEP_3) | instskip(NEXT) | instid1(VALU_DEP_3)
	v_cndmask_b32_e64 v61, v61, v39, s1
	v_cndmask_b32_e64 v62, v62, v38, s1
	v_cmp_eq_u32_e64 s1, 4, v95
	s_delay_alu instid0(VALU_DEP_2) | instskip(SKIP_1) | instid1(VALU_DEP_2)
	v_dual_cndmask_b32 v61, v61, v41 :: v_dual_cndmask_b32 v62, v62, v40
	v_cmp_eq_u32_e32 vcc_lo, 5, v95
	v_cndmask_b32_e64 v61, v61, v43, s1
	s_delay_alu instid0(VALU_DEP_3) | instskip(SKIP_1) | instid1(VALU_DEP_2)
	v_cndmask_b32_e64 v62, v62, v42, s1
	v_cmp_eq_u32_e64 s1, 6, v95
	v_dual_cndmask_b32 v61, v61, v45 :: v_dual_cndmask_b32 v62, v62, v44
	v_cmp_eq_u32_e32 vcc_lo, 7, v95
	s_delay_alu instid0(VALU_DEP_2) | instskip(NEXT) | instid1(VALU_DEP_3)
	v_cndmask_b32_e64 v61, v61, v47, s1
	v_cndmask_b32_e64 v62, v62, v46, s1
	v_cmp_eq_u32_e64 s1, 8, v95
	s_delay_alu instid0(VALU_DEP_2)
	v_dual_cndmask_b32 v63, v61, v49 :: v_dual_cndmask_b32 v64, v62, v48
	ds_load_b64 v[61:62], v59
	v_cmp_eq_u32_e32 vcc_lo, 9, v95
	v_add_nc_u32_e32 v59, 8, v59
	v_cndmask_b32_e64 v63, v63, v51, s1
	v_cndmask_b32_e64 v64, v64, v50, s1
	v_cmp_eq_u32_e64 s1, 10, v95
	s_delay_alu instid0(VALU_DEP_2) | instskip(SKIP_1) | instid1(VALU_DEP_2)
	v_dual_cndmask_b32 v63, v63, v53 :: v_dual_cndmask_b32 v64, v64, v52
	v_cmp_eq_u32_e32 vcc_lo, 11, v95
	v_cndmask_b32_e64 v63, v63, v55, s1
	s_delay_alu instid0(VALU_DEP_3) | instskip(SKIP_1) | instid1(VALU_DEP_1)
	v_cndmask_b32_e64 v65, v64, v54, s1
	v_add_co_u32 v95, s1, v95, 1
	v_add_co_ci_u32_e64 v60, s1, 0, v60, s1
	s_delay_alu instid0(VALU_DEP_3) | instskip(SKIP_2) | instid1(VALU_DEP_2)
	v_dual_cndmask_b32 v64, v63, v57 :: v_dual_cndmask_b32 v63, v65, v56
	v_cmp_eq_u32_e32 vcc_lo, 0, v58
	s_waitcnt lgkmcnt(0)
	v_fma_f64 v[90:91], v[63:64], v[61:62], v[90:91]
	s_or_b32 s3, vcc_lo, s3
	s_delay_alu instid0(SALU_CYCLE_1)
	s_and_not1_b32 exec_lo, exec_lo, s3
	s_cbranch_execnz .LBB11_63
; %bb.64:
	s_or_b32 exec_lo, exec_lo, s3
.LBB11_65:
	s_delay_alu instid0(SALU_CYCLE_1)
	s_or_b32 exec_lo, exec_lo, s2
.LBB11_66:
	s_delay_alu instid0(SALU_CYCLE_1)
	s_or_b32 exec_lo, exec_lo, s5
	v_mov_b32_e32 v46, 0
	ds_load_b64 v[46:47], v46 offset:48
	s_waitcnt lgkmcnt(0)
	v_mul_f64 v[46:47], v[90:91], v[46:47]
.LBB11_67:
	s_or_b32 exec_lo, exec_lo, s4
	v_cmp_lt_u32_e64 s2, 5, v0
	ds_store_b64 v92, v[44:45]
	s_waitcnt lgkmcnt(0)
	s_barrier
	buffer_gl0_inv
	s_and_saveexec_b32 s3, s2
	s_cbranch_execz .LBB11_83
; %bb.68:
	s_and_not1_b32 vcc_lo, exec_lo, s12
	s_cbranch_vccnz .LBB11_70
; %bb.69:
	v_cmp_eq_u32_e32 vcc_lo, 1, v0
	v_dual_cndmask_b32 v90, v35, v37 :: v_dual_cndmask_b32 v91, v34, v36
	v_cmp_eq_u32_e32 vcc_lo, 2, v0
	s_delay_alu instid0(VALU_DEP_2) | instskip(SKIP_1) | instid1(VALU_DEP_2)
	v_dual_cndmask_b32 v90, v90, v39 :: v_dual_cndmask_b32 v91, v91, v38
	v_cmp_eq_u32_e32 vcc_lo, 3, v0
	v_dual_cndmask_b32 v90, v90, v41 :: v_dual_cndmask_b32 v91, v91, v40
	v_cmp_eq_u32_e32 vcc_lo, 4, v0
	s_delay_alu instid0(VALU_DEP_2) | instskip(SKIP_1) | instid1(VALU_DEP_2)
	v_dual_cndmask_b32 v90, v90, v43 :: v_dual_cndmask_b32 v91, v91, v42
	v_cmp_eq_u32_e32 vcc_lo, 5, v0
	v_dual_cndmask_b32 v90, v90, v45 :: v_dual_cndmask_b32 v91, v91, v44
	v_cmp_eq_u32_e32 vcc_lo, 6, v0
	s_delay_alu instid0(VALU_DEP_2) | instskip(SKIP_1) | instid1(VALU_DEP_2)
	v_dual_cndmask_b32 v90, v90, v47 :: v_dual_cndmask_b32 v91, v91, v46
	v_cmp_eq_u32_e32 vcc_lo, 7, v0
	v_dual_cndmask_b32 v90, v90, v49 :: v_dual_cndmask_b32 v91, v91, v48
	v_cmp_eq_u32_e32 vcc_lo, 8, v0
	s_delay_alu instid0(VALU_DEP_2) | instskip(SKIP_4) | instid1(VALU_DEP_2)
	v_dual_cndmask_b32 v93, v90, v51 :: v_dual_cndmask_b32 v94, v91, v50
	v_cmp_eq_u32_e32 vcc_lo, 9, v0
	ds_load_b64 v[90:91], v92
	v_dual_cndmask_b32 v93, v93, v53 :: v_dual_cndmask_b32 v94, v94, v52
	v_cmp_eq_u32_e32 vcc_lo, 10, v0
	v_cndmask_b32_e32 v93, v93, v55, vcc_lo
	s_delay_alu instid0(VALU_DEP_3) | instskip(SKIP_1) | instid1(VALU_DEP_2)
	v_cndmask_b32_e32 v95, v94, v54, vcc_lo
	v_cmp_eq_u32_e32 vcc_lo, 11, v0
	v_dual_cndmask_b32 v94, v93, v57 :: v_dual_cndmask_b32 v93, v95, v56
	s_waitcnt lgkmcnt(0)
	s_delay_alu instid0(VALU_DEP_1)
	v_mul_f64 v[90:91], v[93:94], v[90:91]
	s_cbranch_execz .LBB11_71
	s_branch .LBB11_72
.LBB11_70:
                                        ; implicit-def: $vgpr90_vgpr91
.LBB11_71:
	ds_load_b64 v[90:91], v92
.LBB11_72:
	s_and_saveexec_b32 s4, s0
	s_cbranch_execz .LBB11_82
; %bb.73:
	v_add_nc_u32_e32 v94, -7, v0
	v_add_nc_u32_e32 v93, -6, v0
	s_delay_alu instid0(VALU_DEP_2)
	v_cmp_lt_u32_e32 vcc_lo, 6, v94
	v_mov_b32_e32 v94, 6
	s_and_saveexec_b32 s5, vcc_lo
	s_cbranch_execz .LBB11_77
; %bb.74:
	v_and_b32_e32 v94, -8, v93
	s_mov_b32 s6, 0
	s_mov_b64 s[0:1], 13
	s_movk_i32 s7, 0x90
	s_delay_alu instid0(VALU_DEP_1)
	v_sub_nc_u32_e32 v95, 0, v94
.LBB11_75:                              ; =>This Inner Loop Header: Depth=1
	v_mov_b32_e32 v94, s7
	s_lshl_b32 s8, s0, 1
	s_delay_alu instid0(SALU_CYCLE_1)
	s_add_i32 m0, s8, -13
	v_movrels_b32_e32 v105, v34
	ds_load_b128 v[96:99], v94
	ds_load_b128 v[100:103], v94 offset:16
	s_add_i32 m0, s8, -14
	v_movrels_b32_e32 v104, v34
	s_add_i32 m0, s8, -11
	s_waitcnt lgkmcnt(1)
	s_delay_alu instid0(VALU_DEP_1) | instskip(SKIP_4) | instid1(VALU_DEP_1)
	v_fma_f64 v[90:91], v[104:105], v[96:97], v[90:91]
	v_movrels_b32_e32 v97, v34
	s_add_i32 m0, s8, -12
	v_movrels_b32_e32 v96, v34
	s_add_i32 m0, s8, -9
	v_fma_f64 v[90:91], v[96:97], v[98:99], v[90:91]
	v_movrels_b32_e32 v97, v34
	s_add_i32 m0, s8, -10
	v_movrels_b32_e32 v96, v34
	s_add_i32 m0, s8, -7
	s_waitcnt lgkmcnt(0)
	s_delay_alu instid0(VALU_DEP_1)
	v_fma_f64 v[90:91], v[96:97], v[100:101], v[90:91]
	v_movrels_b32_e32 v97, v34
	s_add_i32 m0, s8, -8
	v_movrels_b32_e32 v96, v34
	s_add_i32 m0, s8, -5
	;; [unrolled: 2-line block ×4, first 2 shown]
	v_fma_f64 v[90:91], v[96:97], v[102:103], v[90:91]
	ds_load_b128 v[96:99], v94 offset:32
	ds_load_b128 v[100:103], v94 offset:48
	s_waitcnt lgkmcnt(1)
	v_fma_f64 v[90:91], v[104:105], v[96:97], v[90:91]
	v_movrels_b32_e32 v97, v34
	s_add_i32 m0, s8, -4
	v_movrels_b32_e32 v96, v34
	s_add_i32 m0, s8, -1
	s_delay_alu instid0(VALU_DEP_1)
	v_fma_f64 v[90:91], v[96:97], v[98:99], v[90:91]
	v_movrels_b32_e32 v97, v34
	s_add_i32 m0, s8, -2
	s_add_u32 s0, s0, 8
	v_movrels_b32_e32 v96, v34
	s_mov_b32 m0, s8
	v_add_nc_u32_e32 v94, s0, v95
	s_addc_u32 s1, s1, 0
	s_add_i32 s8, s0, -7
	s_add_i32 s7, s7, 64
	s_delay_alu instid0(VALU_DEP_1)
	v_cmp_eq_u32_e32 vcc_lo, 13, v94
	v_mov_b32_e32 v94, s8
	s_or_b32 s6, vcc_lo, s6
	s_waitcnt lgkmcnt(0)
	v_fma_f64 v[90:91], v[96:97], v[100:101], v[90:91]
	v_movrels_b32_e32 v97, v35
	v_movrels_b32_e32 v96, v34
	s_delay_alu instid0(VALU_DEP_1)
	v_fma_f64 v[90:91], v[96:97], v[102:103], v[90:91]
	s_and_not1_b32 exec_lo, exec_lo, s6
	s_cbranch_execnz .LBB11_75
; %bb.76:
	s_or_b32 exec_lo, exec_lo, s6
.LBB11_77:
	s_delay_alu instid0(SALU_CYCLE_1) | instskip(SKIP_3) | instid1(VALU_DEP_1)
	s_or_b32 exec_lo, exec_lo, s5
	v_and_b32_e32 v58, 7, v93
	s_mov_b32 s5, 0
	s_mov_b32 s1, exec_lo
	v_cmpx_ne_u32_e32 0, v58
	s_cbranch_execz .LBB11_81
; %bb.78:
	v_lshl_add_u32 v59, v94, 3, 0x60
	v_mov_b32_e32 v60, 0
.LBB11_79:                              ; =>This Inner Loop Header: Depth=1
	v_cmp_eq_u32_e32 vcc_lo, 1, v94
	v_cmp_eq_u32_e64 s0, 2, v94
	v_dual_cndmask_b32 v61, v35, v37 :: v_dual_add_nc_u32 v58, -1, v58
	v_cndmask_b32_e32 v62, v34, v36, vcc_lo
	v_cmp_eq_u32_e32 vcc_lo, 3, v94
	s_delay_alu instid0(VALU_DEP_3) | instskip(NEXT) | instid1(VALU_DEP_3)
	v_cndmask_b32_e64 v61, v61, v39, s0
	v_cndmask_b32_e64 v62, v62, v38, s0
	v_cmp_eq_u32_e64 s0, 4, v94
	s_delay_alu instid0(VALU_DEP_2) | instskip(SKIP_1) | instid1(VALU_DEP_2)
	v_dual_cndmask_b32 v61, v61, v41 :: v_dual_cndmask_b32 v62, v62, v40
	v_cmp_eq_u32_e32 vcc_lo, 5, v94
	v_cndmask_b32_e64 v61, v61, v43, s0
	s_delay_alu instid0(VALU_DEP_3) | instskip(SKIP_1) | instid1(VALU_DEP_2)
	v_cndmask_b32_e64 v62, v62, v42, s0
	v_cmp_eq_u32_e64 s0, 6, v94
	v_dual_cndmask_b32 v61, v61, v45 :: v_dual_cndmask_b32 v62, v62, v44
	v_cmp_eq_u32_e32 vcc_lo, 7, v94
	s_delay_alu instid0(VALU_DEP_2) | instskip(NEXT) | instid1(VALU_DEP_3)
	v_cndmask_b32_e64 v61, v61, v47, s0
	v_cndmask_b32_e64 v62, v62, v46, s0
	v_cmp_eq_u32_e64 s0, 8, v94
	s_delay_alu instid0(VALU_DEP_2)
	v_dual_cndmask_b32 v63, v61, v49 :: v_dual_cndmask_b32 v64, v62, v48
	ds_load_b64 v[61:62], v59
	v_cmp_eq_u32_e32 vcc_lo, 9, v94
	v_add_nc_u32_e32 v59, 8, v59
	v_cndmask_b32_e64 v63, v63, v51, s0
	v_cndmask_b32_e64 v64, v64, v50, s0
	v_cmp_eq_u32_e64 s0, 10, v94
	s_delay_alu instid0(VALU_DEP_2) | instskip(SKIP_1) | instid1(VALU_DEP_2)
	v_dual_cndmask_b32 v63, v63, v53 :: v_dual_cndmask_b32 v64, v64, v52
	v_cmp_eq_u32_e32 vcc_lo, 11, v94
	v_cndmask_b32_e64 v63, v63, v55, s0
	s_delay_alu instid0(VALU_DEP_3) | instskip(SKIP_1) | instid1(VALU_DEP_1)
	v_cndmask_b32_e64 v65, v64, v54, s0
	v_add_co_u32 v94, s0, v94, 1
	v_add_co_ci_u32_e64 v60, s0, 0, v60, s0
	s_delay_alu instid0(VALU_DEP_3) | instskip(SKIP_2) | instid1(VALU_DEP_2)
	v_dual_cndmask_b32 v64, v63, v57 :: v_dual_cndmask_b32 v63, v65, v56
	v_cmp_eq_u32_e32 vcc_lo, 0, v58
	s_waitcnt lgkmcnt(0)
	v_fma_f64 v[90:91], v[63:64], v[61:62], v[90:91]
	s_or_b32 s5, vcc_lo, s5
	s_delay_alu instid0(SALU_CYCLE_1)
	s_and_not1_b32 exec_lo, exec_lo, s5
	s_cbranch_execnz .LBB11_79
; %bb.80:
	s_or_b32 exec_lo, exec_lo, s5
.LBB11_81:
	s_delay_alu instid0(SALU_CYCLE_1)
	s_or_b32 exec_lo, exec_lo, s1
.LBB11_82:
	s_delay_alu instid0(SALU_CYCLE_1)
	s_or_b32 exec_lo, exec_lo, s4
	v_mov_b32_e32 v44, 0
	ds_load_b64 v[44:45], v44 offset:40
	s_waitcnt lgkmcnt(0)
	v_mul_f64 v[44:45], v[90:91], v[44:45]
.LBB11_83:
	s_or_b32 exec_lo, exec_lo, s3
	v_cmp_lt_u32_e64 s1, 4, v0
	ds_store_b64 v92, v[42:43]
	s_waitcnt lgkmcnt(0)
	s_barrier
	buffer_gl0_inv
	s_and_saveexec_b32 s4, s1
	s_cbranch_execz .LBB11_99
; %bb.84:
	s_and_not1_b32 vcc_lo, exec_lo, s12
	s_cbranch_vccnz .LBB11_86
; %bb.85:
	v_cmp_eq_u32_e32 vcc_lo, 1, v0
	v_dual_cndmask_b32 v90, v35, v37 :: v_dual_cndmask_b32 v91, v34, v36
	v_cmp_eq_u32_e32 vcc_lo, 2, v0
	s_delay_alu instid0(VALU_DEP_2) | instskip(SKIP_1) | instid1(VALU_DEP_2)
	v_dual_cndmask_b32 v90, v90, v39 :: v_dual_cndmask_b32 v91, v91, v38
	v_cmp_eq_u32_e32 vcc_lo, 3, v0
	v_dual_cndmask_b32 v90, v90, v41 :: v_dual_cndmask_b32 v91, v91, v40
	v_cmp_eq_u32_e32 vcc_lo, 4, v0
	s_delay_alu instid0(VALU_DEP_2) | instskip(SKIP_1) | instid1(VALU_DEP_2)
	v_dual_cndmask_b32 v90, v90, v43 :: v_dual_cndmask_b32 v91, v91, v42
	;; [unrolled: 5-line block ×3, first 2 shown]
	v_cmp_eq_u32_e32 vcc_lo, 7, v0
	v_dual_cndmask_b32 v90, v90, v49 :: v_dual_cndmask_b32 v91, v91, v48
	v_cmp_eq_u32_e32 vcc_lo, 8, v0
	s_delay_alu instid0(VALU_DEP_2) | instskip(SKIP_4) | instid1(VALU_DEP_2)
	v_dual_cndmask_b32 v93, v90, v51 :: v_dual_cndmask_b32 v94, v91, v50
	v_cmp_eq_u32_e32 vcc_lo, 9, v0
	ds_load_b64 v[90:91], v92
	v_dual_cndmask_b32 v93, v93, v53 :: v_dual_cndmask_b32 v94, v94, v52
	v_cmp_eq_u32_e32 vcc_lo, 10, v0
	v_cndmask_b32_e32 v93, v93, v55, vcc_lo
	s_delay_alu instid0(VALU_DEP_3) | instskip(SKIP_1) | instid1(VALU_DEP_2)
	v_cndmask_b32_e32 v95, v94, v54, vcc_lo
	v_cmp_eq_u32_e32 vcc_lo, 11, v0
	v_dual_cndmask_b32 v94, v93, v57 :: v_dual_cndmask_b32 v93, v95, v56
	s_waitcnt lgkmcnt(0)
	s_delay_alu instid0(VALU_DEP_1)
	v_mul_f64 v[90:91], v[93:94], v[90:91]
	s_cbranch_execz .LBB11_87
	s_branch .LBB11_88
.LBB11_86:
                                        ; implicit-def: $vgpr90_vgpr91
.LBB11_87:
	ds_load_b64 v[90:91], v92
.LBB11_88:
	s_and_saveexec_b32 s5, s2
	s_cbranch_execz .LBB11_98
; %bb.89:
	v_dual_mov_b32 v95, 5 :: v_dual_add_nc_u32 v94, -6, v0
	v_add_nc_u32_e32 v93, -5, v0
	s_mov_b32 s0, exec_lo
	s_delay_alu instid0(VALU_DEP_2)
	v_cmpx_lt_u32_e32 6, v94
	s_cbranch_execz .LBB11_93
; %bb.90:
	s_delay_alu instid0(VALU_DEP_2) | instskip(SKIP_3) | instid1(VALU_DEP_1)
	v_and_b32_e32 v94, -8, v93
	s_mov_b32 s6, 0
	s_mov_b64 s[2:3], 12
	s_movk_i32 s7, 0x88
	v_sub_nc_u32_e32 v94, 0, v94
.LBB11_91:                              ; =>This Inner Loop Header: Depth=1
	v_mov_b32_e32 v105, s7
	s_lshl_b32 s8, s2, 1
	s_delay_alu instid0(SALU_CYCLE_1)
	s_add_i32 m0, s8, -13
	v_movrels_b32_e32 v104, v34
	ds_load_2addr_b64 v[95:98], v105 offset1:1
	ds_load_2addr_b64 v[99:102], v105 offset0:2 offset1:3
	s_add_i32 m0, s8, -14
	v_movrels_b32_e32 v103, v34
	s_add_i32 m0, s8, -11
	s_waitcnt lgkmcnt(1)
	s_delay_alu instid0(VALU_DEP_1) | instskip(SKIP_4) | instid1(VALU_DEP_1)
	v_fma_f64 v[90:91], v[103:104], v[95:96], v[90:91]
	v_movrels_b32_e32 v96, v34
	s_add_i32 m0, s8, -12
	v_movrels_b32_e32 v95, v34
	s_add_i32 m0, s8, -9
	v_fma_f64 v[90:91], v[95:96], v[97:98], v[90:91]
	v_movrels_b32_e32 v96, v34
	s_add_i32 m0, s8, -10
	v_movrels_b32_e32 v95, v34
	s_add_i32 m0, s8, -7
	s_waitcnt lgkmcnt(0)
	s_delay_alu instid0(VALU_DEP_1)
	v_fma_f64 v[90:91], v[95:96], v[99:100], v[90:91]
	v_movrels_b32_e32 v96, v34
	s_add_i32 m0, s8, -8
	v_movrels_b32_e32 v95, v34
	s_add_i32 m0, s8, -5
	;; [unrolled: 2-line block ×4, first 2 shown]
	v_fma_f64 v[90:91], v[95:96], v[101:102], v[90:91]
	ds_load_2addr_b64 v[95:98], v105 offset0:4 offset1:5
	ds_load_2addr_b64 v[99:102], v105 offset0:6 offset1:7
	s_waitcnt lgkmcnt(1)
	v_fma_f64 v[90:91], v[103:104], v[95:96], v[90:91]
	v_movrels_b32_e32 v96, v34
	s_add_i32 m0, s8, -4
	v_movrels_b32_e32 v95, v34
	s_add_i32 m0, s8, -1
	s_delay_alu instid0(VALU_DEP_1)
	v_fma_f64 v[90:91], v[95:96], v[97:98], v[90:91]
	v_movrels_b32_e32 v96, v34
	s_add_i32 m0, s8, -2
	s_add_u32 s2, s2, 8
	v_movrels_b32_e32 v95, v34
	s_mov_b32 m0, s8
	s_addc_u32 s3, s3, 0
	s_add_i32 s8, s2, -7
	s_add_i32 s7, s7, 64
	s_waitcnt lgkmcnt(0)
	s_delay_alu instid0(VALU_DEP_3) | instskip(SKIP_2) | instid1(VALU_DEP_1)
	v_fma_f64 v[90:91], v[95:96], v[99:100], v[90:91]
	v_movrels_b32_e32 v96, v35
	v_movrels_b32_e32 v95, v34
	v_fma_f64 v[90:91], v[95:96], v[101:102], v[90:91]
	v_add_nc_u32_e32 v95, s2, v94
	s_delay_alu instid0(VALU_DEP_1) | instskip(SKIP_2) | instid1(SALU_CYCLE_1)
	v_cmp_eq_u32_e32 vcc_lo, 12, v95
	v_mov_b32_e32 v95, s8
	s_or_b32 s6, vcc_lo, s6
	s_and_not1_b32 exec_lo, exec_lo, s6
	s_cbranch_execnz .LBB11_91
; %bb.92:
	s_or_b32 exec_lo, exec_lo, s6
.LBB11_93:
	s_delay_alu instid0(SALU_CYCLE_1) | instskip(SKIP_3) | instid1(VALU_DEP_1)
	s_or_b32 exec_lo, exec_lo, s0
	v_and_b32_e32 v58, 7, v93
	s_mov_b32 s3, 0
	s_mov_b32 s2, exec_lo
	v_cmpx_ne_u32_e32 0, v58
	s_cbranch_execz .LBB11_97
; %bb.94:
	v_lshl_add_u32 v59, v95, 3, 0x60
	v_mov_b32_e32 v60, 0
.LBB11_95:                              ; =>This Inner Loop Header: Depth=1
	v_cmp_eq_u32_e32 vcc_lo, 1, v95
	v_cmp_eq_u32_e64 s0, 2, v95
	v_dual_cndmask_b32 v61, v35, v37 :: v_dual_add_nc_u32 v58, -1, v58
	v_cndmask_b32_e32 v62, v34, v36, vcc_lo
	v_cmp_eq_u32_e32 vcc_lo, 3, v95
	s_delay_alu instid0(VALU_DEP_3) | instskip(NEXT) | instid1(VALU_DEP_3)
	v_cndmask_b32_e64 v61, v61, v39, s0
	v_cndmask_b32_e64 v62, v62, v38, s0
	v_cmp_eq_u32_e64 s0, 4, v95
	s_delay_alu instid0(VALU_DEP_2) | instskip(SKIP_1) | instid1(VALU_DEP_2)
	v_dual_cndmask_b32 v61, v61, v41 :: v_dual_cndmask_b32 v62, v62, v40
	v_cmp_eq_u32_e32 vcc_lo, 5, v95
	v_cndmask_b32_e64 v61, v61, v43, s0
	s_delay_alu instid0(VALU_DEP_3) | instskip(SKIP_1) | instid1(VALU_DEP_2)
	v_cndmask_b32_e64 v62, v62, v42, s0
	v_cmp_eq_u32_e64 s0, 6, v95
	v_dual_cndmask_b32 v61, v61, v45 :: v_dual_cndmask_b32 v62, v62, v44
	v_cmp_eq_u32_e32 vcc_lo, 7, v95
	s_delay_alu instid0(VALU_DEP_2) | instskip(NEXT) | instid1(VALU_DEP_3)
	v_cndmask_b32_e64 v61, v61, v47, s0
	v_cndmask_b32_e64 v62, v62, v46, s0
	v_cmp_eq_u32_e64 s0, 8, v95
	s_delay_alu instid0(VALU_DEP_2)
	v_dual_cndmask_b32 v63, v61, v49 :: v_dual_cndmask_b32 v64, v62, v48
	ds_load_b64 v[61:62], v59
	v_cmp_eq_u32_e32 vcc_lo, 9, v95
	v_add_nc_u32_e32 v59, 8, v59
	v_cndmask_b32_e64 v63, v63, v51, s0
	v_cndmask_b32_e64 v64, v64, v50, s0
	v_cmp_eq_u32_e64 s0, 10, v95
	s_delay_alu instid0(VALU_DEP_2) | instskip(SKIP_1) | instid1(VALU_DEP_2)
	v_dual_cndmask_b32 v63, v63, v53 :: v_dual_cndmask_b32 v64, v64, v52
	v_cmp_eq_u32_e32 vcc_lo, 11, v95
	v_cndmask_b32_e64 v63, v63, v55, s0
	s_delay_alu instid0(VALU_DEP_3) | instskip(SKIP_1) | instid1(VALU_DEP_1)
	v_cndmask_b32_e64 v65, v64, v54, s0
	v_add_co_u32 v95, s0, v95, 1
	v_add_co_ci_u32_e64 v60, s0, 0, v60, s0
	s_delay_alu instid0(VALU_DEP_3) | instskip(SKIP_2) | instid1(VALU_DEP_2)
	v_dual_cndmask_b32 v64, v63, v57 :: v_dual_cndmask_b32 v63, v65, v56
	v_cmp_eq_u32_e32 vcc_lo, 0, v58
	s_waitcnt lgkmcnt(0)
	v_fma_f64 v[90:91], v[63:64], v[61:62], v[90:91]
	s_or_b32 s3, vcc_lo, s3
	s_delay_alu instid0(SALU_CYCLE_1)
	s_and_not1_b32 exec_lo, exec_lo, s3
	s_cbranch_execnz .LBB11_95
; %bb.96:
	s_or_b32 exec_lo, exec_lo, s3
.LBB11_97:
	s_delay_alu instid0(SALU_CYCLE_1)
	s_or_b32 exec_lo, exec_lo, s2
.LBB11_98:
	s_delay_alu instid0(SALU_CYCLE_1)
	s_or_b32 exec_lo, exec_lo, s5
	v_mov_b32_e32 v42, 0
	ds_load_b64 v[42:43], v42 offset:32
	s_waitcnt lgkmcnt(0)
	v_mul_f64 v[42:43], v[90:91], v[42:43]
.LBB11_99:
	s_or_b32 exec_lo, exec_lo, s4
	v_cmp_lt_u32_e64 s0, 3, v0
	ds_store_b64 v92, v[40:41]
	s_waitcnt lgkmcnt(0)
	s_barrier
	buffer_gl0_inv
	s_and_saveexec_b32 s4, s0
	s_cbranch_execz .LBB11_115
; %bb.100:
	s_and_not1_b32 vcc_lo, exec_lo, s12
	s_cbranch_vccnz .LBB11_102
; %bb.101:
	v_cmp_eq_u32_e32 vcc_lo, 1, v0
	v_dual_cndmask_b32 v90, v35, v37 :: v_dual_cndmask_b32 v91, v34, v36
	v_cmp_eq_u32_e32 vcc_lo, 2, v0
	s_delay_alu instid0(VALU_DEP_2) | instskip(SKIP_1) | instid1(VALU_DEP_2)
	v_dual_cndmask_b32 v90, v90, v39 :: v_dual_cndmask_b32 v91, v91, v38
	v_cmp_eq_u32_e32 vcc_lo, 3, v0
	v_dual_cndmask_b32 v90, v90, v41 :: v_dual_cndmask_b32 v91, v91, v40
	v_cmp_eq_u32_e32 vcc_lo, 4, v0
	s_delay_alu instid0(VALU_DEP_2) | instskip(SKIP_1) | instid1(VALU_DEP_2)
	v_dual_cndmask_b32 v90, v90, v43 :: v_dual_cndmask_b32 v91, v91, v42
	;; [unrolled: 5-line block ×3, first 2 shown]
	v_cmp_eq_u32_e32 vcc_lo, 7, v0
	v_dual_cndmask_b32 v90, v90, v49 :: v_dual_cndmask_b32 v91, v91, v48
	v_cmp_eq_u32_e32 vcc_lo, 8, v0
	s_delay_alu instid0(VALU_DEP_2) | instskip(SKIP_4) | instid1(VALU_DEP_2)
	v_dual_cndmask_b32 v93, v90, v51 :: v_dual_cndmask_b32 v94, v91, v50
	v_cmp_eq_u32_e32 vcc_lo, 9, v0
	ds_load_b64 v[90:91], v92
	v_dual_cndmask_b32 v93, v93, v53 :: v_dual_cndmask_b32 v94, v94, v52
	v_cmp_eq_u32_e32 vcc_lo, 10, v0
	v_cndmask_b32_e32 v93, v93, v55, vcc_lo
	s_delay_alu instid0(VALU_DEP_3) | instskip(SKIP_1) | instid1(VALU_DEP_2)
	v_cndmask_b32_e32 v95, v94, v54, vcc_lo
	v_cmp_eq_u32_e32 vcc_lo, 11, v0
	v_dual_cndmask_b32 v94, v93, v57 :: v_dual_cndmask_b32 v93, v95, v56
	s_waitcnt lgkmcnt(0)
	s_delay_alu instid0(VALU_DEP_1)
	v_mul_f64 v[90:91], v[93:94], v[90:91]
	s_cbranch_execz .LBB11_103
	s_branch .LBB11_104
.LBB11_102:
                                        ; implicit-def: $vgpr90_vgpr91
.LBB11_103:
	ds_load_b64 v[90:91], v92
.LBB11_104:
	s_and_saveexec_b32 s5, s1
	s_cbranch_execz .LBB11_114
; %bb.105:
	v_dual_mov_b32 v95, 4 :: v_dual_add_nc_u32 v94, -5, v0
	v_add_nc_u32_e32 v93, -4, v0
	s_mov_b32 s1, exec_lo
	s_delay_alu instid0(VALU_DEP_2)
	v_cmpx_lt_u32_e32 6, v94
	s_cbranch_execz .LBB11_109
; %bb.106:
	s_delay_alu instid0(VALU_DEP_2) | instskip(SKIP_3) | instid1(VALU_DEP_1)
	v_and_b32_e32 v94, -8, v93
	s_mov_b32 s6, 0
	s_mov_b64 s[2:3], 5
	s_movk_i32 s7, 0x80
	v_sub_nc_u32_e32 v94, 0, v94
.LBB11_107:                             ; =>This Inner Loop Header: Depth=1
	v_mov_b32_e32 v105, s7
	s_lshl_b32 s8, s2, 1
	s_delay_alu instid0(SALU_CYCLE_1)
	s_add_i32 m0, s8, -1
	s_add_i32 s9, s8, 3
	ds_load_b128 v[95:98], v105
	ds_load_b128 v[99:102], v105 offset:16
	v_movrels_b32_e32 v104, v34
	s_add_i32 m0, s8, -2
	s_add_i32 s10, s8, 2
	v_movrels_b32_e32 v103, v34
	s_mov_b32 m0, s8
	s_waitcnt lgkmcnt(1)
	s_delay_alu instid0(VALU_DEP_1) | instskip(SKIP_4) | instid1(VALU_DEP_1)
	v_fma_f64 v[90:91], v[103:104], v[95:96], v[90:91]
	v_movrels_b32_e32 v96, v35
	v_movrels_b32_e32 v95, v34
	s_mov_b32 m0, s9
	s_add_i32 s9, s8, 5
	v_fma_f64 v[90:91], v[95:96], v[97:98], v[90:91]
	v_movrels_b32_e32 v96, v34
	s_mov_b32 m0, s10
	s_add_i32 s10, s8, 4
	v_movrels_b32_e32 v95, v34
	s_mov_b32 m0, s9
	s_add_i32 s9, s8, 7
	s_waitcnt lgkmcnt(0)
	s_delay_alu instid0(VALU_DEP_1)
	v_fma_f64 v[90:91], v[95:96], v[99:100], v[90:91]
	v_movrels_b32_e32 v96, v34
	s_mov_b32 m0, s10
	s_add_i32 s10, s8, 6
	v_movrels_b32_e32 v95, v34
	s_mov_b32 m0, s9
	s_add_i32 s9, s8, 9
	;; [unrolled: 3-line block ×4, first 2 shown]
	v_fma_f64 v[90:91], v[95:96], v[101:102], v[90:91]
	ds_load_b128 v[95:98], v105 offset:32
	ds_load_b128 v[99:102], v105 offset:48
	s_waitcnt lgkmcnt(1)
	v_fma_f64 v[90:91], v[103:104], v[95:96], v[90:91]
	v_movrels_b32_e32 v96, v34
	s_mov_b32 m0, s10
	s_add_i32 s10, s8, 10
	v_movrels_b32_e32 v95, v34
	s_mov_b32 m0, s9
	s_add_i32 s9, s8, 13
	s_add_i32 s8, s8, 12
	s_add_u32 s2, s2, 8
	s_addc_u32 s3, s3, 0
	s_add_i32 s7, s7, 64
	s_delay_alu instid0(VALU_DEP_3)
	v_fma_f64 v[90:91], v[95:96], v[97:98], v[90:91]
	v_movrels_b32_e32 v96, v34
	s_mov_b32 m0, s10
	v_movrels_b32_e32 v95, v34
	s_mov_b32 m0, s9
	s_waitcnt lgkmcnt(0)
	s_delay_alu instid0(VALU_DEP_1) | instskip(SKIP_4) | instid1(VALU_DEP_1)
	v_fma_f64 v[90:91], v[95:96], v[99:100], v[90:91]
	v_movrels_b32_e32 v96, v34
	s_mov_b32 m0, s8
	s_add_i32 s8, s2, -1
	v_movrels_b32_e32 v95, v34
	v_fma_f64 v[90:91], v[95:96], v[101:102], v[90:91]
	v_add_nc_u32_e32 v95, s2, v94
	s_delay_alu instid0(VALU_DEP_1) | instskip(SKIP_2) | instid1(SALU_CYCLE_1)
	v_cmp_eq_u32_e32 vcc_lo, 5, v95
	v_mov_b32_e32 v95, s8
	s_or_b32 s6, vcc_lo, s6
	s_and_not1_b32 exec_lo, exec_lo, s6
	s_cbranch_execnz .LBB11_107
; %bb.108:
	s_or_b32 exec_lo, exec_lo, s6
.LBB11_109:
	s_delay_alu instid0(SALU_CYCLE_1) | instskip(SKIP_3) | instid1(VALU_DEP_1)
	s_or_b32 exec_lo, exec_lo, s1
	v_and_b32_e32 v58, 7, v93
	s_mov_b32 s3, 0
	s_mov_b32 s2, exec_lo
	v_cmpx_ne_u32_e32 0, v58
	s_cbranch_execz .LBB11_113
; %bb.110:
	v_lshl_add_u32 v59, v95, 3, 0x60
	v_mov_b32_e32 v60, 0
.LBB11_111:                             ; =>This Inner Loop Header: Depth=1
	v_cmp_eq_u32_e32 vcc_lo, 1, v95
	v_cmp_eq_u32_e64 s1, 2, v95
	v_dual_cndmask_b32 v61, v35, v37 :: v_dual_add_nc_u32 v58, -1, v58
	v_cndmask_b32_e32 v62, v34, v36, vcc_lo
	v_cmp_eq_u32_e32 vcc_lo, 3, v95
	s_delay_alu instid0(VALU_DEP_3) | instskip(NEXT) | instid1(VALU_DEP_3)
	v_cndmask_b32_e64 v61, v61, v39, s1
	v_cndmask_b32_e64 v62, v62, v38, s1
	v_cmp_eq_u32_e64 s1, 4, v95
	s_delay_alu instid0(VALU_DEP_2) | instskip(SKIP_1) | instid1(VALU_DEP_2)
	v_dual_cndmask_b32 v61, v61, v41 :: v_dual_cndmask_b32 v62, v62, v40
	v_cmp_eq_u32_e32 vcc_lo, 5, v95
	v_cndmask_b32_e64 v61, v61, v43, s1
	s_delay_alu instid0(VALU_DEP_3) | instskip(SKIP_1) | instid1(VALU_DEP_2)
	v_cndmask_b32_e64 v62, v62, v42, s1
	v_cmp_eq_u32_e64 s1, 6, v95
	v_dual_cndmask_b32 v61, v61, v45 :: v_dual_cndmask_b32 v62, v62, v44
	v_cmp_eq_u32_e32 vcc_lo, 7, v95
	s_delay_alu instid0(VALU_DEP_2) | instskip(NEXT) | instid1(VALU_DEP_3)
	v_cndmask_b32_e64 v61, v61, v47, s1
	v_cndmask_b32_e64 v62, v62, v46, s1
	v_cmp_eq_u32_e64 s1, 8, v95
	s_delay_alu instid0(VALU_DEP_2)
	v_dual_cndmask_b32 v63, v61, v49 :: v_dual_cndmask_b32 v64, v62, v48
	ds_load_b64 v[61:62], v59
	v_cmp_eq_u32_e32 vcc_lo, 9, v95
	v_add_nc_u32_e32 v59, 8, v59
	v_cndmask_b32_e64 v63, v63, v51, s1
	v_cndmask_b32_e64 v64, v64, v50, s1
	v_cmp_eq_u32_e64 s1, 10, v95
	s_delay_alu instid0(VALU_DEP_2) | instskip(SKIP_1) | instid1(VALU_DEP_2)
	v_dual_cndmask_b32 v63, v63, v53 :: v_dual_cndmask_b32 v64, v64, v52
	v_cmp_eq_u32_e32 vcc_lo, 11, v95
	v_cndmask_b32_e64 v63, v63, v55, s1
	s_delay_alu instid0(VALU_DEP_3) | instskip(SKIP_1) | instid1(VALU_DEP_1)
	v_cndmask_b32_e64 v65, v64, v54, s1
	v_add_co_u32 v95, s1, v95, 1
	v_add_co_ci_u32_e64 v60, s1, 0, v60, s1
	s_delay_alu instid0(VALU_DEP_3) | instskip(SKIP_2) | instid1(VALU_DEP_2)
	v_dual_cndmask_b32 v64, v63, v57 :: v_dual_cndmask_b32 v63, v65, v56
	v_cmp_eq_u32_e32 vcc_lo, 0, v58
	s_waitcnt lgkmcnt(0)
	v_fma_f64 v[90:91], v[63:64], v[61:62], v[90:91]
	s_or_b32 s3, vcc_lo, s3
	s_delay_alu instid0(SALU_CYCLE_1)
	s_and_not1_b32 exec_lo, exec_lo, s3
	s_cbranch_execnz .LBB11_111
; %bb.112:
	s_or_b32 exec_lo, exec_lo, s3
.LBB11_113:
	s_delay_alu instid0(SALU_CYCLE_1)
	s_or_b32 exec_lo, exec_lo, s2
.LBB11_114:
	s_delay_alu instid0(SALU_CYCLE_1)
	s_or_b32 exec_lo, exec_lo, s5
	v_mov_b32_e32 v40, 0
	ds_load_b64 v[40:41], v40 offset:24
	s_waitcnt lgkmcnt(0)
	v_mul_f64 v[40:41], v[90:91], v[40:41]
.LBB11_115:
	s_or_b32 exec_lo, exec_lo, s4
	v_cmp_lt_u32_e64 s1, 2, v0
	ds_store_b64 v92, v[38:39]
	s_waitcnt lgkmcnt(0)
	s_barrier
	buffer_gl0_inv
	s_and_saveexec_b32 s4, s1
	s_cbranch_execz .LBB11_131
; %bb.116:
	s_and_not1_b32 vcc_lo, exec_lo, s12
	s_cbranch_vccnz .LBB11_118
; %bb.117:
	v_cmp_eq_u32_e32 vcc_lo, 1, v0
	v_dual_cndmask_b32 v90, v35, v37 :: v_dual_cndmask_b32 v91, v34, v36
	v_cmp_eq_u32_e32 vcc_lo, 2, v0
	s_delay_alu instid0(VALU_DEP_2) | instskip(SKIP_1) | instid1(VALU_DEP_2)
	v_dual_cndmask_b32 v90, v90, v39 :: v_dual_cndmask_b32 v91, v91, v38
	v_cmp_eq_u32_e32 vcc_lo, 3, v0
	v_dual_cndmask_b32 v90, v90, v41 :: v_dual_cndmask_b32 v91, v91, v40
	v_cmp_eq_u32_e32 vcc_lo, 4, v0
	s_delay_alu instid0(VALU_DEP_2) | instskip(SKIP_1) | instid1(VALU_DEP_2)
	v_dual_cndmask_b32 v90, v90, v43 :: v_dual_cndmask_b32 v91, v91, v42
	;; [unrolled: 5-line block ×3, first 2 shown]
	v_cmp_eq_u32_e32 vcc_lo, 7, v0
	v_dual_cndmask_b32 v90, v90, v49 :: v_dual_cndmask_b32 v91, v91, v48
	v_cmp_eq_u32_e32 vcc_lo, 8, v0
	s_delay_alu instid0(VALU_DEP_2) | instskip(SKIP_4) | instid1(VALU_DEP_2)
	v_dual_cndmask_b32 v93, v90, v51 :: v_dual_cndmask_b32 v94, v91, v50
	v_cmp_eq_u32_e32 vcc_lo, 9, v0
	ds_load_b64 v[90:91], v92
	v_dual_cndmask_b32 v93, v93, v53 :: v_dual_cndmask_b32 v94, v94, v52
	v_cmp_eq_u32_e32 vcc_lo, 10, v0
	v_cndmask_b32_e32 v93, v93, v55, vcc_lo
	s_delay_alu instid0(VALU_DEP_3) | instskip(SKIP_1) | instid1(VALU_DEP_2)
	v_cndmask_b32_e32 v95, v94, v54, vcc_lo
	v_cmp_eq_u32_e32 vcc_lo, 11, v0
	v_dual_cndmask_b32 v94, v93, v57 :: v_dual_cndmask_b32 v93, v95, v56
	s_waitcnt lgkmcnt(0)
	s_delay_alu instid0(VALU_DEP_1)
	v_mul_f64 v[90:91], v[93:94], v[90:91]
	s_cbranch_execz .LBB11_119
	s_branch .LBB11_120
.LBB11_118:
                                        ; implicit-def: $vgpr90_vgpr91
.LBB11_119:
	ds_load_b64 v[90:91], v92
.LBB11_120:
	s_and_saveexec_b32 s5, s0
	s_cbranch_execz .LBB11_130
; %bb.121:
	v_dual_mov_b32 v95, 3 :: v_dual_add_nc_u32 v94, -4, v0
	v_add_nc_u32_e32 v93, -3, v0
	s_mov_b32 s0, exec_lo
	s_delay_alu instid0(VALU_DEP_2)
	v_cmpx_lt_u32_e32 6, v94
	s_cbranch_execz .LBB11_125
; %bb.122:
	s_delay_alu instid0(VALU_DEP_2) | instskip(SKIP_3) | instid1(VALU_DEP_1)
	v_and_b32_e32 v94, -8, v93
	s_mov_b32 s6, 0
	s_mov_b64 s[2:3], 10
	s_movk_i32 s7, 0x78
	v_sub_nc_u32_e32 v94, 0, v94
.LBB11_123:                             ; =>This Inner Loop Header: Depth=1
	v_mov_b32_e32 v105, s7
	s_lshl_b32 s8, s2, 1
	s_delay_alu instid0(SALU_CYCLE_1)
	s_add_i32 m0, s8, -13
	v_movrels_b32_e32 v104, v34
	ds_load_2addr_b64 v[95:98], v105 offset1:1
	ds_load_2addr_b64 v[99:102], v105 offset0:2 offset1:3
	s_add_i32 m0, s8, -14
	v_movrels_b32_e32 v103, v34
	s_add_i32 m0, s8, -11
	s_waitcnt lgkmcnt(1)
	s_delay_alu instid0(VALU_DEP_1) | instskip(SKIP_4) | instid1(VALU_DEP_1)
	v_fma_f64 v[90:91], v[103:104], v[95:96], v[90:91]
	v_movrels_b32_e32 v96, v34
	s_add_i32 m0, s8, -12
	v_movrels_b32_e32 v95, v34
	s_add_i32 m0, s8, -9
	v_fma_f64 v[90:91], v[95:96], v[97:98], v[90:91]
	v_movrels_b32_e32 v96, v34
	s_add_i32 m0, s8, -10
	v_movrels_b32_e32 v95, v34
	s_add_i32 m0, s8, -7
	s_waitcnt lgkmcnt(0)
	s_delay_alu instid0(VALU_DEP_1)
	v_fma_f64 v[90:91], v[95:96], v[99:100], v[90:91]
	v_movrels_b32_e32 v96, v34
	s_add_i32 m0, s8, -8
	v_movrels_b32_e32 v95, v34
	s_add_i32 m0, s8, -5
	;; [unrolled: 2-line block ×4, first 2 shown]
	v_fma_f64 v[90:91], v[95:96], v[101:102], v[90:91]
	ds_load_2addr_b64 v[95:98], v105 offset0:4 offset1:5
	ds_load_2addr_b64 v[99:102], v105 offset0:6 offset1:7
	s_waitcnt lgkmcnt(1)
	v_fma_f64 v[90:91], v[103:104], v[95:96], v[90:91]
	v_movrels_b32_e32 v96, v34
	s_add_i32 m0, s8, -4
	v_movrels_b32_e32 v95, v34
	s_add_i32 m0, s8, -1
	s_delay_alu instid0(VALU_DEP_1)
	v_fma_f64 v[90:91], v[95:96], v[97:98], v[90:91]
	v_movrels_b32_e32 v96, v34
	s_add_i32 m0, s8, -2
	s_add_u32 s2, s2, 8
	v_movrels_b32_e32 v95, v34
	s_mov_b32 m0, s8
	s_addc_u32 s3, s3, 0
	s_add_i32 s8, s2, -7
	s_add_i32 s7, s7, 64
	s_waitcnt lgkmcnt(0)
	s_delay_alu instid0(VALU_DEP_3) | instskip(SKIP_2) | instid1(VALU_DEP_1)
	v_fma_f64 v[90:91], v[95:96], v[99:100], v[90:91]
	v_movrels_b32_e32 v96, v35
	v_movrels_b32_e32 v95, v34
	v_fma_f64 v[90:91], v[95:96], v[101:102], v[90:91]
	v_add_nc_u32_e32 v95, s2, v94
	s_delay_alu instid0(VALU_DEP_1) | instskip(SKIP_2) | instid1(SALU_CYCLE_1)
	v_cmp_eq_u32_e32 vcc_lo, 10, v95
	v_mov_b32_e32 v95, s8
	s_or_b32 s6, vcc_lo, s6
	s_and_not1_b32 exec_lo, exec_lo, s6
	s_cbranch_execnz .LBB11_123
; %bb.124:
	s_or_b32 exec_lo, exec_lo, s6
.LBB11_125:
	s_delay_alu instid0(SALU_CYCLE_1) | instskip(SKIP_3) | instid1(VALU_DEP_1)
	s_or_b32 exec_lo, exec_lo, s0
	v_and_b32_e32 v58, 7, v93
	s_mov_b32 s3, 0
	s_mov_b32 s2, exec_lo
	v_cmpx_ne_u32_e32 0, v58
	s_cbranch_execz .LBB11_129
; %bb.126:
	v_lshl_add_u32 v59, v95, 3, 0x60
	v_mov_b32_e32 v60, 0
.LBB11_127:                             ; =>This Inner Loop Header: Depth=1
	v_cmp_eq_u32_e32 vcc_lo, 1, v95
	v_cmp_eq_u32_e64 s0, 2, v95
	v_dual_cndmask_b32 v61, v35, v37 :: v_dual_add_nc_u32 v58, -1, v58
	v_cndmask_b32_e32 v62, v34, v36, vcc_lo
	v_cmp_eq_u32_e32 vcc_lo, 3, v95
	s_delay_alu instid0(VALU_DEP_3) | instskip(NEXT) | instid1(VALU_DEP_3)
	v_cndmask_b32_e64 v61, v61, v39, s0
	v_cndmask_b32_e64 v62, v62, v38, s0
	v_cmp_eq_u32_e64 s0, 4, v95
	s_delay_alu instid0(VALU_DEP_2) | instskip(SKIP_1) | instid1(VALU_DEP_2)
	v_dual_cndmask_b32 v61, v61, v41 :: v_dual_cndmask_b32 v62, v62, v40
	v_cmp_eq_u32_e32 vcc_lo, 5, v95
	v_cndmask_b32_e64 v61, v61, v43, s0
	s_delay_alu instid0(VALU_DEP_3) | instskip(SKIP_1) | instid1(VALU_DEP_2)
	v_cndmask_b32_e64 v62, v62, v42, s0
	v_cmp_eq_u32_e64 s0, 6, v95
	v_dual_cndmask_b32 v61, v61, v45 :: v_dual_cndmask_b32 v62, v62, v44
	v_cmp_eq_u32_e32 vcc_lo, 7, v95
	s_delay_alu instid0(VALU_DEP_2) | instskip(NEXT) | instid1(VALU_DEP_3)
	v_cndmask_b32_e64 v61, v61, v47, s0
	v_cndmask_b32_e64 v62, v62, v46, s0
	v_cmp_eq_u32_e64 s0, 8, v95
	s_delay_alu instid0(VALU_DEP_2)
	v_dual_cndmask_b32 v63, v61, v49 :: v_dual_cndmask_b32 v64, v62, v48
	ds_load_b64 v[61:62], v59
	v_cmp_eq_u32_e32 vcc_lo, 9, v95
	v_add_nc_u32_e32 v59, 8, v59
	v_cndmask_b32_e64 v63, v63, v51, s0
	v_cndmask_b32_e64 v64, v64, v50, s0
	v_cmp_eq_u32_e64 s0, 10, v95
	s_delay_alu instid0(VALU_DEP_2) | instskip(SKIP_1) | instid1(VALU_DEP_2)
	v_dual_cndmask_b32 v63, v63, v53 :: v_dual_cndmask_b32 v64, v64, v52
	v_cmp_eq_u32_e32 vcc_lo, 11, v95
	v_cndmask_b32_e64 v63, v63, v55, s0
	s_delay_alu instid0(VALU_DEP_3) | instskip(SKIP_1) | instid1(VALU_DEP_1)
	v_cndmask_b32_e64 v65, v64, v54, s0
	v_add_co_u32 v95, s0, v95, 1
	v_add_co_ci_u32_e64 v60, s0, 0, v60, s0
	s_delay_alu instid0(VALU_DEP_3) | instskip(SKIP_2) | instid1(VALU_DEP_2)
	v_dual_cndmask_b32 v64, v63, v57 :: v_dual_cndmask_b32 v63, v65, v56
	v_cmp_eq_u32_e32 vcc_lo, 0, v58
	s_waitcnt lgkmcnt(0)
	v_fma_f64 v[90:91], v[63:64], v[61:62], v[90:91]
	s_or_b32 s3, vcc_lo, s3
	s_delay_alu instid0(SALU_CYCLE_1)
	s_and_not1_b32 exec_lo, exec_lo, s3
	s_cbranch_execnz .LBB11_127
; %bb.128:
	s_or_b32 exec_lo, exec_lo, s3
.LBB11_129:
	s_delay_alu instid0(SALU_CYCLE_1)
	s_or_b32 exec_lo, exec_lo, s2
.LBB11_130:
	s_delay_alu instid0(SALU_CYCLE_1)
	s_or_b32 exec_lo, exec_lo, s5
	v_mov_b32_e32 v38, 0
	ds_load_b64 v[38:39], v38 offset:16
	s_waitcnt lgkmcnt(0)
	v_mul_f64 v[38:39], v[90:91], v[38:39]
.LBB11_131:
	s_or_b32 exec_lo, exec_lo, s4
	v_cmp_lt_u32_e64 s0, 1, v0
	ds_store_b64 v92, v[36:37]
	s_waitcnt lgkmcnt(0)
	s_barrier
	buffer_gl0_inv
	s_and_saveexec_b32 s4, s0
	s_cbranch_execz .LBB11_147
; %bb.132:
	s_and_not1_b32 vcc_lo, exec_lo, s12
	s_cbranch_vccnz .LBB11_134
; %bb.133:
	v_cmp_eq_u32_e32 vcc_lo, 1, v0
	v_dual_cndmask_b32 v90, v35, v37 :: v_dual_cndmask_b32 v91, v34, v36
	v_cmp_eq_u32_e32 vcc_lo, 2, v0
	s_delay_alu instid0(VALU_DEP_2) | instskip(SKIP_1) | instid1(VALU_DEP_2)
	v_dual_cndmask_b32 v90, v90, v39 :: v_dual_cndmask_b32 v91, v91, v38
	v_cmp_eq_u32_e32 vcc_lo, 3, v0
	v_dual_cndmask_b32 v90, v90, v41 :: v_dual_cndmask_b32 v91, v91, v40
	v_cmp_eq_u32_e32 vcc_lo, 4, v0
	s_delay_alu instid0(VALU_DEP_2) | instskip(SKIP_1) | instid1(VALU_DEP_2)
	v_dual_cndmask_b32 v90, v90, v43 :: v_dual_cndmask_b32 v91, v91, v42
	;; [unrolled: 5-line block ×3, first 2 shown]
	v_cmp_eq_u32_e32 vcc_lo, 7, v0
	v_dual_cndmask_b32 v90, v90, v49 :: v_dual_cndmask_b32 v91, v91, v48
	v_cmp_eq_u32_e32 vcc_lo, 8, v0
	s_delay_alu instid0(VALU_DEP_2) | instskip(SKIP_4) | instid1(VALU_DEP_2)
	v_dual_cndmask_b32 v93, v90, v51 :: v_dual_cndmask_b32 v94, v91, v50
	v_cmp_eq_u32_e32 vcc_lo, 9, v0
	ds_load_b64 v[90:91], v92
	v_dual_cndmask_b32 v93, v93, v53 :: v_dual_cndmask_b32 v94, v94, v52
	v_cmp_eq_u32_e32 vcc_lo, 10, v0
	v_cndmask_b32_e32 v93, v93, v55, vcc_lo
	s_delay_alu instid0(VALU_DEP_3) | instskip(SKIP_1) | instid1(VALU_DEP_2)
	v_cndmask_b32_e32 v95, v94, v54, vcc_lo
	v_cmp_eq_u32_e32 vcc_lo, 11, v0
	v_dual_cndmask_b32 v94, v93, v57 :: v_dual_cndmask_b32 v93, v95, v56
	s_waitcnt lgkmcnt(0)
	s_delay_alu instid0(VALU_DEP_1)
	v_mul_f64 v[90:91], v[93:94], v[90:91]
	s_cbranch_execz .LBB11_135
	s_branch .LBB11_136
.LBB11_134:
                                        ; implicit-def: $vgpr90_vgpr91
.LBB11_135:
	ds_load_b64 v[90:91], v92
.LBB11_136:
	s_and_saveexec_b32 s5, s1
	s_cbranch_execz .LBB11_146
; %bb.137:
	v_add_nc_u32_e32 v94, -3, v0
	v_add_nc_u32_e32 v93, -2, v0
	s_delay_alu instid0(VALU_DEP_2)
	v_cmp_lt_u32_e32 vcc_lo, 6, v94
	v_mov_b32_e32 v94, 2
	s_and_saveexec_b32 s1, vcc_lo
	s_cbranch_execz .LBB11_141
; %bb.138:
	v_and_b32_e32 v94, -8, v93
	s_mov_b32 s6, 0
	s_mov_b64 s[2:3], 9
	s_movk_i32 s7, 0x70
	s_delay_alu instid0(VALU_DEP_1)
	v_sub_nc_u32_e32 v95, 0, v94
.LBB11_139:                             ; =>This Inner Loop Header: Depth=1
	v_mov_b32_e32 v94, s7
	s_lshl_b32 s8, s2, 1
	s_delay_alu instid0(SALU_CYCLE_1)
	s_add_i32 m0, s8, -13
	v_movrels_b32_e32 v105, v34
	ds_load_b128 v[96:99], v94
	ds_load_b128 v[100:103], v94 offset:16
	s_add_i32 m0, s8, -14
	v_movrels_b32_e32 v104, v34
	s_add_i32 m0, s8, -11
	s_waitcnt lgkmcnt(1)
	s_delay_alu instid0(VALU_DEP_1) | instskip(SKIP_4) | instid1(VALU_DEP_1)
	v_fma_f64 v[90:91], v[104:105], v[96:97], v[90:91]
	v_movrels_b32_e32 v97, v34
	s_add_i32 m0, s8, -12
	v_movrels_b32_e32 v96, v34
	s_add_i32 m0, s8, -9
	v_fma_f64 v[90:91], v[96:97], v[98:99], v[90:91]
	v_movrels_b32_e32 v97, v34
	s_add_i32 m0, s8, -10
	v_movrels_b32_e32 v96, v34
	s_add_i32 m0, s8, -7
	s_waitcnt lgkmcnt(0)
	s_delay_alu instid0(VALU_DEP_1)
	v_fma_f64 v[90:91], v[96:97], v[100:101], v[90:91]
	v_movrels_b32_e32 v97, v34
	s_add_i32 m0, s8, -8
	v_movrels_b32_e32 v96, v34
	s_add_i32 m0, s8, -5
	v_movrels_b32_e32 v105, v34
	s_add_i32 m0, s8, -6
	v_movrels_b32_e32 v104, v34
	s_add_i32 m0, s8, -3
	v_fma_f64 v[90:91], v[96:97], v[102:103], v[90:91]
	ds_load_b128 v[96:99], v94 offset:32
	ds_load_b128 v[100:103], v94 offset:48
	s_waitcnt lgkmcnt(1)
	v_fma_f64 v[90:91], v[104:105], v[96:97], v[90:91]
	v_movrels_b32_e32 v97, v34
	s_add_i32 m0, s8, -4
	v_movrels_b32_e32 v96, v34
	s_add_i32 m0, s8, -1
	s_delay_alu instid0(VALU_DEP_1)
	v_fma_f64 v[90:91], v[96:97], v[98:99], v[90:91]
	v_movrels_b32_e32 v97, v34
	s_add_i32 m0, s8, -2
	s_add_u32 s2, s2, 8
	v_movrels_b32_e32 v96, v34
	s_mov_b32 m0, s8
	v_add_nc_u32_e32 v94, s2, v95
	s_addc_u32 s3, s3, 0
	s_add_i32 s8, s2, -7
	s_add_i32 s7, s7, 64
	s_delay_alu instid0(VALU_DEP_1)
	v_cmp_eq_u32_e32 vcc_lo, 9, v94
	v_mov_b32_e32 v94, s8
	s_or_b32 s6, vcc_lo, s6
	s_waitcnt lgkmcnt(0)
	v_fma_f64 v[90:91], v[96:97], v[100:101], v[90:91]
	v_movrels_b32_e32 v97, v35
	v_movrels_b32_e32 v96, v34
	s_delay_alu instid0(VALU_DEP_1)
	v_fma_f64 v[90:91], v[96:97], v[102:103], v[90:91]
	s_and_not1_b32 exec_lo, exec_lo, s6
	s_cbranch_execnz .LBB11_139
; %bb.140:
	s_or_b32 exec_lo, exec_lo, s6
.LBB11_141:
	s_delay_alu instid0(SALU_CYCLE_1) | instskip(SKIP_3) | instid1(VALU_DEP_1)
	s_or_b32 exec_lo, exec_lo, s1
	v_and_b32_e32 v58, 7, v93
	s_mov_b32 s3, 0
	s_mov_b32 s2, exec_lo
	v_cmpx_ne_u32_e32 0, v58
	s_cbranch_execz .LBB11_145
; %bb.142:
	v_lshl_add_u32 v59, v94, 3, 0x60
	v_mov_b32_e32 v60, 0
.LBB11_143:                             ; =>This Inner Loop Header: Depth=1
	v_cmp_eq_u32_e32 vcc_lo, 1, v94
	v_cmp_eq_u32_e64 s1, 2, v94
	v_dual_cndmask_b32 v61, v35, v37 :: v_dual_add_nc_u32 v58, -1, v58
	v_cndmask_b32_e32 v62, v34, v36, vcc_lo
	v_cmp_eq_u32_e32 vcc_lo, 3, v94
	s_delay_alu instid0(VALU_DEP_3) | instskip(NEXT) | instid1(VALU_DEP_3)
	v_cndmask_b32_e64 v61, v61, v39, s1
	v_cndmask_b32_e64 v62, v62, v38, s1
	v_cmp_eq_u32_e64 s1, 4, v94
	s_delay_alu instid0(VALU_DEP_2) | instskip(SKIP_1) | instid1(VALU_DEP_2)
	v_dual_cndmask_b32 v61, v61, v41 :: v_dual_cndmask_b32 v62, v62, v40
	v_cmp_eq_u32_e32 vcc_lo, 5, v94
	v_cndmask_b32_e64 v61, v61, v43, s1
	s_delay_alu instid0(VALU_DEP_3) | instskip(SKIP_1) | instid1(VALU_DEP_2)
	v_cndmask_b32_e64 v62, v62, v42, s1
	v_cmp_eq_u32_e64 s1, 6, v94
	v_dual_cndmask_b32 v61, v61, v45 :: v_dual_cndmask_b32 v62, v62, v44
	v_cmp_eq_u32_e32 vcc_lo, 7, v94
	s_delay_alu instid0(VALU_DEP_2) | instskip(NEXT) | instid1(VALU_DEP_3)
	v_cndmask_b32_e64 v61, v61, v47, s1
	v_cndmask_b32_e64 v62, v62, v46, s1
	v_cmp_eq_u32_e64 s1, 8, v94
	s_delay_alu instid0(VALU_DEP_2)
	v_dual_cndmask_b32 v63, v61, v49 :: v_dual_cndmask_b32 v64, v62, v48
	ds_load_b64 v[61:62], v59
	v_cmp_eq_u32_e32 vcc_lo, 9, v94
	v_add_nc_u32_e32 v59, 8, v59
	v_cndmask_b32_e64 v63, v63, v51, s1
	v_cndmask_b32_e64 v64, v64, v50, s1
	v_cmp_eq_u32_e64 s1, 10, v94
	s_delay_alu instid0(VALU_DEP_2) | instskip(SKIP_1) | instid1(VALU_DEP_2)
	v_dual_cndmask_b32 v63, v63, v53 :: v_dual_cndmask_b32 v64, v64, v52
	v_cmp_eq_u32_e32 vcc_lo, 11, v94
	v_cndmask_b32_e64 v63, v63, v55, s1
	s_delay_alu instid0(VALU_DEP_3) | instskip(SKIP_1) | instid1(VALU_DEP_1)
	v_cndmask_b32_e64 v65, v64, v54, s1
	v_add_co_u32 v94, s1, v94, 1
	v_add_co_ci_u32_e64 v60, s1, 0, v60, s1
	s_delay_alu instid0(VALU_DEP_3) | instskip(SKIP_2) | instid1(VALU_DEP_2)
	v_dual_cndmask_b32 v64, v63, v57 :: v_dual_cndmask_b32 v63, v65, v56
	v_cmp_eq_u32_e32 vcc_lo, 0, v58
	s_waitcnt lgkmcnt(0)
	v_fma_f64 v[90:91], v[63:64], v[61:62], v[90:91]
	s_or_b32 s3, vcc_lo, s3
	s_delay_alu instid0(SALU_CYCLE_1)
	s_and_not1_b32 exec_lo, exec_lo, s3
	s_cbranch_execnz .LBB11_143
; %bb.144:
	s_or_b32 exec_lo, exec_lo, s3
.LBB11_145:
	s_delay_alu instid0(SALU_CYCLE_1)
	s_or_b32 exec_lo, exec_lo, s2
.LBB11_146:
	s_delay_alu instid0(SALU_CYCLE_1)
	s_or_b32 exec_lo, exec_lo, s5
	v_mov_b32_e32 v36, 0
	ds_load_b64 v[36:37], v36 offset:8
	s_waitcnt lgkmcnt(0)
	v_mul_f64 v[36:37], v[90:91], v[36:37]
.LBB11_147:
	s_or_b32 exec_lo, exec_lo, s4
	s_mov_b32 s2, 0
	s_mov_b32 s3, exec_lo
	ds_store_b64 v92, v[34:35]
	s_waitcnt lgkmcnt(0)
	s_barrier
	buffer_gl0_inv
	v_cmpx_ne_u32_e32 0, v0
	s_cbranch_execz .LBB11_163
; %bb.148:
	s_and_not1_b32 vcc_lo, exec_lo, s12
	s_cbranch_vccnz .LBB11_150
; %bb.149:
	v_cmp_eq_u32_e32 vcc_lo, 1, v0
	v_dual_cndmask_b32 v90, v35, v37 :: v_dual_cndmask_b32 v91, v34, v36
	v_cmp_eq_u32_e32 vcc_lo, 2, v0
	s_delay_alu instid0(VALU_DEP_2) | instskip(SKIP_1) | instid1(VALU_DEP_2)
	v_dual_cndmask_b32 v90, v90, v39 :: v_dual_cndmask_b32 v91, v91, v38
	v_cmp_eq_u32_e32 vcc_lo, 3, v0
	v_dual_cndmask_b32 v90, v90, v41 :: v_dual_cndmask_b32 v91, v91, v40
	v_cmp_eq_u32_e32 vcc_lo, 4, v0
	s_delay_alu instid0(VALU_DEP_2) | instskip(SKIP_1) | instid1(VALU_DEP_2)
	v_dual_cndmask_b32 v90, v90, v43 :: v_dual_cndmask_b32 v91, v91, v42
	;; [unrolled: 5-line block ×3, first 2 shown]
	v_cmp_eq_u32_e32 vcc_lo, 7, v0
	v_dual_cndmask_b32 v90, v90, v49 :: v_dual_cndmask_b32 v91, v91, v48
	v_cmp_eq_u32_e32 vcc_lo, 8, v0
	s_delay_alu instid0(VALU_DEP_2) | instskip(SKIP_4) | instid1(VALU_DEP_2)
	v_dual_cndmask_b32 v93, v90, v51 :: v_dual_cndmask_b32 v94, v91, v50
	v_cmp_eq_u32_e32 vcc_lo, 9, v0
	ds_load_b64 v[90:91], v92
	v_dual_cndmask_b32 v93, v93, v53 :: v_dual_cndmask_b32 v94, v94, v52
	v_cmp_eq_u32_e32 vcc_lo, 10, v0
	v_cndmask_b32_e32 v93, v93, v55, vcc_lo
	s_delay_alu instid0(VALU_DEP_3) | instskip(SKIP_1) | instid1(VALU_DEP_2)
	v_cndmask_b32_e32 v95, v94, v54, vcc_lo
	v_cmp_eq_u32_e32 vcc_lo, 11, v0
	v_dual_cndmask_b32 v94, v93, v57 :: v_dual_cndmask_b32 v93, v95, v56
	s_waitcnt lgkmcnt(0)
	s_delay_alu instid0(VALU_DEP_1)
	v_mul_f64 v[90:91], v[93:94], v[90:91]
	s_cbranch_execz .LBB11_151
	s_branch .LBB11_152
.LBB11_150:
                                        ; implicit-def: $vgpr90_vgpr91
.LBB11_151:
	ds_load_b64 v[90:91], v92
.LBB11_152:
	s_and_saveexec_b32 s4, s0
	s_cbranch_execz .LBB11_162
; %bb.153:
	v_dual_mov_b32 v95, 1 :: v_dual_add_nc_u32 v94, -2, v0
	v_add_nc_u32_e32 v93, -1, v0
	s_mov_b32 s5, exec_lo
	s_delay_alu instid0(VALU_DEP_2)
	v_cmpx_lt_u32_e32 6, v94
	s_cbranch_execz .LBB11_157
; %bb.154:
	s_delay_alu instid0(VALU_DEP_2) | instskip(SKIP_3) | instid1(VALU_DEP_1)
	v_and_b32_e32 v94, -8, v93
	s_mov_b32 s6, 0
	s_mov_b64 s[0:1], 8
	s_movk_i32 s7, 0x68
	v_sub_nc_u32_e32 v94, 0, v94
.LBB11_155:                             ; =>This Inner Loop Header: Depth=1
	v_mov_b32_e32 v105, s7
	s_lshl_b32 s8, s0, 1
	s_delay_alu instid0(SALU_CYCLE_1)
	s_add_i32 m0, s8, -13
	v_movrels_b32_e32 v104, v34
	ds_load_2addr_b64 v[95:98], v105 offset1:1
	ds_load_2addr_b64 v[99:102], v105 offset0:2 offset1:3
	s_add_i32 m0, s8, -14
	v_movrels_b32_e32 v103, v34
	s_add_i32 m0, s8, -11
	s_waitcnt lgkmcnt(1)
	s_delay_alu instid0(VALU_DEP_1) | instskip(SKIP_4) | instid1(VALU_DEP_1)
	v_fma_f64 v[90:91], v[103:104], v[95:96], v[90:91]
	v_movrels_b32_e32 v96, v34
	s_add_i32 m0, s8, -12
	v_movrels_b32_e32 v95, v34
	s_add_i32 m0, s8, -9
	v_fma_f64 v[90:91], v[95:96], v[97:98], v[90:91]
	v_movrels_b32_e32 v96, v34
	s_add_i32 m0, s8, -10
	v_movrels_b32_e32 v95, v34
	s_add_i32 m0, s8, -7
	s_waitcnt lgkmcnt(0)
	s_delay_alu instid0(VALU_DEP_1)
	v_fma_f64 v[90:91], v[95:96], v[99:100], v[90:91]
	v_movrels_b32_e32 v96, v34
	s_add_i32 m0, s8, -8
	v_movrels_b32_e32 v95, v34
	s_add_i32 m0, s8, -5
	;; [unrolled: 2-line block ×4, first 2 shown]
	v_fma_f64 v[90:91], v[95:96], v[101:102], v[90:91]
	ds_load_2addr_b64 v[95:98], v105 offset0:4 offset1:5
	ds_load_2addr_b64 v[99:102], v105 offset0:6 offset1:7
	s_waitcnt lgkmcnt(1)
	v_fma_f64 v[90:91], v[103:104], v[95:96], v[90:91]
	v_movrels_b32_e32 v96, v34
	s_add_i32 m0, s8, -4
	v_movrels_b32_e32 v95, v34
	s_add_i32 m0, s8, -1
	s_delay_alu instid0(VALU_DEP_1)
	v_fma_f64 v[90:91], v[95:96], v[97:98], v[90:91]
	v_movrels_b32_e32 v96, v34
	s_add_i32 m0, s8, -2
	s_add_u32 s0, s0, 8
	v_movrels_b32_e32 v95, v34
	s_mov_b32 m0, s8
	s_addc_u32 s1, s1, 0
	s_add_i32 s8, s0, -7
	s_add_i32 s7, s7, 64
	s_waitcnt lgkmcnt(0)
	s_delay_alu instid0(VALU_DEP_3) | instskip(SKIP_2) | instid1(VALU_DEP_1)
	v_fma_f64 v[90:91], v[95:96], v[99:100], v[90:91]
	v_movrels_b32_e32 v96, v35
	v_movrels_b32_e32 v95, v34
	v_fma_f64 v[90:91], v[95:96], v[101:102], v[90:91]
	v_add_nc_u32_e32 v95, s0, v94
	s_delay_alu instid0(VALU_DEP_1) | instskip(SKIP_2) | instid1(SALU_CYCLE_1)
	v_cmp_eq_u32_e32 vcc_lo, 8, v95
	v_mov_b32_e32 v95, s8
	s_or_b32 s6, vcc_lo, s6
	s_and_not1_b32 exec_lo, exec_lo, s6
	s_cbranch_execnz .LBB11_155
; %bb.156:
	s_or_b32 exec_lo, exec_lo, s6
.LBB11_157:
	s_delay_alu instid0(SALU_CYCLE_1) | instskip(SKIP_3) | instid1(VALU_DEP_1)
	s_or_b32 exec_lo, exec_lo, s5
	v_and_b32_e32 v58, 7, v93
	s_mov_b32 s5, 0
	s_mov_b32 s1, exec_lo
	v_cmpx_ne_u32_e32 0, v58
	s_cbranch_execz .LBB11_161
; %bb.158:
	v_lshl_add_u32 v59, v95, 3, 0x60
	v_mov_b32_e32 v60, 0
.LBB11_159:                             ; =>This Inner Loop Header: Depth=1
	v_cmp_eq_u32_e32 vcc_lo, 1, v95
	v_cmp_eq_u32_e64 s0, 2, v95
	v_dual_cndmask_b32 v61, v35, v37 :: v_dual_add_nc_u32 v58, -1, v58
	v_cndmask_b32_e32 v62, v34, v36, vcc_lo
	v_cmp_eq_u32_e32 vcc_lo, 3, v95
	s_delay_alu instid0(VALU_DEP_3) | instskip(NEXT) | instid1(VALU_DEP_3)
	v_cndmask_b32_e64 v61, v61, v39, s0
	v_cndmask_b32_e64 v62, v62, v38, s0
	v_cmp_eq_u32_e64 s0, 4, v95
	s_delay_alu instid0(VALU_DEP_2) | instskip(SKIP_1) | instid1(VALU_DEP_2)
	v_dual_cndmask_b32 v61, v61, v41 :: v_dual_cndmask_b32 v62, v62, v40
	v_cmp_eq_u32_e32 vcc_lo, 5, v95
	v_cndmask_b32_e64 v61, v61, v43, s0
	s_delay_alu instid0(VALU_DEP_3) | instskip(SKIP_1) | instid1(VALU_DEP_2)
	v_cndmask_b32_e64 v62, v62, v42, s0
	v_cmp_eq_u32_e64 s0, 6, v95
	v_dual_cndmask_b32 v61, v61, v45 :: v_dual_cndmask_b32 v62, v62, v44
	v_cmp_eq_u32_e32 vcc_lo, 7, v95
	s_delay_alu instid0(VALU_DEP_2) | instskip(NEXT) | instid1(VALU_DEP_3)
	v_cndmask_b32_e64 v61, v61, v47, s0
	v_cndmask_b32_e64 v62, v62, v46, s0
	v_cmp_eq_u32_e64 s0, 8, v95
	s_delay_alu instid0(VALU_DEP_2)
	v_dual_cndmask_b32 v63, v61, v49 :: v_dual_cndmask_b32 v64, v62, v48
	ds_load_b64 v[61:62], v59
	v_cmp_eq_u32_e32 vcc_lo, 9, v95
	v_add_nc_u32_e32 v59, 8, v59
	v_cndmask_b32_e64 v63, v63, v51, s0
	v_cndmask_b32_e64 v64, v64, v50, s0
	v_cmp_eq_u32_e64 s0, 10, v95
	s_delay_alu instid0(VALU_DEP_2) | instskip(SKIP_1) | instid1(VALU_DEP_2)
	v_dual_cndmask_b32 v63, v63, v53 :: v_dual_cndmask_b32 v64, v64, v52
	v_cmp_eq_u32_e32 vcc_lo, 11, v95
	v_cndmask_b32_e64 v63, v63, v55, s0
	s_delay_alu instid0(VALU_DEP_3) | instskip(SKIP_1) | instid1(VALU_DEP_1)
	v_cndmask_b32_e64 v65, v64, v54, s0
	v_add_co_u32 v95, s0, v95, 1
	v_add_co_ci_u32_e64 v60, s0, 0, v60, s0
	s_delay_alu instid0(VALU_DEP_3) | instskip(SKIP_2) | instid1(VALU_DEP_2)
	v_dual_cndmask_b32 v64, v63, v57 :: v_dual_cndmask_b32 v63, v65, v56
	v_cmp_eq_u32_e32 vcc_lo, 0, v58
	s_waitcnt lgkmcnt(0)
	v_fma_f64 v[90:91], v[63:64], v[61:62], v[90:91]
	s_or_b32 s5, vcc_lo, s5
	s_delay_alu instid0(SALU_CYCLE_1)
	s_and_not1_b32 exec_lo, exec_lo, s5
	s_cbranch_execnz .LBB11_159
; %bb.160:
	s_or_b32 exec_lo, exec_lo, s5
.LBB11_161:
	s_delay_alu instid0(SALU_CYCLE_1)
	s_or_b32 exec_lo, exec_lo, s1
.LBB11_162:
	s_delay_alu instid0(SALU_CYCLE_1)
	s_or_b32 exec_lo, exec_lo, s4
	v_mov_b32_e32 v34, 0
	ds_load_b64 v[34:35], v34
	s_waitcnt lgkmcnt(0)
	v_mul_f64 v[34:35], v[90:91], v[34:35]
.LBB11_163:
	s_or_b32 exec_lo, exec_lo, s3
	s_delay_alu instid0(SALU_CYCLE_1)
	s_and_b32 vcc_lo, exec_lo, s2
	s_cbranch_vccz .LBB11_281
.LBB11_164:
	v_cmp_eq_u32_e64 s0, 0, v0
	s_waitcnt vmcnt(11)
	ds_store_b64 v92, v[4:5]
	s_waitcnt vmcnt(0) lgkmcnt(0)
	s_barrier
	buffer_gl0_inv
	s_and_saveexec_b32 s1, s0
	s_cbranch_execz .LBB11_170
; %bb.165:
	s_and_b32 vcc_lo, exec_lo, s12
	s_cbranch_vccz .LBB11_167
; %bb.166:
	v_cmp_eq_u32_e32 vcc_lo, 1, v0
	v_dual_cndmask_b32 v5, v3, v5 :: v_dual_cndmask_b32 v4, v2, v4
	v_cmp_eq_u32_e32 vcc_lo, 2, v0
	s_delay_alu instid0(VALU_DEP_2) | instskip(SKIP_1) | instid1(VALU_DEP_2)
	v_dual_cndmask_b32 v5, v5, v7 :: v_dual_cndmask_b32 v4, v4, v6
	v_cmp_eq_u32_e32 vcc_lo, 3, v0
	v_dual_cndmask_b32 v5, v5, v9 :: v_dual_cndmask_b32 v4, v4, v8
	v_cmp_eq_u32_e32 vcc_lo, 4, v0
	s_delay_alu instid0(VALU_DEP_2) | instskip(SKIP_1) | instid1(VALU_DEP_2)
	v_dual_cndmask_b32 v5, v5, v11 :: v_dual_cndmask_b32 v4, v4, v10
	;; [unrolled: 5-line block ×3, first 2 shown]
	v_cmp_eq_u32_e32 vcc_lo, 7, v0
	v_dual_cndmask_b32 v5, v5, v17 :: v_dual_cndmask_b32 v4, v4, v16
	v_cmp_eq_u32_e32 vcc_lo, 8, v0
	s_delay_alu instid0(VALU_DEP_2) | instskip(SKIP_4) | instid1(VALU_DEP_2)
	v_dual_cndmask_b32 v26, v5, v19 :: v_dual_cndmask_b32 v27, v4, v18
	v_cmp_eq_u32_e32 vcc_lo, 9, v0
	ds_load_b64 v[4:5], v92
	v_dual_cndmask_b32 v26, v26, v21 :: v_dual_cndmask_b32 v27, v27, v20
	v_cmp_eq_u32_e32 vcc_lo, 10, v0
	v_cndmask_b32_e32 v26, v26, v23, vcc_lo
	s_delay_alu instid0(VALU_DEP_3) | instskip(SKIP_1) | instid1(VALU_DEP_2)
	v_cndmask_b32_e32 v28, v27, v22, vcc_lo
	v_cmp_eq_u32_e32 vcc_lo, 11, v0
	v_dual_cndmask_b32 v27, v26, v25 :: v_dual_cndmask_b32 v26, v28, v24
	s_waitcnt lgkmcnt(0)
	s_delay_alu instid0(VALU_DEP_1)
	v_mul_f64 v[4:5], v[26:27], v[4:5]
	s_cbranch_execz .LBB11_168
	s_branch .LBB11_169
.LBB11_167:
                                        ; implicit-def: $vgpr4_vgpr5
.LBB11_168:
	ds_load_b64 v[4:5], v92
.LBB11_169:
	v_mov_b32_e32 v26, 0
	ds_load_b64 v[26:27], v26 offset:8
	s_waitcnt lgkmcnt(0)
	v_mul_f64 v[4:5], v[4:5], v[26:27]
.LBB11_170:
	s_or_b32 exec_lo, exec_lo, s1
	v_add_nc_u32_e32 v35, 1, v0
	v_cndmask_b32_e64 v34, 0, 1, s12
	s_mov_b32 s1, exec_lo
	ds_store_b64 v92, v[6:7]
	s_waitcnt lgkmcnt(0)
	s_barrier
	buffer_gl0_inv
	v_cmpx_gt_u32_e32 2, v0
	s_cbranch_execz .LBB11_178
; %bb.171:
	s_and_not1_b32 vcc_lo, exec_lo, s12
	s_cbranch_vccnz .LBB11_173
; %bb.172:
	v_cmp_eq_u32_e32 vcc_lo, 1, v0
	v_dual_cndmask_b32 v26, v3, v5 :: v_dual_cndmask_b32 v27, v2, v4
	v_cmp_eq_u32_e32 vcc_lo, 2, v0
	s_delay_alu instid0(VALU_DEP_2) | instskip(SKIP_1) | instid1(VALU_DEP_2)
	v_dual_cndmask_b32 v26, v26, v7 :: v_dual_cndmask_b32 v27, v27, v6
	v_cmp_eq_u32_e32 vcc_lo, 3, v0
	v_dual_cndmask_b32 v26, v26, v9 :: v_dual_cndmask_b32 v27, v27, v8
	v_cmp_eq_u32_e32 vcc_lo, 4, v0
	s_delay_alu instid0(VALU_DEP_2) | instskip(SKIP_1) | instid1(VALU_DEP_2)
	v_dual_cndmask_b32 v26, v26, v11 :: v_dual_cndmask_b32 v27, v27, v10
	;; [unrolled: 5-line block ×3, first 2 shown]
	v_cmp_eq_u32_e32 vcc_lo, 7, v0
	v_dual_cndmask_b32 v26, v26, v17 :: v_dual_cndmask_b32 v27, v27, v16
	v_cmp_eq_u32_e32 vcc_lo, 8, v0
	s_delay_alu instid0(VALU_DEP_2) | instskip(SKIP_4) | instid1(VALU_DEP_2)
	v_dual_cndmask_b32 v28, v26, v19 :: v_dual_cndmask_b32 v29, v27, v18
	v_cmp_eq_u32_e32 vcc_lo, 9, v0
	ds_load_b64 v[26:27], v92
	v_dual_cndmask_b32 v28, v28, v21 :: v_dual_cndmask_b32 v29, v29, v20
	v_cmp_eq_u32_e32 vcc_lo, 10, v0
	v_cndmask_b32_e32 v28, v28, v23, vcc_lo
	s_delay_alu instid0(VALU_DEP_3) | instskip(SKIP_1) | instid1(VALU_DEP_2)
	v_cndmask_b32_e32 v30, v29, v22, vcc_lo
	v_cmp_eq_u32_e32 vcc_lo, 11, v0
	v_dual_cndmask_b32 v29, v28, v25 :: v_dual_cndmask_b32 v28, v30, v24
	s_waitcnt lgkmcnt(0)
	s_delay_alu instid0(VALU_DEP_1)
	v_mul_f64 v[26:27], v[28:29], v[26:27]
	s_cbranch_execz .LBB11_174
	s_branch .LBB11_175
.LBB11_173:
                                        ; implicit-def: $vgpr26_vgpr27
.LBB11_174:
	ds_load_b64 v[26:27], v92
.LBB11_175:
	s_and_saveexec_b32 s2, s0
	s_cbranch_execz .LBB11_177
; %bb.176:
	v_cmp_eq_u32_e32 vcc_lo, 1, v35
	v_dual_cndmask_b32 v28, v3, v5 :: v_dual_cndmask_b32 v29, v2, v4
	v_cmp_eq_u32_e32 vcc_lo, 2, v35
	s_delay_alu instid0(VALU_DEP_2) | instskip(SKIP_1) | instid1(VALU_DEP_2)
	v_dual_cndmask_b32 v7, v28, v7 :: v_dual_cndmask_b32 v6, v29, v6
	v_cmp_eq_u32_e32 vcc_lo, 3, v35
	v_dual_cndmask_b32 v7, v7, v9 :: v_dual_cndmask_b32 v6, v6, v8
	v_cmp_eq_u32_e32 vcc_lo, 4, v35
	s_delay_alu instid0(VALU_DEP_2) | instskip(SKIP_1) | instid1(VALU_DEP_2)
	v_dual_cndmask_b32 v7, v7, v11 :: v_dual_cndmask_b32 v6, v6, v10
	;; [unrolled: 5-line block ×3, first 2 shown]
	v_cmp_eq_u32_e32 vcc_lo, 7, v35
	v_dual_cndmask_b32 v7, v7, v17 :: v_dual_cndmask_b32 v6, v6, v16
	v_cmp_eq_u32_e32 vcc_lo, 8, v35
	s_delay_alu instid0(VALU_DEP_2) | instskip(SKIP_4) | instid1(VALU_DEP_2)
	v_dual_cndmask_b32 v28, v7, v19 :: v_dual_cndmask_b32 v29, v6, v18
	v_cmp_eq_u32_e32 vcc_lo, 9, v35
	ds_load_b64 v[6:7], v92 offset:8
	v_dual_cndmask_b32 v28, v28, v21 :: v_dual_cndmask_b32 v29, v29, v20
	v_cmp_eq_u32_e32 vcc_lo, 10, v35
	v_cndmask_b32_e32 v28, v28, v23, vcc_lo
	s_delay_alu instid0(VALU_DEP_3) | instskip(SKIP_1) | instid1(VALU_DEP_2)
	v_cndmask_b32_e32 v30, v29, v22, vcc_lo
	v_cmp_eq_u32_e32 vcc_lo, 11, v35
	v_dual_cndmask_b32 v29, v28, v25 :: v_dual_cndmask_b32 v28, v30, v24
	s_waitcnt lgkmcnt(0)
	s_delay_alu instid0(VALU_DEP_1)
	v_fma_f64 v[26:27], v[28:29], v[6:7], v[26:27]
.LBB11_177:
	s_or_b32 exec_lo, exec_lo, s2
	v_mov_b32_e32 v6, 0
	ds_load_b64 v[6:7], v6 offset:16
	s_waitcnt lgkmcnt(0)
	v_mul_f64 v[6:7], v[26:27], v[6:7]
.LBB11_178:
	s_or_b32 exec_lo, exec_lo, s1
	v_cmp_gt_u32_e64 s1, 3, v0
	ds_store_b64 v92, v[8:9]
	s_waitcnt lgkmcnt(0)
	s_barrier
	buffer_gl0_inv
	s_and_saveexec_b32 s2, s1
	s_cbranch_execz .LBB11_188
; %bb.179:
	v_cmp_ne_u32_e32 vcc_lo, 1, v34
	s_cbranch_vccnz .LBB11_181
; %bb.180:
	v_cmp_eq_u32_e32 vcc_lo, 1, v0
	v_dual_cndmask_b32 v26, v3, v5 :: v_dual_cndmask_b32 v27, v2, v4
	v_cmp_eq_u32_e32 vcc_lo, 2, v0
	s_delay_alu instid0(VALU_DEP_2) | instskip(SKIP_1) | instid1(VALU_DEP_2)
	v_dual_cndmask_b32 v26, v26, v7 :: v_dual_cndmask_b32 v27, v27, v6
	v_cmp_eq_u32_e32 vcc_lo, 3, v0
	v_dual_cndmask_b32 v26, v26, v9 :: v_dual_cndmask_b32 v27, v27, v8
	v_cmp_eq_u32_e32 vcc_lo, 4, v0
	s_delay_alu instid0(VALU_DEP_2) | instskip(SKIP_1) | instid1(VALU_DEP_2)
	v_dual_cndmask_b32 v26, v26, v11 :: v_dual_cndmask_b32 v27, v27, v10
	;; [unrolled: 5-line block ×3, first 2 shown]
	v_cmp_eq_u32_e32 vcc_lo, 7, v0
	v_dual_cndmask_b32 v26, v26, v17 :: v_dual_cndmask_b32 v27, v27, v16
	v_cmp_eq_u32_e32 vcc_lo, 8, v0
	s_delay_alu instid0(VALU_DEP_2) | instskip(SKIP_4) | instid1(VALU_DEP_2)
	v_dual_cndmask_b32 v28, v26, v19 :: v_dual_cndmask_b32 v29, v27, v18
	v_cmp_eq_u32_e32 vcc_lo, 9, v0
	ds_load_b64 v[26:27], v92
	v_dual_cndmask_b32 v28, v28, v21 :: v_dual_cndmask_b32 v29, v29, v20
	v_cmp_eq_u32_e32 vcc_lo, 10, v0
	v_cndmask_b32_e32 v28, v28, v23, vcc_lo
	s_delay_alu instid0(VALU_DEP_3) | instskip(SKIP_1) | instid1(VALU_DEP_2)
	v_cndmask_b32_e32 v30, v29, v22, vcc_lo
	v_cmp_eq_u32_e32 vcc_lo, 11, v0
	v_dual_cndmask_b32 v29, v28, v25 :: v_dual_cndmask_b32 v28, v30, v24
	s_waitcnt lgkmcnt(0)
	s_delay_alu instid0(VALU_DEP_1)
	v_mul_f64 v[26:27], v[28:29], v[26:27]
	s_cbranch_execz .LBB11_182
	s_branch .LBB11_183
.LBB11_181:
                                        ; implicit-def: $vgpr26_vgpr27
.LBB11_182:
	ds_load_b64 v[26:27], v92
.LBB11_183:
	s_mov_b32 s3, exec_lo
	v_cmpx_ne_u32_e32 2, v0
	s_cbranch_execz .LBB11_187
; %bb.184:
	v_cmp_eq_u32_e32 vcc_lo, 1, v35
	v_dual_cndmask_b32 v28, v3, v5 :: v_dual_cndmask_b32 v29, v2, v4
	v_cmp_eq_u32_e32 vcc_lo, 2, v35
	s_delay_alu instid0(VALU_DEP_2) | instskip(SKIP_1) | instid1(VALU_DEP_2)
	v_dual_cndmask_b32 v28, v28, v7 :: v_dual_cndmask_b32 v29, v29, v6
	v_cmp_eq_u32_e32 vcc_lo, 3, v35
	v_dual_cndmask_b32 v9, v28, v9 :: v_dual_cndmask_b32 v8, v29, v8
	v_cmp_eq_u32_e32 vcc_lo, 4, v35
	s_delay_alu instid0(VALU_DEP_2) | instskip(SKIP_1) | instid1(VALU_DEP_2)
	v_dual_cndmask_b32 v9, v9, v11 :: v_dual_cndmask_b32 v8, v8, v10
	;; [unrolled: 5-line block ×3, first 2 shown]
	v_cmp_eq_u32_e32 vcc_lo, 7, v35
	v_dual_cndmask_b32 v9, v9, v17 :: v_dual_cndmask_b32 v8, v8, v16
	v_cmp_eq_u32_e32 vcc_lo, 8, v35
	s_delay_alu instid0(VALU_DEP_2) | instskip(SKIP_4) | instid1(VALU_DEP_2)
	v_dual_cndmask_b32 v28, v9, v19 :: v_dual_cndmask_b32 v29, v8, v18
	v_cmp_eq_u32_e32 vcc_lo, 9, v35
	ds_load_b64 v[8:9], v92 offset:8
	v_dual_cndmask_b32 v28, v28, v21 :: v_dual_cndmask_b32 v29, v29, v20
	v_cmp_eq_u32_e32 vcc_lo, 10, v35
	v_cndmask_b32_e32 v28, v28, v23, vcc_lo
	s_delay_alu instid0(VALU_DEP_3) | instskip(SKIP_1) | instid1(VALU_DEP_2)
	v_cndmask_b32_e32 v30, v29, v22, vcc_lo
	v_cmp_eq_u32_e32 vcc_lo, 11, v35
	v_dual_cndmask_b32 v29, v28, v25 :: v_dual_cndmask_b32 v28, v30, v24
	s_waitcnt lgkmcnt(0)
	s_delay_alu instid0(VALU_DEP_1)
	v_fma_f64 v[26:27], v[28:29], v[8:9], v[26:27]
	s_and_saveexec_b32 s4, s0
	s_cbranch_execz .LBB11_186
; %bb.185:
	v_mov_b32_e32 v8, 0
	ds_load_b64 v[8:9], v8 offset:112
	s_waitcnt lgkmcnt(0)
	v_fma_f64 v[26:27], v[6:7], v[8:9], v[26:27]
.LBB11_186:
	s_or_b32 exec_lo, exec_lo, s4
.LBB11_187:
	s_delay_alu instid0(SALU_CYCLE_1)
	s_or_b32 exec_lo, exec_lo, s3
	v_mov_b32_e32 v8, 0
	ds_load_b64 v[8:9], v8 offset:24
	s_waitcnt lgkmcnt(0)
	v_mul_f64 v[8:9], v[26:27], v[8:9]
.LBB11_188:
	s_or_b32 exec_lo, exec_lo, s2
	s_delay_alu instid0(SALU_CYCLE_1)
	s_mov_b32 s3, exec_lo
	ds_store_b64 v92, v[10:11]
	s_waitcnt lgkmcnt(0)
	s_barrier
	buffer_gl0_inv
	v_cmpx_gt_u32_e32 4, v0
	s_cbranch_execz .LBB11_198
; %bb.189:
	v_cmp_ne_u32_e32 vcc_lo, 1, v34
	s_cbranch_vccnz .LBB11_191
; %bb.190:
	v_cmp_eq_u32_e32 vcc_lo, 1, v0
	v_dual_cndmask_b32 v26, v3, v5 :: v_dual_cndmask_b32 v27, v2, v4
	v_cmp_eq_u32_e32 vcc_lo, 2, v0
	s_delay_alu instid0(VALU_DEP_2) | instskip(SKIP_1) | instid1(VALU_DEP_2)
	v_dual_cndmask_b32 v26, v26, v7 :: v_dual_cndmask_b32 v27, v27, v6
	v_cmp_eq_u32_e32 vcc_lo, 3, v0
	v_dual_cndmask_b32 v26, v26, v9 :: v_dual_cndmask_b32 v27, v27, v8
	v_cmp_eq_u32_e32 vcc_lo, 4, v0
	s_delay_alu instid0(VALU_DEP_2) | instskip(SKIP_1) | instid1(VALU_DEP_2)
	v_dual_cndmask_b32 v26, v26, v11 :: v_dual_cndmask_b32 v27, v27, v10
	;; [unrolled: 5-line block ×3, first 2 shown]
	v_cmp_eq_u32_e32 vcc_lo, 7, v0
	v_dual_cndmask_b32 v26, v26, v17 :: v_dual_cndmask_b32 v27, v27, v16
	v_cmp_eq_u32_e32 vcc_lo, 8, v0
	s_delay_alu instid0(VALU_DEP_2) | instskip(SKIP_4) | instid1(VALU_DEP_2)
	v_dual_cndmask_b32 v28, v26, v19 :: v_dual_cndmask_b32 v29, v27, v18
	v_cmp_eq_u32_e32 vcc_lo, 9, v0
	ds_load_b64 v[26:27], v92
	v_dual_cndmask_b32 v28, v28, v21 :: v_dual_cndmask_b32 v29, v29, v20
	v_cmp_eq_u32_e32 vcc_lo, 10, v0
	v_cndmask_b32_e32 v28, v28, v23, vcc_lo
	s_delay_alu instid0(VALU_DEP_3) | instskip(SKIP_1) | instid1(VALU_DEP_2)
	v_cndmask_b32_e32 v30, v29, v22, vcc_lo
	v_cmp_eq_u32_e32 vcc_lo, 11, v0
	v_dual_cndmask_b32 v29, v28, v25 :: v_dual_cndmask_b32 v28, v30, v24
	s_waitcnt lgkmcnt(0)
	s_delay_alu instid0(VALU_DEP_1)
	v_mul_f64 v[26:27], v[28:29], v[26:27]
	s_cbranch_execz .LBB11_192
	s_branch .LBB11_193
.LBB11_191:
                                        ; implicit-def: $vgpr26_vgpr27
.LBB11_192:
	ds_load_b64 v[26:27], v92
.LBB11_193:
	s_mov_b32 s4, exec_lo
	v_cmpx_ne_u32_e32 3, v0
	s_cbranch_execz .LBB11_197
; %bb.194:
	v_lshl_add_u32 v30, v0, 3, 0x68
	v_dual_mov_b32 v29, v1 :: v_dual_mov_b32 v28, v0
	s_mov_b32 s5, 0
.LBB11_195:                             ; =>This Inner Loop Header: Depth=1
	s_delay_alu instid0(VALU_DEP_1) | instskip(NEXT) | instid1(VALU_DEP_2)
	v_add_co_u32 v28, vcc_lo, v28, 1
	v_add_co_ci_u32_e32 v29, vcc_lo, 0, v29, vcc_lo
	s_delay_alu instid0(VALU_DEP_2) | instskip(SKIP_3) | instid1(VALU_DEP_2)
	v_cmp_eq_u32_e32 vcc_lo, 1, v28
	v_cmp_eq_u32_e64 s2, 2, v28
	v_dual_cndmask_b32 v31, v3, v5 :: v_dual_cndmask_b32 v32, v2, v4
	v_cmp_eq_u32_e32 vcc_lo, 3, v28
	v_cndmask_b32_e64 v31, v31, v7, s2
	s_delay_alu instid0(VALU_DEP_3) | instskip(SKIP_1) | instid1(VALU_DEP_2)
	v_cndmask_b32_e64 v32, v32, v6, s2
	v_cmp_eq_u32_e64 s2, 4, v28
	v_dual_cndmask_b32 v31, v31, v9 :: v_dual_cndmask_b32 v32, v32, v8
	v_cmp_eq_u32_e32 vcc_lo, 5, v28
	s_delay_alu instid0(VALU_DEP_2) | instskip(NEXT) | instid1(VALU_DEP_3)
	v_cndmask_b32_e64 v31, v31, v11, s2
	v_cndmask_b32_e64 v32, v32, v10, s2
	v_cmp_eq_u32_e64 s2, 6, v28
	s_delay_alu instid0(VALU_DEP_2) | instskip(SKIP_1) | instid1(VALU_DEP_2)
	v_dual_cndmask_b32 v31, v31, v13 :: v_dual_cndmask_b32 v32, v32, v12
	v_cmp_eq_u32_e32 vcc_lo, 7, v28
	v_cndmask_b32_e64 v31, v31, v15, s2
	s_delay_alu instid0(VALU_DEP_3) | instskip(SKIP_1) | instid1(VALU_DEP_2)
	v_cndmask_b32_e64 v32, v32, v14, s2
	v_cmp_eq_u32_e64 s2, 8, v28
	v_dual_cndmask_b32 v33, v31, v17 :: v_dual_cndmask_b32 v36, v32, v16
	ds_load_b64 v[31:32], v30
	v_cmp_eq_u32_e32 vcc_lo, 9, v28
	v_add_nc_u32_e32 v30, 8, v30
	v_cndmask_b32_e64 v33, v33, v19, s2
	v_cndmask_b32_e64 v36, v36, v18, s2
	v_cmp_eq_u32_e64 s2, 10, v28
	s_delay_alu instid0(VALU_DEP_2) | instskip(SKIP_1) | instid1(VALU_DEP_2)
	v_dual_cndmask_b32 v33, v33, v21 :: v_dual_cndmask_b32 v36, v36, v20
	v_cmp_eq_u32_e32 vcc_lo, 11, v28
	v_cndmask_b32_e64 v33, v33, v23, s2
	s_delay_alu instid0(VALU_DEP_3) | instskip(NEXT) | instid1(VALU_DEP_1)
	v_cndmask_b32_e64 v36, v36, v22, s2
	v_dual_cndmask_b32 v37, v33, v25 :: v_dual_cndmask_b32 v36, v36, v24
	v_cmp_lt_u32_e32 vcc_lo, 2, v28
	s_waitcnt lgkmcnt(0)
	s_delay_alu instid0(VALU_DEP_2) | instskip(SKIP_1) | instid1(SALU_CYCLE_1)
	v_fma_f64 v[26:27], v[36:37], v[31:32], v[26:27]
	s_or_b32 s5, vcc_lo, s5
	s_and_not1_b32 exec_lo, exec_lo, s5
	s_cbranch_execnz .LBB11_195
; %bb.196:
	s_or_b32 exec_lo, exec_lo, s5
.LBB11_197:
	s_delay_alu instid0(SALU_CYCLE_1)
	s_or_b32 exec_lo, exec_lo, s4
	v_mov_b32_e32 v10, 0
	ds_load_b64 v[10:11], v10 offset:32
	s_waitcnt lgkmcnt(0)
	v_mul_f64 v[10:11], v[26:27], v[10:11]
.LBB11_198:
	s_or_b32 exec_lo, exec_lo, s3
	v_cmp_gt_u32_e64 s2, 5, v0
	ds_store_b64 v92, v[12:13]
	s_waitcnt lgkmcnt(0)
	s_barrier
	buffer_gl0_inv
	s_and_saveexec_b32 s4, s2
	s_cbranch_execz .LBB11_208
; %bb.199:
	v_cmp_ne_u32_e32 vcc_lo, 1, v34
	s_cbranch_vccnz .LBB11_201
; %bb.200:
	v_cmp_eq_u32_e32 vcc_lo, 1, v0
	v_dual_cndmask_b32 v26, v3, v5 :: v_dual_cndmask_b32 v27, v2, v4
	v_cmp_eq_u32_e32 vcc_lo, 2, v0
	s_delay_alu instid0(VALU_DEP_2) | instskip(SKIP_1) | instid1(VALU_DEP_2)
	v_dual_cndmask_b32 v26, v26, v7 :: v_dual_cndmask_b32 v27, v27, v6
	v_cmp_eq_u32_e32 vcc_lo, 3, v0
	v_dual_cndmask_b32 v26, v26, v9 :: v_dual_cndmask_b32 v27, v27, v8
	v_cmp_eq_u32_e32 vcc_lo, 4, v0
	s_delay_alu instid0(VALU_DEP_2) | instskip(SKIP_1) | instid1(VALU_DEP_2)
	v_dual_cndmask_b32 v26, v26, v11 :: v_dual_cndmask_b32 v27, v27, v10
	;; [unrolled: 5-line block ×3, first 2 shown]
	v_cmp_eq_u32_e32 vcc_lo, 7, v0
	v_dual_cndmask_b32 v26, v26, v17 :: v_dual_cndmask_b32 v27, v27, v16
	v_cmp_eq_u32_e32 vcc_lo, 8, v0
	s_delay_alu instid0(VALU_DEP_2) | instskip(SKIP_4) | instid1(VALU_DEP_2)
	v_dual_cndmask_b32 v28, v26, v19 :: v_dual_cndmask_b32 v29, v27, v18
	v_cmp_eq_u32_e32 vcc_lo, 9, v0
	ds_load_b64 v[26:27], v92
	v_dual_cndmask_b32 v28, v28, v21 :: v_dual_cndmask_b32 v29, v29, v20
	v_cmp_eq_u32_e32 vcc_lo, 10, v0
	v_cndmask_b32_e32 v28, v28, v23, vcc_lo
	s_delay_alu instid0(VALU_DEP_3) | instskip(SKIP_1) | instid1(VALU_DEP_2)
	v_cndmask_b32_e32 v30, v29, v22, vcc_lo
	v_cmp_eq_u32_e32 vcc_lo, 11, v0
	v_dual_cndmask_b32 v29, v28, v25 :: v_dual_cndmask_b32 v28, v30, v24
	s_waitcnt lgkmcnt(0)
	s_delay_alu instid0(VALU_DEP_1)
	v_mul_f64 v[26:27], v[28:29], v[26:27]
	s_cbranch_execz .LBB11_202
	s_branch .LBB11_203
.LBB11_201:
                                        ; implicit-def: $vgpr26_vgpr27
.LBB11_202:
	ds_load_b64 v[26:27], v92
.LBB11_203:
	s_mov_b32 s5, exec_lo
	v_cmpx_ne_u32_e32 4, v0
	s_cbranch_execz .LBB11_207
; %bb.204:
	v_lshl_add_u32 v30, v0, 3, 0x68
	v_dual_mov_b32 v29, v1 :: v_dual_mov_b32 v28, v0
	s_mov_b32 s6, 0
.LBB11_205:                             ; =>This Inner Loop Header: Depth=1
	s_delay_alu instid0(VALU_DEP_1) | instskip(NEXT) | instid1(VALU_DEP_2)
	v_add_co_u32 v28, vcc_lo, v28, 1
	v_add_co_ci_u32_e32 v29, vcc_lo, 0, v29, vcc_lo
	s_delay_alu instid0(VALU_DEP_2) | instskip(SKIP_3) | instid1(VALU_DEP_2)
	v_cmp_eq_u32_e32 vcc_lo, 1, v28
	v_cmp_eq_u32_e64 s3, 2, v28
	v_dual_cndmask_b32 v31, v3, v5 :: v_dual_cndmask_b32 v32, v2, v4
	v_cmp_eq_u32_e32 vcc_lo, 3, v28
	v_cndmask_b32_e64 v31, v31, v7, s3
	s_delay_alu instid0(VALU_DEP_3) | instskip(SKIP_1) | instid1(VALU_DEP_2)
	v_cndmask_b32_e64 v32, v32, v6, s3
	v_cmp_eq_u32_e64 s3, 4, v28
	v_dual_cndmask_b32 v31, v31, v9 :: v_dual_cndmask_b32 v32, v32, v8
	v_cmp_eq_u32_e32 vcc_lo, 5, v28
	s_delay_alu instid0(VALU_DEP_2) | instskip(NEXT) | instid1(VALU_DEP_3)
	v_cndmask_b32_e64 v31, v31, v11, s3
	v_cndmask_b32_e64 v32, v32, v10, s3
	v_cmp_eq_u32_e64 s3, 6, v28
	s_delay_alu instid0(VALU_DEP_2) | instskip(SKIP_1) | instid1(VALU_DEP_2)
	v_dual_cndmask_b32 v31, v31, v13 :: v_dual_cndmask_b32 v32, v32, v12
	v_cmp_eq_u32_e32 vcc_lo, 7, v28
	v_cndmask_b32_e64 v31, v31, v15, s3
	s_delay_alu instid0(VALU_DEP_3) | instskip(SKIP_1) | instid1(VALU_DEP_2)
	v_cndmask_b32_e64 v32, v32, v14, s3
	v_cmp_eq_u32_e64 s3, 8, v28
	v_dual_cndmask_b32 v33, v31, v17 :: v_dual_cndmask_b32 v36, v32, v16
	ds_load_b64 v[31:32], v30
	v_cmp_eq_u32_e32 vcc_lo, 9, v28
	v_add_nc_u32_e32 v30, 8, v30
	v_cndmask_b32_e64 v33, v33, v19, s3
	v_cndmask_b32_e64 v36, v36, v18, s3
	v_cmp_eq_u32_e64 s3, 10, v28
	s_delay_alu instid0(VALU_DEP_2) | instskip(SKIP_1) | instid1(VALU_DEP_2)
	v_dual_cndmask_b32 v33, v33, v21 :: v_dual_cndmask_b32 v36, v36, v20
	v_cmp_eq_u32_e32 vcc_lo, 11, v28
	v_cndmask_b32_e64 v33, v33, v23, s3
	s_delay_alu instid0(VALU_DEP_3) | instskip(NEXT) | instid1(VALU_DEP_1)
	v_cndmask_b32_e64 v36, v36, v22, s3
	v_dual_cndmask_b32 v37, v33, v25 :: v_dual_cndmask_b32 v36, v36, v24
	v_cmp_lt_u32_e32 vcc_lo, 3, v28
	s_waitcnt lgkmcnt(0)
	s_delay_alu instid0(VALU_DEP_2) | instskip(SKIP_1) | instid1(SALU_CYCLE_1)
	v_fma_f64 v[26:27], v[36:37], v[31:32], v[26:27]
	s_or_b32 s6, vcc_lo, s6
	s_and_not1_b32 exec_lo, exec_lo, s6
	s_cbranch_execnz .LBB11_205
; %bb.206:
	s_or_b32 exec_lo, exec_lo, s6
.LBB11_207:
	s_delay_alu instid0(SALU_CYCLE_1)
	s_or_b32 exec_lo, exec_lo, s5
	v_mov_b32_e32 v12, 0
	ds_load_b64 v[12:13], v12 offset:40
	s_waitcnt lgkmcnt(0)
	v_mul_f64 v[12:13], v[26:27], v[12:13]
.LBB11_208:
	s_or_b32 exec_lo, exec_lo, s4
	s_delay_alu instid0(SALU_CYCLE_1)
	s_mov_b32 s4, exec_lo
	ds_store_b64 v92, v[14:15]
	s_waitcnt lgkmcnt(0)
	s_barrier
	buffer_gl0_inv
	v_cmpx_gt_u32_e32 6, v0
	s_cbranch_execz .LBB11_218
; %bb.209:
	v_cmp_ne_u32_e32 vcc_lo, 1, v34
	s_cbranch_vccnz .LBB11_211
; %bb.210:
	v_cmp_eq_u32_e32 vcc_lo, 1, v0
	v_dual_cndmask_b32 v26, v3, v5 :: v_dual_cndmask_b32 v27, v2, v4
	v_cmp_eq_u32_e32 vcc_lo, 2, v0
	s_delay_alu instid0(VALU_DEP_2) | instskip(SKIP_1) | instid1(VALU_DEP_2)
	v_dual_cndmask_b32 v26, v26, v7 :: v_dual_cndmask_b32 v27, v27, v6
	v_cmp_eq_u32_e32 vcc_lo, 3, v0
	v_dual_cndmask_b32 v26, v26, v9 :: v_dual_cndmask_b32 v27, v27, v8
	v_cmp_eq_u32_e32 vcc_lo, 4, v0
	s_delay_alu instid0(VALU_DEP_2) | instskip(SKIP_1) | instid1(VALU_DEP_2)
	v_dual_cndmask_b32 v26, v26, v11 :: v_dual_cndmask_b32 v27, v27, v10
	;; [unrolled: 5-line block ×3, first 2 shown]
	v_cmp_eq_u32_e32 vcc_lo, 7, v0
	v_dual_cndmask_b32 v26, v26, v17 :: v_dual_cndmask_b32 v27, v27, v16
	v_cmp_eq_u32_e32 vcc_lo, 8, v0
	s_delay_alu instid0(VALU_DEP_2) | instskip(SKIP_4) | instid1(VALU_DEP_2)
	v_dual_cndmask_b32 v28, v26, v19 :: v_dual_cndmask_b32 v29, v27, v18
	v_cmp_eq_u32_e32 vcc_lo, 9, v0
	ds_load_b64 v[26:27], v92
	v_dual_cndmask_b32 v28, v28, v21 :: v_dual_cndmask_b32 v29, v29, v20
	v_cmp_eq_u32_e32 vcc_lo, 10, v0
	v_cndmask_b32_e32 v28, v28, v23, vcc_lo
	s_delay_alu instid0(VALU_DEP_3) | instskip(SKIP_1) | instid1(VALU_DEP_2)
	v_cndmask_b32_e32 v30, v29, v22, vcc_lo
	v_cmp_eq_u32_e32 vcc_lo, 11, v0
	v_dual_cndmask_b32 v29, v28, v25 :: v_dual_cndmask_b32 v28, v30, v24
	s_waitcnt lgkmcnt(0)
	s_delay_alu instid0(VALU_DEP_1)
	v_mul_f64 v[26:27], v[28:29], v[26:27]
	s_cbranch_execz .LBB11_212
	s_branch .LBB11_213
.LBB11_211:
                                        ; implicit-def: $vgpr26_vgpr27
.LBB11_212:
	ds_load_b64 v[26:27], v92
.LBB11_213:
	s_mov_b32 s5, exec_lo
	v_cmpx_ne_u32_e32 5, v0
	s_cbranch_execz .LBB11_217
; %bb.214:
	v_lshl_add_u32 v30, v0, 3, 0x68
	v_dual_mov_b32 v29, v1 :: v_dual_mov_b32 v28, v0
	s_mov_b32 s6, 0
.LBB11_215:                             ; =>This Inner Loop Header: Depth=1
	s_delay_alu instid0(VALU_DEP_1) | instskip(NEXT) | instid1(VALU_DEP_2)
	v_add_co_u32 v28, vcc_lo, v28, 1
	v_add_co_ci_u32_e32 v29, vcc_lo, 0, v29, vcc_lo
	s_delay_alu instid0(VALU_DEP_2) | instskip(SKIP_3) | instid1(VALU_DEP_2)
	v_cmp_eq_u32_e32 vcc_lo, 1, v28
	v_cmp_eq_u32_e64 s3, 2, v28
	v_dual_cndmask_b32 v31, v3, v5 :: v_dual_cndmask_b32 v32, v2, v4
	v_cmp_eq_u32_e32 vcc_lo, 3, v28
	v_cndmask_b32_e64 v31, v31, v7, s3
	s_delay_alu instid0(VALU_DEP_3) | instskip(SKIP_1) | instid1(VALU_DEP_2)
	v_cndmask_b32_e64 v32, v32, v6, s3
	v_cmp_eq_u32_e64 s3, 4, v28
	v_dual_cndmask_b32 v31, v31, v9 :: v_dual_cndmask_b32 v32, v32, v8
	v_cmp_eq_u32_e32 vcc_lo, 5, v28
	s_delay_alu instid0(VALU_DEP_2) | instskip(NEXT) | instid1(VALU_DEP_3)
	v_cndmask_b32_e64 v31, v31, v11, s3
	v_cndmask_b32_e64 v32, v32, v10, s3
	v_cmp_eq_u32_e64 s3, 6, v28
	s_delay_alu instid0(VALU_DEP_2) | instskip(SKIP_1) | instid1(VALU_DEP_2)
	v_dual_cndmask_b32 v31, v31, v13 :: v_dual_cndmask_b32 v32, v32, v12
	v_cmp_eq_u32_e32 vcc_lo, 7, v28
	v_cndmask_b32_e64 v31, v31, v15, s3
	s_delay_alu instid0(VALU_DEP_3) | instskip(SKIP_1) | instid1(VALU_DEP_2)
	v_cndmask_b32_e64 v32, v32, v14, s3
	v_cmp_eq_u32_e64 s3, 8, v28
	v_dual_cndmask_b32 v33, v31, v17 :: v_dual_cndmask_b32 v36, v32, v16
	ds_load_b64 v[31:32], v30
	v_cmp_eq_u32_e32 vcc_lo, 9, v28
	v_add_nc_u32_e32 v30, 8, v30
	v_cndmask_b32_e64 v33, v33, v19, s3
	v_cndmask_b32_e64 v36, v36, v18, s3
	v_cmp_eq_u32_e64 s3, 10, v28
	s_delay_alu instid0(VALU_DEP_2) | instskip(SKIP_1) | instid1(VALU_DEP_2)
	v_dual_cndmask_b32 v33, v33, v21 :: v_dual_cndmask_b32 v36, v36, v20
	v_cmp_eq_u32_e32 vcc_lo, 11, v28
	v_cndmask_b32_e64 v33, v33, v23, s3
	s_delay_alu instid0(VALU_DEP_3) | instskip(NEXT) | instid1(VALU_DEP_1)
	v_cndmask_b32_e64 v36, v36, v22, s3
	v_dual_cndmask_b32 v37, v33, v25 :: v_dual_cndmask_b32 v36, v36, v24
	v_cmp_lt_u32_e32 vcc_lo, 4, v28
	s_waitcnt lgkmcnt(0)
	s_delay_alu instid0(VALU_DEP_2) | instskip(SKIP_1) | instid1(SALU_CYCLE_1)
	v_fma_f64 v[26:27], v[36:37], v[31:32], v[26:27]
	s_or_b32 s6, vcc_lo, s6
	s_and_not1_b32 exec_lo, exec_lo, s6
	s_cbranch_execnz .LBB11_215
; %bb.216:
	s_or_b32 exec_lo, exec_lo, s6
.LBB11_217:
	s_delay_alu instid0(SALU_CYCLE_1)
	s_or_b32 exec_lo, exec_lo, s5
	v_mov_b32_e32 v14, 0
	ds_load_b64 v[14:15], v14 offset:48
	s_waitcnt lgkmcnt(0)
	v_mul_f64 v[14:15], v[26:27], v[14:15]
.LBB11_218:
	s_or_b32 exec_lo, exec_lo, s4
	v_cmp_gt_u32_e64 s3, 7, v0
	ds_store_b64 v92, v[16:17]
	s_waitcnt lgkmcnt(0)
	s_barrier
	buffer_gl0_inv
	s_and_saveexec_b32 s5, s3
	s_cbranch_execz .LBB11_228
; %bb.219:
	v_cmp_ne_u32_e32 vcc_lo, 1, v34
	s_cbranch_vccnz .LBB11_221
; %bb.220:
	v_cmp_eq_u32_e32 vcc_lo, 1, v0
	v_dual_cndmask_b32 v26, v3, v5 :: v_dual_cndmask_b32 v27, v2, v4
	v_cmp_eq_u32_e32 vcc_lo, 2, v0
	s_delay_alu instid0(VALU_DEP_2) | instskip(SKIP_1) | instid1(VALU_DEP_2)
	v_dual_cndmask_b32 v26, v26, v7 :: v_dual_cndmask_b32 v27, v27, v6
	v_cmp_eq_u32_e32 vcc_lo, 3, v0
	v_dual_cndmask_b32 v26, v26, v9 :: v_dual_cndmask_b32 v27, v27, v8
	v_cmp_eq_u32_e32 vcc_lo, 4, v0
	s_delay_alu instid0(VALU_DEP_2) | instskip(SKIP_1) | instid1(VALU_DEP_2)
	v_dual_cndmask_b32 v26, v26, v11 :: v_dual_cndmask_b32 v27, v27, v10
	;; [unrolled: 5-line block ×3, first 2 shown]
	v_cmp_eq_u32_e32 vcc_lo, 7, v0
	v_dual_cndmask_b32 v26, v26, v17 :: v_dual_cndmask_b32 v27, v27, v16
	v_cmp_eq_u32_e32 vcc_lo, 8, v0
	s_delay_alu instid0(VALU_DEP_2) | instskip(SKIP_4) | instid1(VALU_DEP_2)
	v_dual_cndmask_b32 v28, v26, v19 :: v_dual_cndmask_b32 v29, v27, v18
	v_cmp_eq_u32_e32 vcc_lo, 9, v0
	ds_load_b64 v[26:27], v92
	v_dual_cndmask_b32 v28, v28, v21 :: v_dual_cndmask_b32 v29, v29, v20
	v_cmp_eq_u32_e32 vcc_lo, 10, v0
	v_cndmask_b32_e32 v28, v28, v23, vcc_lo
	s_delay_alu instid0(VALU_DEP_3) | instskip(SKIP_1) | instid1(VALU_DEP_2)
	v_cndmask_b32_e32 v30, v29, v22, vcc_lo
	v_cmp_eq_u32_e32 vcc_lo, 11, v0
	v_dual_cndmask_b32 v29, v28, v25 :: v_dual_cndmask_b32 v28, v30, v24
	s_waitcnt lgkmcnt(0)
	s_delay_alu instid0(VALU_DEP_1)
	v_mul_f64 v[26:27], v[28:29], v[26:27]
	s_cbranch_execz .LBB11_222
	s_branch .LBB11_223
.LBB11_221:
                                        ; implicit-def: $vgpr26_vgpr27
.LBB11_222:
	ds_load_b64 v[26:27], v92
.LBB11_223:
	s_mov_b32 s6, exec_lo
	v_cmpx_ne_u32_e32 6, v0
	s_cbranch_execz .LBB11_227
; %bb.224:
	v_lshl_add_u32 v30, v0, 3, 0x68
	v_dual_mov_b32 v29, v1 :: v_dual_mov_b32 v28, v0
	s_mov_b32 s7, 0
.LBB11_225:                             ; =>This Inner Loop Header: Depth=1
	s_delay_alu instid0(VALU_DEP_1) | instskip(NEXT) | instid1(VALU_DEP_2)
	v_add_co_u32 v28, vcc_lo, v28, 1
	v_add_co_ci_u32_e32 v29, vcc_lo, 0, v29, vcc_lo
	s_delay_alu instid0(VALU_DEP_2) | instskip(SKIP_3) | instid1(VALU_DEP_2)
	v_cmp_eq_u32_e32 vcc_lo, 1, v28
	v_cmp_eq_u32_e64 s4, 2, v28
	v_dual_cndmask_b32 v31, v3, v5 :: v_dual_cndmask_b32 v32, v2, v4
	v_cmp_eq_u32_e32 vcc_lo, 3, v28
	v_cndmask_b32_e64 v31, v31, v7, s4
	s_delay_alu instid0(VALU_DEP_3) | instskip(SKIP_1) | instid1(VALU_DEP_2)
	v_cndmask_b32_e64 v32, v32, v6, s4
	v_cmp_eq_u32_e64 s4, 4, v28
	v_dual_cndmask_b32 v31, v31, v9 :: v_dual_cndmask_b32 v32, v32, v8
	v_cmp_eq_u32_e32 vcc_lo, 5, v28
	s_delay_alu instid0(VALU_DEP_2) | instskip(NEXT) | instid1(VALU_DEP_3)
	v_cndmask_b32_e64 v31, v31, v11, s4
	v_cndmask_b32_e64 v32, v32, v10, s4
	v_cmp_eq_u32_e64 s4, 6, v28
	s_delay_alu instid0(VALU_DEP_2) | instskip(SKIP_1) | instid1(VALU_DEP_2)
	v_dual_cndmask_b32 v31, v31, v13 :: v_dual_cndmask_b32 v32, v32, v12
	v_cmp_eq_u32_e32 vcc_lo, 7, v28
	v_cndmask_b32_e64 v31, v31, v15, s4
	s_delay_alu instid0(VALU_DEP_3) | instskip(SKIP_1) | instid1(VALU_DEP_2)
	v_cndmask_b32_e64 v32, v32, v14, s4
	v_cmp_eq_u32_e64 s4, 8, v28
	v_dual_cndmask_b32 v33, v31, v17 :: v_dual_cndmask_b32 v36, v32, v16
	ds_load_b64 v[31:32], v30
	v_cmp_eq_u32_e32 vcc_lo, 9, v28
	v_add_nc_u32_e32 v30, 8, v30
	v_cndmask_b32_e64 v33, v33, v19, s4
	v_cndmask_b32_e64 v36, v36, v18, s4
	v_cmp_eq_u32_e64 s4, 10, v28
	s_delay_alu instid0(VALU_DEP_2) | instskip(SKIP_1) | instid1(VALU_DEP_2)
	v_dual_cndmask_b32 v33, v33, v21 :: v_dual_cndmask_b32 v36, v36, v20
	v_cmp_eq_u32_e32 vcc_lo, 11, v28
	v_cndmask_b32_e64 v33, v33, v23, s4
	s_delay_alu instid0(VALU_DEP_3) | instskip(NEXT) | instid1(VALU_DEP_1)
	v_cndmask_b32_e64 v36, v36, v22, s4
	v_dual_cndmask_b32 v37, v33, v25 :: v_dual_cndmask_b32 v36, v36, v24
	v_cmp_lt_u32_e32 vcc_lo, 5, v28
	s_waitcnt lgkmcnt(0)
	s_delay_alu instid0(VALU_DEP_2) | instskip(SKIP_1) | instid1(SALU_CYCLE_1)
	v_fma_f64 v[26:27], v[36:37], v[31:32], v[26:27]
	s_or_b32 s7, vcc_lo, s7
	s_and_not1_b32 exec_lo, exec_lo, s7
	s_cbranch_execnz .LBB11_225
; %bb.226:
	s_or_b32 exec_lo, exec_lo, s7
.LBB11_227:
	s_delay_alu instid0(SALU_CYCLE_1)
	s_or_b32 exec_lo, exec_lo, s6
	v_mov_b32_e32 v16, 0
	ds_load_b64 v[16:17], v16 offset:56
	s_waitcnt lgkmcnt(0)
	v_mul_f64 v[16:17], v[26:27], v[16:17]
.LBB11_228:
	s_or_b32 exec_lo, exec_lo, s5
	s_delay_alu instid0(SALU_CYCLE_1)
	s_mov_b32 s5, exec_lo
	ds_store_b64 v92, v[18:19]
	s_waitcnt lgkmcnt(0)
	s_barrier
	buffer_gl0_inv
	v_cmpx_gt_u32_e32 8, v0
	s_cbranch_execz .LBB11_238
; %bb.229:
	v_cmp_ne_u32_e32 vcc_lo, 1, v34
	s_cbranch_vccnz .LBB11_231
; %bb.230:
	v_cmp_eq_u32_e32 vcc_lo, 1, v0
	v_dual_cndmask_b32 v26, v3, v5 :: v_dual_cndmask_b32 v27, v2, v4
	v_cmp_eq_u32_e32 vcc_lo, 2, v0
	s_delay_alu instid0(VALU_DEP_2) | instskip(SKIP_1) | instid1(VALU_DEP_2)
	v_dual_cndmask_b32 v26, v26, v7 :: v_dual_cndmask_b32 v27, v27, v6
	v_cmp_eq_u32_e32 vcc_lo, 3, v0
	v_dual_cndmask_b32 v26, v26, v9 :: v_dual_cndmask_b32 v27, v27, v8
	v_cmp_eq_u32_e32 vcc_lo, 4, v0
	s_delay_alu instid0(VALU_DEP_2) | instskip(SKIP_1) | instid1(VALU_DEP_2)
	v_dual_cndmask_b32 v26, v26, v11 :: v_dual_cndmask_b32 v27, v27, v10
	;; [unrolled: 5-line block ×3, first 2 shown]
	v_cmp_eq_u32_e32 vcc_lo, 7, v0
	v_dual_cndmask_b32 v26, v26, v17 :: v_dual_cndmask_b32 v27, v27, v16
	v_cmp_eq_u32_e32 vcc_lo, 8, v0
	s_delay_alu instid0(VALU_DEP_2) | instskip(SKIP_4) | instid1(VALU_DEP_2)
	v_dual_cndmask_b32 v28, v26, v19 :: v_dual_cndmask_b32 v29, v27, v18
	v_cmp_eq_u32_e32 vcc_lo, 9, v0
	ds_load_b64 v[26:27], v92
	v_dual_cndmask_b32 v28, v28, v21 :: v_dual_cndmask_b32 v29, v29, v20
	v_cmp_eq_u32_e32 vcc_lo, 10, v0
	v_cndmask_b32_e32 v28, v28, v23, vcc_lo
	s_delay_alu instid0(VALU_DEP_3) | instskip(SKIP_1) | instid1(VALU_DEP_2)
	v_cndmask_b32_e32 v30, v29, v22, vcc_lo
	v_cmp_eq_u32_e32 vcc_lo, 11, v0
	v_dual_cndmask_b32 v29, v28, v25 :: v_dual_cndmask_b32 v28, v30, v24
	s_waitcnt lgkmcnt(0)
	s_delay_alu instid0(VALU_DEP_1)
	v_mul_f64 v[26:27], v[28:29], v[26:27]
	s_cbranch_execz .LBB11_232
	s_branch .LBB11_233
.LBB11_231:
                                        ; implicit-def: $vgpr26_vgpr27
.LBB11_232:
	ds_load_b64 v[26:27], v92
.LBB11_233:
	s_mov_b32 s6, exec_lo
	v_cmpx_ne_u32_e32 7, v0
	s_cbranch_execz .LBB11_237
; %bb.234:
	v_lshl_add_u32 v30, v0, 3, 0x68
	v_dual_mov_b32 v29, v1 :: v_dual_mov_b32 v28, v0
	s_mov_b32 s7, 0
.LBB11_235:                             ; =>This Inner Loop Header: Depth=1
	s_delay_alu instid0(VALU_DEP_1) | instskip(NEXT) | instid1(VALU_DEP_2)
	v_add_co_u32 v28, vcc_lo, v28, 1
	v_add_co_ci_u32_e32 v29, vcc_lo, 0, v29, vcc_lo
	s_delay_alu instid0(VALU_DEP_2) | instskip(SKIP_3) | instid1(VALU_DEP_2)
	v_cmp_eq_u32_e32 vcc_lo, 1, v28
	v_cmp_eq_u32_e64 s4, 2, v28
	v_dual_cndmask_b32 v31, v3, v5 :: v_dual_cndmask_b32 v32, v2, v4
	v_cmp_eq_u32_e32 vcc_lo, 3, v28
	v_cndmask_b32_e64 v31, v31, v7, s4
	s_delay_alu instid0(VALU_DEP_3) | instskip(SKIP_1) | instid1(VALU_DEP_2)
	v_cndmask_b32_e64 v32, v32, v6, s4
	v_cmp_eq_u32_e64 s4, 4, v28
	v_dual_cndmask_b32 v31, v31, v9 :: v_dual_cndmask_b32 v32, v32, v8
	v_cmp_eq_u32_e32 vcc_lo, 5, v28
	s_delay_alu instid0(VALU_DEP_2) | instskip(NEXT) | instid1(VALU_DEP_3)
	v_cndmask_b32_e64 v31, v31, v11, s4
	v_cndmask_b32_e64 v32, v32, v10, s4
	v_cmp_eq_u32_e64 s4, 6, v28
	s_delay_alu instid0(VALU_DEP_2) | instskip(SKIP_1) | instid1(VALU_DEP_2)
	v_dual_cndmask_b32 v31, v31, v13 :: v_dual_cndmask_b32 v32, v32, v12
	v_cmp_eq_u32_e32 vcc_lo, 7, v28
	v_cndmask_b32_e64 v31, v31, v15, s4
	s_delay_alu instid0(VALU_DEP_3) | instskip(SKIP_1) | instid1(VALU_DEP_2)
	v_cndmask_b32_e64 v32, v32, v14, s4
	v_cmp_eq_u32_e64 s4, 8, v28
	v_dual_cndmask_b32 v33, v31, v17 :: v_dual_cndmask_b32 v36, v32, v16
	ds_load_b64 v[31:32], v30
	v_cmp_eq_u32_e32 vcc_lo, 9, v28
	v_add_nc_u32_e32 v30, 8, v30
	v_cndmask_b32_e64 v33, v33, v19, s4
	v_cndmask_b32_e64 v36, v36, v18, s4
	v_cmp_eq_u32_e64 s4, 10, v28
	s_delay_alu instid0(VALU_DEP_2) | instskip(SKIP_1) | instid1(VALU_DEP_2)
	v_dual_cndmask_b32 v33, v33, v21 :: v_dual_cndmask_b32 v36, v36, v20
	v_cmp_eq_u32_e32 vcc_lo, 11, v28
	v_cndmask_b32_e64 v33, v33, v23, s4
	s_delay_alu instid0(VALU_DEP_3) | instskip(NEXT) | instid1(VALU_DEP_1)
	v_cndmask_b32_e64 v36, v36, v22, s4
	v_dual_cndmask_b32 v37, v33, v25 :: v_dual_cndmask_b32 v36, v36, v24
	v_cmp_lt_u32_e32 vcc_lo, 6, v28
	s_waitcnt lgkmcnt(0)
	s_delay_alu instid0(VALU_DEP_2) | instskip(SKIP_1) | instid1(SALU_CYCLE_1)
	v_fma_f64 v[26:27], v[36:37], v[31:32], v[26:27]
	s_or_b32 s7, vcc_lo, s7
	s_and_not1_b32 exec_lo, exec_lo, s7
	s_cbranch_execnz .LBB11_235
; %bb.236:
	s_or_b32 exec_lo, exec_lo, s7
.LBB11_237:
	s_delay_alu instid0(SALU_CYCLE_1)
	s_or_b32 exec_lo, exec_lo, s6
	v_mov_b32_e32 v18, 0
	ds_load_b64 v[18:19], v18 offset:64
	s_waitcnt lgkmcnt(0)
	v_mul_f64 v[18:19], v[26:27], v[18:19]
.LBB11_238:
	s_or_b32 exec_lo, exec_lo, s5
	s_delay_alu instid0(SALU_CYCLE_1)
	s_mov_b32 s4, exec_lo
	ds_store_b64 v92, v[20:21]
	s_waitcnt lgkmcnt(0)
	s_barrier
	buffer_gl0_inv
	v_cmpx_gt_u32_e32 9, v0
	s_cbranch_execz .LBB11_260
; %bb.239:
	v_cmp_ne_u32_e32 vcc_lo, 1, v34
	s_cbranch_vccnz .LBB11_241
; %bb.240:
	v_cmp_eq_u32_e32 vcc_lo, 1, v0
	v_dual_cndmask_b32 v26, v3, v5 :: v_dual_cndmask_b32 v27, v2, v4
	v_cmp_eq_u32_e32 vcc_lo, 2, v0
	s_delay_alu instid0(VALU_DEP_2) | instskip(SKIP_1) | instid1(VALU_DEP_2)
	v_dual_cndmask_b32 v26, v26, v7 :: v_dual_cndmask_b32 v27, v27, v6
	v_cmp_eq_u32_e32 vcc_lo, 3, v0
	v_dual_cndmask_b32 v26, v26, v9 :: v_dual_cndmask_b32 v27, v27, v8
	v_cmp_eq_u32_e32 vcc_lo, 4, v0
	s_delay_alu instid0(VALU_DEP_2) | instskip(SKIP_1) | instid1(VALU_DEP_2)
	v_dual_cndmask_b32 v26, v26, v11 :: v_dual_cndmask_b32 v27, v27, v10
	v_cmp_eq_u32_e32 vcc_lo, 5, v0
	v_dual_cndmask_b32 v26, v26, v13 :: v_dual_cndmask_b32 v27, v27, v12
	v_cmp_eq_u32_e32 vcc_lo, 6, v0
	s_delay_alu instid0(VALU_DEP_2) | instskip(SKIP_1) | instid1(VALU_DEP_2)
	v_dual_cndmask_b32 v26, v26, v15 :: v_dual_cndmask_b32 v27, v27, v14
	v_cmp_eq_u32_e32 vcc_lo, 7, v0
	v_dual_cndmask_b32 v26, v26, v17 :: v_dual_cndmask_b32 v27, v27, v16
	v_cmp_eq_u32_e32 vcc_lo, 8, v0
	s_delay_alu instid0(VALU_DEP_2) | instskip(SKIP_4) | instid1(VALU_DEP_2)
	v_dual_cndmask_b32 v28, v26, v19 :: v_dual_cndmask_b32 v29, v27, v18
	v_cmp_eq_u32_e32 vcc_lo, 9, v0
	ds_load_b64 v[26:27], v92
	v_dual_cndmask_b32 v28, v28, v21 :: v_dual_cndmask_b32 v29, v29, v20
	v_cmp_eq_u32_e32 vcc_lo, 10, v0
	v_cndmask_b32_e32 v28, v28, v23, vcc_lo
	s_delay_alu instid0(VALU_DEP_3) | instskip(SKIP_1) | instid1(VALU_DEP_2)
	v_cndmask_b32_e32 v30, v29, v22, vcc_lo
	v_cmp_eq_u32_e32 vcc_lo, 11, v0
	v_dual_cndmask_b32 v29, v28, v25 :: v_dual_cndmask_b32 v28, v30, v24
	s_waitcnt lgkmcnt(0)
	s_delay_alu instid0(VALU_DEP_1)
	v_mul_f64 v[26:27], v[28:29], v[26:27]
	s_cbranch_execz .LBB11_242
	s_branch .LBB11_243
.LBB11_241:
                                        ; implicit-def: $vgpr26_vgpr27
.LBB11_242:
	ds_load_b64 v[26:27], v92
.LBB11_243:
	s_mov_b32 s5, exec_lo
	v_cmpx_ne_u32_e32 8, v0
	s_cbranch_execz .LBB11_259
; %bb.244:
	v_cmp_eq_u32_e32 vcc_lo, 1, v35
	v_dual_cndmask_b32 v28, v3, v5 :: v_dual_cndmask_b32 v29, v2, v4
	v_cmp_eq_u32_e32 vcc_lo, 2, v35
	s_delay_alu instid0(VALU_DEP_2) | instskip(SKIP_1) | instid1(VALU_DEP_2)
	v_dual_cndmask_b32 v28, v28, v7 :: v_dual_cndmask_b32 v29, v29, v6
	v_cmp_eq_u32_e32 vcc_lo, 3, v35
	v_dual_cndmask_b32 v28, v28, v9 :: v_dual_cndmask_b32 v29, v29, v8
	v_cmp_eq_u32_e32 vcc_lo, 4, v35
	s_delay_alu instid0(VALU_DEP_2) | instskip(SKIP_1) | instid1(VALU_DEP_2)
	v_dual_cndmask_b32 v28, v28, v11 :: v_dual_cndmask_b32 v29, v29, v10
	;; [unrolled: 5-line block ×3, first 2 shown]
	v_cmp_eq_u32_e32 vcc_lo, 7, v35
	v_dual_cndmask_b32 v28, v28, v17 :: v_dual_cndmask_b32 v29, v29, v16
	v_cmp_eq_u32_e32 vcc_lo, 8, v35
	s_delay_alu instid0(VALU_DEP_2) | instskip(SKIP_4) | instid1(VALU_DEP_2)
	v_dual_cndmask_b32 v30, v28, v19 :: v_dual_cndmask_b32 v31, v29, v18
	v_cmp_eq_u32_e32 vcc_lo, 9, v35
	ds_load_b64 v[28:29], v92 offset:8
	v_dual_cndmask_b32 v30, v30, v21 :: v_dual_cndmask_b32 v31, v31, v20
	v_cmp_eq_u32_e32 vcc_lo, 10, v35
	v_cndmask_b32_e32 v30, v30, v23, vcc_lo
	s_delay_alu instid0(VALU_DEP_3) | instskip(SKIP_1) | instid1(VALU_DEP_2)
	v_cndmask_b32_e32 v32, v31, v22, vcc_lo
	v_cmp_eq_u32_e32 vcc_lo, 11, v35
	v_dual_cndmask_b32 v31, v30, v25 :: v_dual_cndmask_b32 v30, v32, v24
	s_waitcnt lgkmcnt(0)
	s_delay_alu instid0(VALU_DEP_1)
	v_fma_f64 v[26:27], v[30:31], v[28:29], v[26:27]
	s_and_saveexec_b32 s6, s3
	s_cbranch_execz .LBB11_258
; %bb.245:
	v_add_nc_u32_e32 v30, 2, v0
	s_mov_b32 s3, exec_lo
	s_delay_alu instid0(VALU_DEP_1) | instskip(SKIP_2) | instid1(VALU_DEP_2)
	v_cmp_eq_u32_e32 vcc_lo, 1, v30
	v_dual_cndmask_b32 v28, v3, v5 :: v_dual_cndmask_b32 v29, v2, v4
	v_cmp_eq_u32_e32 vcc_lo, 2, v30
	v_dual_cndmask_b32 v29, v29, v6 :: v_dual_cndmask_b32 v28, v28, v7
	v_cmp_eq_u32_e32 vcc_lo, 3, v30
	s_delay_alu instid0(VALU_DEP_2) | instskip(SKIP_1) | instid1(VALU_DEP_2)
	v_dual_cndmask_b32 v29, v29, v8 :: v_dual_cndmask_b32 v28, v28, v9
	v_cmp_eq_u32_e32 vcc_lo, 4, v30
	v_dual_cndmask_b32 v29, v29, v10 :: v_dual_cndmask_b32 v28, v28, v11
	v_cmp_eq_u32_e32 vcc_lo, 5, v30
	s_delay_alu instid0(VALU_DEP_2) | instskip(SKIP_1) | instid1(VALU_DEP_2)
	;; [unrolled: 5-line block ×3, first 2 shown]
	v_dual_cndmask_b32 v29, v29, v16 :: v_dual_cndmask_b32 v28, v28, v17
	v_cmp_eq_u32_e32 vcc_lo, 8, v30
	v_dual_cndmask_b32 v31, v28, v19 :: v_dual_cndmask_b32 v32, v29, v18
	v_cmp_eq_u32_e32 vcc_lo, 9, v30
	ds_load_b64 v[28:29], v92 offset:16
	v_dual_cndmask_b32 v31, v31, v21 :: v_dual_cndmask_b32 v32, v32, v20
	v_cmp_eq_u32_e32 vcc_lo, 10, v30
	s_delay_alu instid0(VALU_DEP_2) | instskip(SKIP_1) | instid1(VALU_DEP_2)
	v_dual_cndmask_b32 v31, v31, v23 :: v_dual_cndmask_b32 v32, v32, v22
	v_cmp_eq_u32_e32 vcc_lo, 11, v30
	v_dual_cndmask_b32 v31, v31, v25 :: v_dual_cndmask_b32 v30, v32, v24
	s_waitcnt lgkmcnt(0)
	s_delay_alu instid0(VALU_DEP_1)
	v_fma_f64 v[26:27], v[30:31], v[28:29], v[26:27]
	v_cmpx_ne_u32_e32 6, v0
	s_cbranch_execz .LBB11_257
; %bb.246:
	v_add_nc_u32_e32 v30, 3, v0
	s_delay_alu instid0(VALU_DEP_1) | instskip(SKIP_2) | instid1(VALU_DEP_2)
	v_cmp_eq_u32_e32 vcc_lo, 1, v30
	v_dual_cndmask_b32 v28, v3, v5 :: v_dual_cndmask_b32 v29, v2, v4
	v_cmp_eq_u32_e32 vcc_lo, 2, v30
	v_dual_cndmask_b32 v29, v29, v6 :: v_dual_cndmask_b32 v28, v28, v7
	v_cmp_eq_u32_e32 vcc_lo, 3, v30
	s_delay_alu instid0(VALU_DEP_2) | instskip(SKIP_1) | instid1(VALU_DEP_2)
	v_dual_cndmask_b32 v29, v29, v8 :: v_dual_cndmask_b32 v28, v28, v9
	v_cmp_eq_u32_e32 vcc_lo, 4, v30
	v_dual_cndmask_b32 v29, v29, v10 :: v_dual_cndmask_b32 v28, v28, v11
	v_cmp_eq_u32_e32 vcc_lo, 5, v30
	s_delay_alu instid0(VALU_DEP_2) | instskip(SKIP_1) | instid1(VALU_DEP_2)
	v_dual_cndmask_b32 v29, v29, v12 :: v_dual_cndmask_b32 v28, v28, v13
	v_cmp_eq_u32_e32 vcc_lo, 6, v30
	v_dual_cndmask_b32 v29, v29, v14 :: v_dual_cndmask_b32 v28, v28, v15
	v_cmp_eq_u32_e32 vcc_lo, 7, v30
	s_delay_alu instid0(VALU_DEP_2) | instskip(SKIP_1) | instid1(VALU_DEP_2)
	v_dual_cndmask_b32 v29, v29, v16 :: v_dual_cndmask_b32 v28, v28, v17
	v_cmp_eq_u32_e32 vcc_lo, 8, v30
	v_dual_cndmask_b32 v31, v28, v19 :: v_dual_cndmask_b32 v32, v29, v18
	v_cmp_eq_u32_e32 vcc_lo, 9, v30
	ds_load_b64 v[28:29], v92 offset:24
	v_dual_cndmask_b32 v31, v31, v21 :: v_dual_cndmask_b32 v32, v32, v20
	v_cmp_eq_u32_e32 vcc_lo, 10, v30
	s_delay_alu instid0(VALU_DEP_2) | instskip(SKIP_1) | instid1(VALU_DEP_2)
	v_dual_cndmask_b32 v31, v31, v23 :: v_dual_cndmask_b32 v32, v32, v22
	v_cmp_eq_u32_e32 vcc_lo, 11, v30
	v_dual_cndmask_b32 v31, v31, v25 :: v_dual_cndmask_b32 v30, v32, v24
	s_waitcnt lgkmcnt(0)
	s_delay_alu instid0(VALU_DEP_1)
	v_fma_f64 v[26:27], v[30:31], v[28:29], v[26:27]
	s_and_saveexec_b32 s7, s2
	s_cbranch_execz .LBB11_256
; %bb.247:
	v_add_nc_u32_e32 v30, 4, v0
	s_mov_b32 s2, exec_lo
	s_delay_alu instid0(VALU_DEP_1) | instskip(SKIP_2) | instid1(VALU_DEP_2)
	v_cmp_eq_u32_e32 vcc_lo, 1, v30
	v_dual_cndmask_b32 v28, v3, v5 :: v_dual_cndmask_b32 v29, v2, v4
	v_cmp_eq_u32_e32 vcc_lo, 2, v30
	v_dual_cndmask_b32 v29, v29, v6 :: v_dual_cndmask_b32 v28, v28, v7
	v_cmp_eq_u32_e32 vcc_lo, 3, v30
	s_delay_alu instid0(VALU_DEP_2) | instskip(SKIP_1) | instid1(VALU_DEP_2)
	v_dual_cndmask_b32 v29, v29, v8 :: v_dual_cndmask_b32 v28, v28, v9
	v_cmp_eq_u32_e32 vcc_lo, 4, v30
	v_dual_cndmask_b32 v29, v29, v10 :: v_dual_cndmask_b32 v28, v28, v11
	v_cmp_eq_u32_e32 vcc_lo, 5, v30
	s_delay_alu instid0(VALU_DEP_2) | instskip(SKIP_1) | instid1(VALU_DEP_2)
	v_dual_cndmask_b32 v29, v29, v12 :: v_dual_cndmask_b32 v28, v28, v13
	v_cmp_eq_u32_e32 vcc_lo, 6, v30
	v_dual_cndmask_b32 v29, v29, v14 :: v_dual_cndmask_b32 v28, v28, v15
	v_cmp_eq_u32_e32 vcc_lo, 7, v30
	s_delay_alu instid0(VALU_DEP_2) | instskip(SKIP_1) | instid1(VALU_DEP_2)
	v_dual_cndmask_b32 v29, v29, v16 :: v_dual_cndmask_b32 v28, v28, v17
	v_cmp_eq_u32_e32 vcc_lo, 8, v30
	v_dual_cndmask_b32 v31, v28, v19 :: v_dual_cndmask_b32 v32, v29, v18
	v_cmp_eq_u32_e32 vcc_lo, 9, v30
	ds_load_b64 v[28:29], v92 offset:32
	v_dual_cndmask_b32 v31, v31, v21 :: v_dual_cndmask_b32 v32, v32, v20
	v_cmp_eq_u32_e32 vcc_lo, 10, v30
	s_delay_alu instid0(VALU_DEP_2) | instskip(SKIP_1) | instid1(VALU_DEP_2)
	v_dual_cndmask_b32 v31, v31, v23 :: v_dual_cndmask_b32 v32, v32, v22
	v_cmp_eq_u32_e32 vcc_lo, 11, v30
	v_dual_cndmask_b32 v31, v31, v25 :: v_dual_cndmask_b32 v30, v32, v24
	s_waitcnt lgkmcnt(0)
	s_delay_alu instid0(VALU_DEP_1)
	v_fma_f64 v[26:27], v[30:31], v[28:29], v[26:27]
	v_cmpx_ne_u32_e32 4, v0
	s_cbranch_execz .LBB11_255
; %bb.248:
	v_add_nc_u32_e32 v30, 5, v0
	s_delay_alu instid0(VALU_DEP_1) | instskip(SKIP_2) | instid1(VALU_DEP_2)
	v_cmp_eq_u32_e32 vcc_lo, 1, v30
	v_dual_cndmask_b32 v28, v3, v5 :: v_dual_cndmask_b32 v29, v2, v4
	v_cmp_eq_u32_e32 vcc_lo, 2, v30
	v_dual_cndmask_b32 v29, v29, v6 :: v_dual_cndmask_b32 v28, v28, v7
	v_cmp_eq_u32_e32 vcc_lo, 3, v30
	s_delay_alu instid0(VALU_DEP_2) | instskip(SKIP_1) | instid1(VALU_DEP_2)
	v_dual_cndmask_b32 v29, v29, v8 :: v_dual_cndmask_b32 v28, v28, v9
	v_cmp_eq_u32_e32 vcc_lo, 4, v30
	v_dual_cndmask_b32 v29, v29, v10 :: v_dual_cndmask_b32 v28, v28, v11
	v_cmp_eq_u32_e32 vcc_lo, 5, v30
	s_delay_alu instid0(VALU_DEP_2) | instskip(SKIP_1) | instid1(VALU_DEP_2)
	;; [unrolled: 5-line block ×3, first 2 shown]
	v_dual_cndmask_b32 v29, v29, v16 :: v_dual_cndmask_b32 v28, v28, v17
	v_cmp_eq_u32_e32 vcc_lo, 8, v30
	v_dual_cndmask_b32 v31, v28, v19 :: v_dual_cndmask_b32 v32, v29, v18
	v_cmp_eq_u32_e32 vcc_lo, 9, v30
	ds_load_b64 v[28:29], v92 offset:40
	v_dual_cndmask_b32 v31, v31, v21 :: v_dual_cndmask_b32 v32, v32, v20
	v_cmp_eq_u32_e32 vcc_lo, 10, v30
	s_delay_alu instid0(VALU_DEP_2) | instskip(SKIP_1) | instid1(VALU_DEP_2)
	v_dual_cndmask_b32 v31, v31, v23 :: v_dual_cndmask_b32 v32, v32, v22
	v_cmp_eq_u32_e32 vcc_lo, 11, v30
	v_dual_cndmask_b32 v31, v31, v25 :: v_dual_cndmask_b32 v30, v32, v24
	s_waitcnt lgkmcnt(0)
	s_delay_alu instid0(VALU_DEP_1)
	v_fma_f64 v[26:27], v[30:31], v[28:29], v[26:27]
	s_and_saveexec_b32 s8, s1
	s_cbranch_execz .LBB11_254
; %bb.249:
	v_add_nc_u32_e32 v30, 6, v0
	s_mov_b32 s1, exec_lo
	s_delay_alu instid0(VALU_DEP_1) | instskip(SKIP_2) | instid1(VALU_DEP_2)
	v_cmp_eq_u32_e32 vcc_lo, 1, v30
	v_dual_cndmask_b32 v28, v3, v5 :: v_dual_cndmask_b32 v29, v2, v4
	v_cmp_eq_u32_e32 vcc_lo, 2, v30
	v_dual_cndmask_b32 v29, v29, v6 :: v_dual_cndmask_b32 v28, v28, v7
	v_cmp_eq_u32_e32 vcc_lo, 3, v30
	s_delay_alu instid0(VALU_DEP_2) | instskip(SKIP_1) | instid1(VALU_DEP_2)
	v_dual_cndmask_b32 v29, v29, v8 :: v_dual_cndmask_b32 v28, v28, v9
	v_cmp_eq_u32_e32 vcc_lo, 4, v30
	v_dual_cndmask_b32 v29, v29, v10 :: v_dual_cndmask_b32 v28, v28, v11
	v_cmp_eq_u32_e32 vcc_lo, 5, v30
	s_delay_alu instid0(VALU_DEP_2) | instskip(SKIP_1) | instid1(VALU_DEP_2)
	;; [unrolled: 5-line block ×3, first 2 shown]
	v_dual_cndmask_b32 v29, v29, v16 :: v_dual_cndmask_b32 v28, v28, v17
	v_cmp_eq_u32_e32 vcc_lo, 8, v30
	v_dual_cndmask_b32 v31, v28, v19 :: v_dual_cndmask_b32 v32, v29, v18
	v_cmp_eq_u32_e32 vcc_lo, 9, v30
	ds_load_b64 v[28:29], v92 offset:48
	v_dual_cndmask_b32 v31, v31, v21 :: v_dual_cndmask_b32 v32, v32, v20
	v_cmp_eq_u32_e32 vcc_lo, 10, v30
	s_delay_alu instid0(VALU_DEP_2) | instskip(SKIP_1) | instid1(VALU_DEP_2)
	v_dual_cndmask_b32 v31, v31, v23 :: v_dual_cndmask_b32 v32, v32, v22
	v_cmp_eq_u32_e32 vcc_lo, 11, v30
	v_dual_cndmask_b32 v31, v31, v25 :: v_dual_cndmask_b32 v30, v32, v24
	s_waitcnt lgkmcnt(0)
	s_delay_alu instid0(VALU_DEP_1)
	v_fma_f64 v[26:27], v[30:31], v[28:29], v[26:27]
	v_cmpx_ne_u32_e32 2, v0
	s_cbranch_execz .LBB11_253
; %bb.250:
	v_add_nc_u32_e32 v30, 7, v0
	s_delay_alu instid0(VALU_DEP_1) | instskip(SKIP_2) | instid1(VALU_DEP_2)
	v_cmp_eq_u32_e32 vcc_lo, 1, v30
	v_dual_cndmask_b32 v28, v3, v5 :: v_dual_cndmask_b32 v29, v2, v4
	v_cmp_eq_u32_e32 vcc_lo, 2, v30
	v_dual_cndmask_b32 v29, v29, v6 :: v_dual_cndmask_b32 v28, v28, v7
	v_cmp_eq_u32_e32 vcc_lo, 3, v30
	s_delay_alu instid0(VALU_DEP_2) | instskip(SKIP_1) | instid1(VALU_DEP_2)
	v_dual_cndmask_b32 v29, v29, v8 :: v_dual_cndmask_b32 v28, v28, v9
	v_cmp_eq_u32_e32 vcc_lo, 4, v30
	v_dual_cndmask_b32 v29, v29, v10 :: v_dual_cndmask_b32 v28, v28, v11
	v_cmp_eq_u32_e32 vcc_lo, 5, v30
	s_delay_alu instid0(VALU_DEP_2) | instskip(SKIP_1) | instid1(VALU_DEP_2)
	v_dual_cndmask_b32 v29, v29, v12 :: v_dual_cndmask_b32 v28, v28, v13
	v_cmp_eq_u32_e32 vcc_lo, 6, v30
	v_dual_cndmask_b32 v29, v29, v14 :: v_dual_cndmask_b32 v28, v28, v15
	v_cmp_eq_u32_e32 vcc_lo, 7, v30
	s_delay_alu instid0(VALU_DEP_2) | instskip(SKIP_1) | instid1(VALU_DEP_2)
	v_dual_cndmask_b32 v29, v29, v16 :: v_dual_cndmask_b32 v28, v28, v17
	v_cmp_eq_u32_e32 vcc_lo, 8, v30
	v_dual_cndmask_b32 v31, v28, v19 :: v_dual_cndmask_b32 v32, v29, v18
	v_cmp_eq_u32_e32 vcc_lo, 9, v30
	ds_load_b64 v[28:29], v92 offset:56
	v_dual_cndmask_b32 v21, v31, v21 :: v_dual_cndmask_b32 v20, v32, v20
	v_cmp_eq_u32_e32 vcc_lo, 10, v30
	s_delay_alu instid0(VALU_DEP_2) | instskip(SKIP_1) | instid1(VALU_DEP_2)
	v_dual_cndmask_b32 v21, v21, v23 :: v_dual_cndmask_b32 v20, v20, v22
	v_cmp_eq_u32_e32 vcc_lo, 11, v30
	v_dual_cndmask_b32 v21, v21, v25 :: v_dual_cndmask_b32 v20, v20, v24
	s_waitcnt lgkmcnt(0)
	s_delay_alu instid0(VALU_DEP_1)
	v_fma_f64 v[26:27], v[20:21], v[28:29], v[26:27]
	s_and_saveexec_b32 s9, s0
	s_cbranch_execz .LBB11_252
; %bb.251:
	ds_load_b64 v[20:21], v92 offset:64
	s_waitcnt lgkmcnt(0)
	v_fma_f64 v[26:27], v[18:19], v[20:21], v[26:27]
.LBB11_252:
	s_or_b32 exec_lo, exec_lo, s9
.LBB11_253:
	s_delay_alu instid0(SALU_CYCLE_1)
	s_or_b32 exec_lo, exec_lo, s1
.LBB11_254:
	s_delay_alu instid0(SALU_CYCLE_1)
	s_or_b32 exec_lo, exec_lo, s8
.LBB11_255:
	s_delay_alu instid0(SALU_CYCLE_1)
	s_or_b32 exec_lo, exec_lo, s2
.LBB11_256:
	s_delay_alu instid0(SALU_CYCLE_1)
	s_or_b32 exec_lo, exec_lo, s7
.LBB11_257:
	s_delay_alu instid0(SALU_CYCLE_1)
	s_or_b32 exec_lo, exec_lo, s3
.LBB11_258:
	s_delay_alu instid0(SALU_CYCLE_1)
	s_or_b32 exec_lo, exec_lo, s6
.LBB11_259:
	s_delay_alu instid0(SALU_CYCLE_1)
	s_or_b32 exec_lo, exec_lo, s5
	v_mov_b32_e32 v20, 0
	ds_load_b64 v[20:21], v20 offset:72
	s_waitcnt lgkmcnt(0)
	v_mul_f64 v[20:21], v[26:27], v[20:21]
.LBB11_260:
	s_or_b32 exec_lo, exec_lo, s4
	v_cmp_gt_u32_e64 s0, 10, v0
	ds_store_b64 v92, v[22:23]
	s_waitcnt lgkmcnt(0)
	s_barrier
	buffer_gl0_inv
	s_and_saveexec_b32 s2, s0
	s_cbranch_execz .LBB11_270
; %bb.261:
	v_cmp_ne_u32_e32 vcc_lo, 1, v34
	s_cbranch_vccnz .LBB11_263
; %bb.262:
	v_cmp_eq_u32_e32 vcc_lo, 1, v0
	v_dual_cndmask_b32 v26, v3, v5 :: v_dual_cndmask_b32 v27, v2, v4
	v_cmp_eq_u32_e32 vcc_lo, 2, v0
	s_delay_alu instid0(VALU_DEP_2) | instskip(SKIP_1) | instid1(VALU_DEP_2)
	v_dual_cndmask_b32 v26, v26, v7 :: v_dual_cndmask_b32 v27, v27, v6
	v_cmp_eq_u32_e32 vcc_lo, 3, v0
	v_dual_cndmask_b32 v26, v26, v9 :: v_dual_cndmask_b32 v27, v27, v8
	v_cmp_eq_u32_e32 vcc_lo, 4, v0
	s_delay_alu instid0(VALU_DEP_2) | instskip(SKIP_1) | instid1(VALU_DEP_2)
	v_dual_cndmask_b32 v26, v26, v11 :: v_dual_cndmask_b32 v27, v27, v10
	;; [unrolled: 5-line block ×3, first 2 shown]
	v_cmp_eq_u32_e32 vcc_lo, 7, v0
	v_dual_cndmask_b32 v26, v26, v17 :: v_dual_cndmask_b32 v27, v27, v16
	v_cmp_eq_u32_e32 vcc_lo, 8, v0
	s_delay_alu instid0(VALU_DEP_2) | instskip(SKIP_4) | instid1(VALU_DEP_2)
	v_dual_cndmask_b32 v28, v26, v19 :: v_dual_cndmask_b32 v29, v27, v18
	v_cmp_eq_u32_e32 vcc_lo, 9, v0
	ds_load_b64 v[26:27], v92
	v_dual_cndmask_b32 v28, v28, v21 :: v_dual_cndmask_b32 v29, v29, v20
	v_cmp_eq_u32_e32 vcc_lo, 10, v0
	v_cndmask_b32_e32 v28, v28, v23, vcc_lo
	s_delay_alu instid0(VALU_DEP_3) | instskip(SKIP_1) | instid1(VALU_DEP_2)
	v_cndmask_b32_e32 v30, v29, v22, vcc_lo
	v_cmp_eq_u32_e32 vcc_lo, 11, v0
	v_dual_cndmask_b32 v29, v28, v25 :: v_dual_cndmask_b32 v28, v30, v24
	s_waitcnt lgkmcnt(0)
	s_delay_alu instid0(VALU_DEP_1)
	v_mul_f64 v[26:27], v[28:29], v[26:27]
	s_cbranch_execz .LBB11_264
	s_branch .LBB11_265
.LBB11_263:
                                        ; implicit-def: $vgpr26_vgpr27
.LBB11_264:
	ds_load_b64 v[26:27], v92
.LBB11_265:
	s_mov_b32 s3, exec_lo
	v_cmpx_ne_u32_e32 9, v0
	s_cbranch_execz .LBB11_269
; %bb.266:
	v_lshl_add_u32 v30, v0, 3, 0x68
	v_dual_mov_b32 v29, v1 :: v_dual_mov_b32 v28, v0
	s_mov_b32 s4, 0
.LBB11_267:                             ; =>This Inner Loop Header: Depth=1
	s_delay_alu instid0(VALU_DEP_1) | instskip(NEXT) | instid1(VALU_DEP_2)
	v_add_co_u32 v28, vcc_lo, v28, 1
	v_add_co_ci_u32_e32 v29, vcc_lo, 0, v29, vcc_lo
	s_delay_alu instid0(VALU_DEP_2) | instskip(SKIP_3) | instid1(VALU_DEP_2)
	v_cmp_eq_u32_e32 vcc_lo, 1, v28
	v_cmp_eq_u32_e64 s1, 2, v28
	v_dual_cndmask_b32 v31, v3, v5 :: v_dual_cndmask_b32 v32, v2, v4
	v_cmp_eq_u32_e32 vcc_lo, 3, v28
	v_cndmask_b32_e64 v31, v31, v7, s1
	s_delay_alu instid0(VALU_DEP_3) | instskip(SKIP_1) | instid1(VALU_DEP_2)
	v_cndmask_b32_e64 v32, v32, v6, s1
	v_cmp_eq_u32_e64 s1, 4, v28
	v_dual_cndmask_b32 v31, v31, v9 :: v_dual_cndmask_b32 v32, v32, v8
	v_cmp_eq_u32_e32 vcc_lo, 5, v28
	s_delay_alu instid0(VALU_DEP_2) | instskip(NEXT) | instid1(VALU_DEP_3)
	v_cndmask_b32_e64 v31, v31, v11, s1
	v_cndmask_b32_e64 v32, v32, v10, s1
	v_cmp_eq_u32_e64 s1, 6, v28
	s_delay_alu instid0(VALU_DEP_2) | instskip(SKIP_1) | instid1(VALU_DEP_2)
	v_dual_cndmask_b32 v31, v31, v13 :: v_dual_cndmask_b32 v32, v32, v12
	v_cmp_eq_u32_e32 vcc_lo, 7, v28
	v_cndmask_b32_e64 v31, v31, v15, s1
	s_delay_alu instid0(VALU_DEP_3) | instskip(SKIP_1) | instid1(VALU_DEP_3)
	v_cndmask_b32_e64 v32, v32, v14, s1
	v_cmp_eq_u32_e64 s1, 8, v28
	v_cndmask_b32_e32 v33, v31, v17, vcc_lo
	s_delay_alu instid0(VALU_DEP_3)
	v_cndmask_b32_e32 v35, v32, v16, vcc_lo
	ds_load_b64 v[31:32], v30
	v_cmp_eq_u32_e32 vcc_lo, 9, v28
	v_add_nc_u32_e32 v30, 8, v30
	v_cndmask_b32_e64 v33, v33, v19, s1
	v_cndmask_b32_e64 v35, v35, v18, s1
	v_cmp_eq_u32_e64 s1, 10, v28
	s_delay_alu instid0(VALU_DEP_3) | instskip(NEXT) | instid1(VALU_DEP_3)
	v_cndmask_b32_e32 v33, v33, v21, vcc_lo
	v_cndmask_b32_e32 v35, v35, v20, vcc_lo
	v_cmp_eq_u32_e32 vcc_lo, 11, v28
	s_delay_alu instid0(VALU_DEP_3) | instskip(NEXT) | instid1(VALU_DEP_3)
	v_cndmask_b32_e64 v33, v33, v23, s1
	v_cndmask_b32_e64 v35, v35, v22, s1
	s_delay_alu instid0(VALU_DEP_1) | instskip(SKIP_2) | instid1(VALU_DEP_2)
	v_dual_cndmask_b32 v36, v33, v25 :: v_dual_cndmask_b32 v35, v35, v24
	v_cmp_lt_u32_e32 vcc_lo, 8, v28
	s_waitcnt lgkmcnt(0)
	v_fma_f64 v[26:27], v[35:36], v[31:32], v[26:27]
	s_or_b32 s4, vcc_lo, s4
	s_delay_alu instid0(SALU_CYCLE_1)
	s_and_not1_b32 exec_lo, exec_lo, s4
	s_cbranch_execnz .LBB11_267
; %bb.268:
	s_or_b32 exec_lo, exec_lo, s4
.LBB11_269:
	s_delay_alu instid0(SALU_CYCLE_1)
	s_or_b32 exec_lo, exec_lo, s3
	v_mov_b32_e32 v22, 0
	ds_load_b64 v[22:23], v22 offset:80
	s_waitcnt lgkmcnt(0)
	v_mul_f64 v[22:23], v[26:27], v[22:23]
.LBB11_270:
	s_or_b32 exec_lo, exec_lo, s2
	s_delay_alu instid0(SALU_CYCLE_1)
	s_mov_b32 s1, exec_lo
	ds_store_b64 v92, v[24:25]
	s_waitcnt lgkmcnt(0)
	s_barrier
	buffer_gl0_inv
	v_cmpx_ne_u32_e32 11, v0
	s_cbranch_execz .LBB11_280
; %bb.271:
	v_cmp_ne_u32_e32 vcc_lo, 1, v34
	s_cbranch_vccnz .LBB11_273
; %bb.272:
	v_cmp_eq_u32_e32 vcc_lo, 1, v0
	v_dual_cndmask_b32 v26, v3, v5 :: v_dual_cndmask_b32 v27, v2, v4
	v_cmp_eq_u32_e32 vcc_lo, 2, v0
	s_delay_alu instid0(VALU_DEP_2) | instskip(SKIP_1) | instid1(VALU_DEP_2)
	v_dual_cndmask_b32 v26, v26, v7 :: v_dual_cndmask_b32 v27, v27, v6
	v_cmp_eq_u32_e32 vcc_lo, 3, v0
	v_dual_cndmask_b32 v26, v26, v9 :: v_dual_cndmask_b32 v27, v27, v8
	v_cmp_eq_u32_e32 vcc_lo, 4, v0
	s_delay_alu instid0(VALU_DEP_2) | instskip(SKIP_1) | instid1(VALU_DEP_2)
	v_dual_cndmask_b32 v26, v26, v11 :: v_dual_cndmask_b32 v27, v27, v10
	v_cmp_eq_u32_e32 vcc_lo, 5, v0
	v_dual_cndmask_b32 v26, v26, v13 :: v_dual_cndmask_b32 v27, v27, v12
	v_cmp_eq_u32_e32 vcc_lo, 6, v0
	s_delay_alu instid0(VALU_DEP_2) | instskip(SKIP_1) | instid1(VALU_DEP_2)
	v_dual_cndmask_b32 v26, v26, v15 :: v_dual_cndmask_b32 v27, v27, v14
	v_cmp_eq_u32_e32 vcc_lo, 7, v0
	v_dual_cndmask_b32 v26, v26, v17 :: v_dual_cndmask_b32 v27, v27, v16
	v_cmp_eq_u32_e32 vcc_lo, 8, v0
	s_delay_alu instid0(VALU_DEP_2) | instskip(SKIP_4) | instid1(VALU_DEP_2)
	v_dual_cndmask_b32 v28, v26, v19 :: v_dual_cndmask_b32 v29, v27, v18
	v_cmp_eq_u32_e32 vcc_lo, 9, v0
	ds_load_b64 v[26:27], v92
	v_dual_cndmask_b32 v28, v28, v21 :: v_dual_cndmask_b32 v29, v29, v20
	v_cmp_eq_u32_e32 vcc_lo, 10, v0
	v_cndmask_b32_e32 v28, v28, v23, vcc_lo
	s_delay_alu instid0(VALU_DEP_3) | instskip(SKIP_1) | instid1(VALU_DEP_2)
	v_cndmask_b32_e32 v30, v29, v22, vcc_lo
	v_cmp_eq_u32_e32 vcc_lo, 11, v0
	v_dual_cndmask_b32 v29, v28, v25 :: v_dual_cndmask_b32 v28, v30, v24
	s_waitcnt lgkmcnt(0)
	s_delay_alu instid0(VALU_DEP_1)
	v_mul_f64 v[26:27], v[28:29], v[26:27]
	s_cbranch_execz .LBB11_274
	s_branch .LBB11_275
.LBB11_273:
                                        ; implicit-def: $vgpr26_vgpr27
.LBB11_274:
	ds_load_b64 v[26:27], v92
.LBB11_275:
	s_and_saveexec_b32 s2, s0
	s_cbranch_execz .LBB11_279
; %bb.276:
	v_lshl_add_u32 v28, v0, 3, 0x68
	s_mov_b32 s3, 0
.LBB11_277:                             ; =>This Inner Loop Header: Depth=1
	v_add_co_u32 v0, vcc_lo, v0, 1
	v_add_co_ci_u32_e32 v1, vcc_lo, 0, v1, vcc_lo
	s_delay_alu instid0(VALU_DEP_2) | instskip(SKIP_3) | instid1(VALU_DEP_2)
	v_cmp_eq_u32_e32 vcc_lo, 1, v0
	v_cmp_eq_u32_e64 s0, 2, v0
	v_dual_cndmask_b32 v29, v3, v5 :: v_dual_cndmask_b32 v30, v2, v4
	v_cmp_eq_u32_e32 vcc_lo, 3, v0
	v_cndmask_b32_e64 v29, v29, v7, s0
	s_delay_alu instid0(VALU_DEP_3) | instskip(SKIP_1) | instid1(VALU_DEP_2)
	v_cndmask_b32_e64 v30, v30, v6, s0
	v_cmp_eq_u32_e64 s0, 4, v0
	v_dual_cndmask_b32 v29, v29, v9 :: v_dual_cndmask_b32 v30, v30, v8
	v_cmp_eq_u32_e32 vcc_lo, 5, v0
	s_delay_alu instid0(VALU_DEP_2) | instskip(NEXT) | instid1(VALU_DEP_3)
	v_cndmask_b32_e64 v29, v29, v11, s0
	v_cndmask_b32_e64 v30, v30, v10, s0
	v_cmp_eq_u32_e64 s0, 6, v0
	s_delay_alu instid0(VALU_DEP_2) | instskip(SKIP_1) | instid1(VALU_DEP_2)
	v_dual_cndmask_b32 v29, v29, v13 :: v_dual_cndmask_b32 v30, v30, v12
	v_cmp_eq_u32_e32 vcc_lo, 7, v0
	v_cndmask_b32_e64 v29, v29, v15, s0
	s_delay_alu instid0(VALU_DEP_3) | instskip(SKIP_1) | instid1(VALU_DEP_2)
	v_cndmask_b32_e64 v30, v30, v14, s0
	v_cmp_eq_u32_e64 s0, 8, v0
	v_dual_cndmask_b32 v31, v29, v17 :: v_dual_cndmask_b32 v32, v30, v16
	ds_load_b64 v[29:30], v28
	v_cmp_eq_u32_e32 vcc_lo, 9, v0
	v_add_nc_u32_e32 v28, 8, v28
	v_cndmask_b32_e64 v31, v31, v19, s0
	v_cndmask_b32_e64 v32, v32, v18, s0
	v_cmp_eq_u32_e64 s0, 10, v0
	s_delay_alu instid0(VALU_DEP_2) | instskip(SKIP_1) | instid1(VALU_DEP_2)
	v_dual_cndmask_b32 v31, v31, v21 :: v_dual_cndmask_b32 v32, v32, v20
	v_cmp_eq_u32_e32 vcc_lo, 11, v0
	v_cndmask_b32_e64 v31, v31, v23, s0
	s_delay_alu instid0(VALU_DEP_3) | instskip(NEXT) | instid1(VALU_DEP_1)
	v_cndmask_b32_e64 v33, v32, v22, s0
	v_dual_cndmask_b32 v32, v31, v25 :: v_dual_cndmask_b32 v31, v33, v24
	v_cmp_lt_u32_e32 vcc_lo, 9, v0
	s_waitcnt lgkmcnt(0)
	s_delay_alu instid0(VALU_DEP_2) | instskip(SKIP_1) | instid1(SALU_CYCLE_1)
	v_fma_f64 v[26:27], v[31:32], v[29:30], v[26:27]
	s_or_b32 s3, vcc_lo, s3
	s_and_not1_b32 exec_lo, exec_lo, s3
	s_cbranch_execnz .LBB11_277
; %bb.278:
	s_or_b32 exec_lo, exec_lo, s3
.LBB11_279:
	s_delay_alu instid0(SALU_CYCLE_1)
	s_or_b32 exec_lo, exec_lo, s2
	v_mov_b32_e32 v0, 0
	ds_load_b64 v[0:1], v0 offset:88
	s_waitcnt lgkmcnt(0)
	v_mul_f64 v[24:25], v[26:27], v[0:1]
.LBB11_280:
	s_or_b32 exec_lo, exec_lo, s1
	v_dual_mov_b32 v65, v33 :: v_dual_mov_b32 v64, v32
	v_dual_mov_b32 v63, v31 :: v_dual_mov_b32 v62, v30
	;; [unrolled: 1-line block ×16, first 2 shown]
.LBB11_281:
	s_clause 0xb
	global_store_b64 v[68:69], v[34:35], off
	global_store_b64 v[70:71], v[36:37], off
	;; [unrolled: 1-line block ×12, first 2 shown]
.LBB11_282:
	s_nop 0
	s_sendmsg sendmsg(MSG_DEALLOC_VGPRS)
	s_endpgm
	.section	.rodata,"a",@progbits
	.p2align	6, 0x0
	.amdhsa_kernel _ZN9rocsolver6v33100L18trti2_kernel_smallILi12EdPdEEv13rocblas_fill_17rocblas_diagonal_T1_iil
		.amdhsa_group_segment_fixed_size 192
		.amdhsa_private_segment_fixed_size 0
		.amdhsa_kernarg_size 32
		.amdhsa_user_sgpr_count 15
		.amdhsa_user_sgpr_dispatch_ptr 0
		.amdhsa_user_sgpr_queue_ptr 0
		.amdhsa_user_sgpr_kernarg_segment_ptr 1
		.amdhsa_user_sgpr_dispatch_id 0
		.amdhsa_user_sgpr_private_segment_size 0
		.amdhsa_wavefront_size32 1
		.amdhsa_uses_dynamic_stack 0
		.amdhsa_enable_private_segment 0
		.amdhsa_system_sgpr_workgroup_id_x 1
		.amdhsa_system_sgpr_workgroup_id_y 0
		.amdhsa_system_sgpr_workgroup_id_z 0
		.amdhsa_system_sgpr_workgroup_info 0
		.amdhsa_system_vgpr_workitem_id 0
		.amdhsa_next_free_vgpr 106
		.amdhsa_next_free_sgpr 24
		.amdhsa_reserve_vcc 1
		.amdhsa_float_round_mode_32 0
		.amdhsa_float_round_mode_16_64 0
		.amdhsa_float_denorm_mode_32 3
		.amdhsa_float_denorm_mode_16_64 3
		.amdhsa_dx10_clamp 1
		.amdhsa_ieee_mode 1
		.amdhsa_fp16_overflow 0
		.amdhsa_workgroup_processor_mode 1
		.amdhsa_memory_ordered 1
		.amdhsa_forward_progress 0
		.amdhsa_shared_vgpr_count 0
		.amdhsa_exception_fp_ieee_invalid_op 0
		.amdhsa_exception_fp_denorm_src 0
		.amdhsa_exception_fp_ieee_div_zero 0
		.amdhsa_exception_fp_ieee_overflow 0
		.amdhsa_exception_fp_ieee_underflow 0
		.amdhsa_exception_fp_ieee_inexact 0
		.amdhsa_exception_int_div_zero 0
	.end_amdhsa_kernel
	.section	.text._ZN9rocsolver6v33100L18trti2_kernel_smallILi12EdPdEEv13rocblas_fill_17rocblas_diagonal_T1_iil,"axG",@progbits,_ZN9rocsolver6v33100L18trti2_kernel_smallILi12EdPdEEv13rocblas_fill_17rocblas_diagonal_T1_iil,comdat
.Lfunc_end11:
	.size	_ZN9rocsolver6v33100L18trti2_kernel_smallILi12EdPdEEv13rocblas_fill_17rocblas_diagonal_T1_iil, .Lfunc_end11-_ZN9rocsolver6v33100L18trti2_kernel_smallILi12EdPdEEv13rocblas_fill_17rocblas_diagonal_T1_iil
                                        ; -- End function
	.section	.AMDGPU.csdata,"",@progbits
; Kernel info:
; codeLenInByte = 18328
; NumSgprs: 26
; NumVgprs: 106
; ScratchSize: 0
; MemoryBound: 0
; FloatMode: 240
; IeeeMode: 1
; LDSByteSize: 192 bytes/workgroup (compile time only)
; SGPRBlocks: 3
; VGPRBlocks: 13
; NumSGPRsForWavesPerEU: 26
; NumVGPRsForWavesPerEU: 106
; Occupancy: 12
; WaveLimiterHint : 0
; COMPUTE_PGM_RSRC2:SCRATCH_EN: 0
; COMPUTE_PGM_RSRC2:USER_SGPR: 15
; COMPUTE_PGM_RSRC2:TRAP_HANDLER: 0
; COMPUTE_PGM_RSRC2:TGID_X_EN: 1
; COMPUTE_PGM_RSRC2:TGID_Y_EN: 0
; COMPUTE_PGM_RSRC2:TGID_Z_EN: 0
; COMPUTE_PGM_RSRC2:TIDIG_COMP_CNT: 0
	.section	.text._ZN9rocsolver6v33100L18trti2_kernel_smallILi13EdPdEEv13rocblas_fill_17rocblas_diagonal_T1_iil,"axG",@progbits,_ZN9rocsolver6v33100L18trti2_kernel_smallILi13EdPdEEv13rocblas_fill_17rocblas_diagonal_T1_iil,comdat
	.globl	_ZN9rocsolver6v33100L18trti2_kernel_smallILi13EdPdEEv13rocblas_fill_17rocblas_diagonal_T1_iil ; -- Begin function _ZN9rocsolver6v33100L18trti2_kernel_smallILi13EdPdEEv13rocblas_fill_17rocblas_diagonal_T1_iil
	.p2align	8
	.type	_ZN9rocsolver6v33100L18trti2_kernel_smallILi13EdPdEEv13rocblas_fill_17rocblas_diagonal_T1_iil,@function
_ZN9rocsolver6v33100L18trti2_kernel_smallILi13EdPdEEv13rocblas_fill_17rocblas_diagonal_T1_iil: ; @_ZN9rocsolver6v33100L18trti2_kernel_smallILi13EdPdEEv13rocblas_fill_17rocblas_diagonal_T1_iil
; %bb.0:
	s_mov_b32 s2, exec_lo
	v_cmpx_gt_u32_e32 13, v0
	s_cbranch_execz .LBB12_308
; %bb.1:
	s_load_b256 s[16:23], s[0:1], 0x0
	s_ashr_i32 s2, s15, 31
	v_lshlrev_b32_e32 v36, 3, v0
	v_mov_b32_e32 v34, 0
	v_mov_b32_e32 v35, 0xbff00000
	s_waitcnt lgkmcnt(0)
	s_mul_i32 s3, s15, s23
	s_mul_hi_u32 s4, s15, s22
	s_mul_i32 s5, s2, s22
	s_add_i32 s3, s4, s3
	v_add3_u32 v1, s21, s21, v0
	s_mul_i32 s2, s15, s22
	s_add_i32 s3, s3, s5
	s_ashr_i32 s1, s20, 31
	s_lshl_b64 s[2:3], s[2:3], 3
	s_mov_b32 s0, s20
	v_ashrrev_i32_e32 v2, 31, v1
	v_add_nc_u32_e32 v4, s21, v1
	s_add_u32 s2, s18, s2
	s_addc_u32 s3, s19, s3
	s_lshl_b64 s[0:1], s[0:1], 3
	v_lshlrev_b64 v[6:7], 3, v[1:2]
	s_add_u32 s0, s2, s0
	v_add_nc_u32_e32 v8, s21, v4
	s_addc_u32 s1, s3, s1
	v_mov_b32_e32 v1, 0
	v_add_co_u32 v68, s2, s0, v36
	s_mov_b32 s4, s21
	s_ashr_i32 s5, s21, 31
	v_add_co_ci_u32_e64 v69, null, s1, 0, s2
	s_lshl_b64 s[2:3], s[4:5], 3
	v_ashrrev_i32_e32 v9, 31, v8
	v_add_co_u32 v70, vcc_lo, v68, s2
	s_delay_alu instid0(VALU_DEP_3)
	v_add_co_ci_u32_e32 v71, vcc_lo, s3, v69, vcc_lo
	v_add_co_u32 v66, vcc_lo, s0, v6
	v_add_co_ci_u32_e32 v67, vcc_lo, s1, v7, vcc_lo
	v_lshlrev_b64 v[6:7], 3, v[8:9]
	v_add_nc_u32_e32 v8, s21, v8
	v_ashrrev_i32_e32 v5, 31, v4
	global_load_b64 v[2:3], v36, s[0:1]
	s_cmpk_lg_i32 s17, 0x84
	v_add_nc_u32_e32 v12, s21, v8
	v_lshlrev_b64 v[4:5], 3, v[4:5]
	v_ashrrev_i32_e32 v9, 31, v8
	s_cselect_b32 s13, -1, 0
	s_cmpk_eq_i32 s17, 0x84
	v_add_nc_u32_e32 v16, s21, v12
	v_ashrrev_i32_e32 v13, 31, v12
	v_add_co_u32 v72, vcc_lo, s0, v4
	v_lshlrev_b64 v[14:15], 3, v[8:9]
	v_add_co_ci_u32_e32 v73, vcc_lo, s1, v5, vcc_lo
	v_add_co_u32 v74, vcc_lo, s0, v6
	v_ashrrev_i32_e32 v17, 31, v16
	v_add_nc_u32_e32 v18, s21, v16
	v_add_co_ci_u32_e32 v75, vcc_lo, s1, v7, vcc_lo
	v_lshlrev_b64 v[12:13], 3, v[12:13]
	v_add_co_u32 v76, vcc_lo, s0, v14
	v_add_co_ci_u32_e32 v77, vcc_lo, s1, v15, vcc_lo
	v_lshlrev_b64 v[14:15], 3, v[16:17]
	v_ashrrev_i32_e32 v19, 31, v18
	v_add_nc_u32_e32 v16, s21, v18
	v_add_co_u32 v78, vcc_lo, s0, v12
	v_add_co_ci_u32_e32 v79, vcc_lo, s1, v13, vcc_lo
	s_delay_alu instid0(VALU_DEP_4) | instskip(NEXT) | instid1(VALU_DEP_4)
	v_lshlrev_b64 v[12:13], 3, v[18:19]
	v_ashrrev_i32_e32 v17, 31, v16
	v_add_nc_u32_e32 v18, s21, v16
	v_add_co_u32 v80, vcc_lo, s0, v14
	v_add_co_ci_u32_e32 v81, vcc_lo, s1, v15, vcc_lo
	s_delay_alu instid0(VALU_DEP_4) | instskip(NEXT) | instid1(VALU_DEP_4)
	;; [unrolled: 6-line block ×3, first 2 shown]
	v_lshlrev_b64 v[12:13], 3, v[18:19]
	v_add_nc_u32_e32 v18, s21, v16
	v_ashrrev_i32_e32 v17, 31, v16
	v_add_co_u32 v90, vcc_lo, s0, v14
	v_add_co_ci_u32_e32 v91, vcc_lo, s1, v15, vcc_lo
	s_delay_alu instid0(VALU_DEP_4) | instskip(NEXT) | instid1(VALU_DEP_4)
	v_ashrrev_i32_e32 v19, 31, v18
	v_lshlrev_b64 v[14:15], 3, v[16:17]
	v_add_co_u32 v86, vcc_lo, s0, v12
	v_add_co_ci_u32_e32 v87, vcc_lo, s1, v13, vcc_lo
	s_delay_alu instid0(VALU_DEP_4) | instskip(NEXT) | instid1(VALU_DEP_4)
	v_lshlrev_b64 v[12:13], 3, v[18:19]
	v_add_co_u32 v88, vcc_lo, s0, v14
	v_add_co_ci_u32_e32 v89, vcc_lo, s1, v15, vcc_lo
	s_clause 0x3
	global_load_b64 v[4:5], v[70:71], off
	global_load_b64 v[6:7], v[66:67], off
	;; [unrolled: 1-line block ×4, first 2 shown]
	v_add_co_u32 v84, vcc_lo, s0, v12
	v_add_co_ci_u32_e32 v85, vcc_lo, s1, v13, vcc_lo
	s_clause 0x7
	global_load_b64 v[12:13], v[76:77], off
	global_load_b64 v[14:15], v[78:79], off
	global_load_b64 v[16:17], v[80:81], off
	global_load_b64 v[18:19], v[82:83], off
	global_load_b64 v[20:21], v[90:91], off
	global_load_b64 v[22:23], v[86:87], off
	global_load_b64 v[24:25], v[88:89], off
	global_load_b64 v[26:27], v[84:85], off
	v_cmp_eq_u32_e64 s0, 0, v0
	s_cbranch_scc1 .LBB12_3
; %bb.2:
	v_cmp_eq_u32_e64 s1, 1, v0
	v_cmp_eq_u32_e64 s2, 2, v0
	;; [unrolled: 1-line block ×5, first 2 shown]
	s_waitcnt vmcnt(11)
	v_cndmask_b32_e64 v28, v3, v5, s1
	v_cndmask_b32_e64 v29, v2, v4, s1
	v_cmp_eq_u32_e64 s6, 6, v0
	v_cmp_eq_u32_e64 s7, 7, v0
	v_cmp_eq_u32_e64 s8, 8, v0
	s_waitcnt vmcnt(10)
	v_cndmask_b32_e64 v28, v28, v7, s2
	v_cndmask_b32_e64 v29, v29, v6, s2
	v_cmp_eq_u32_e64 s9, 9, v0
	v_cmp_eq_u32_e64 s10, 10, v0
	v_cmp_eq_u32_e64 s11, 11, v0
	s_waitcnt vmcnt(9)
	v_cndmask_b32_e64 v28, v28, v9, s3
	v_cndmask_b32_e64 v29, v29, v8, s3
	v_cmp_eq_u32_e64 s12, 12, v0
	s_waitcnt vmcnt(8)
	s_delay_alu instid0(VALU_DEP_3) | instskip(NEXT) | instid1(VALU_DEP_3)
	v_cndmask_b32_e64 v28, v28, v11, s4
	v_cndmask_b32_e64 v29, v29, v10, s4
	s_waitcnt vmcnt(7)
	s_delay_alu instid0(VALU_DEP_2) | instskip(NEXT) | instid1(VALU_DEP_2)
	v_cndmask_b32_e64 v28, v28, v13, s5
	v_cndmask_b32_e64 v29, v29, v12, s5
	s_waitcnt vmcnt(6)
	s_delay_alu instid0(VALU_DEP_2) | instskip(NEXT) | instid1(VALU_DEP_2)
	;; [unrolled: 4-line block ×8, first 2 shown]
	v_cndmask_b32_e64 v29, v28, v27, s12
	v_cndmask_b32_e64 v28, v30, v26, s12
	s_delay_alu instid0(VALU_DEP_1) | instskip(SKIP_1) | instid1(VALU_DEP_2)
	v_div_scale_f64 v[30:31], null, v[28:29], v[28:29], 1.0
	v_div_scale_f64 v[37:38], vcc_lo, 1.0, v[28:29], 1.0
	v_rcp_f64_e32 v[32:33], v[30:31]
	s_waitcnt_depctr 0xfff
	v_fma_f64 v[34:35], -v[30:31], v[32:33], 1.0
	s_delay_alu instid0(VALU_DEP_1) | instskip(NEXT) | instid1(VALU_DEP_1)
	v_fma_f64 v[32:33], v[32:33], v[34:35], v[32:33]
	v_fma_f64 v[34:35], -v[30:31], v[32:33], 1.0
	s_delay_alu instid0(VALU_DEP_1) | instskip(NEXT) | instid1(VALU_DEP_1)
	v_fma_f64 v[32:33], v[32:33], v[34:35], v[32:33]
	v_mul_f64 v[34:35], v[37:38], v[32:33]
	s_delay_alu instid0(VALU_DEP_1) | instskip(NEXT) | instid1(VALU_DEP_1)
	v_fma_f64 v[30:31], -v[30:31], v[34:35], v[37:38]
	v_div_fmas_f64 v[30:31], v[30:31], v[32:33], v[34:35]
	s_delay_alu instid0(VALU_DEP_1) | instskip(NEXT) | instid1(VALU_DEP_1)
	v_div_fixup_f64 v[34:35], v[30:31], v[28:29], 1.0
	v_cndmask_b32_e64 v27, v27, v35, s12
	s_delay_alu instid0(VALU_DEP_2)
	v_cndmask_b32_e64 v26, v26, v34, s12
	v_cndmask_b32_e64 v25, v25, v35, s11
	;; [unrolled: 1-line block ×25, first 2 shown]
	v_xor_b32_e32 v35, 0x80000000, v35
.LBB12_3:
	v_add_nc_u32_e32 v94, 0x70, v36
	s_cmpk_eq_i32 s16, 0x79
	ds_store_b64 v36, v[34:35]
	s_cbranch_scc1 .LBB12_7
; %bb.4:
	s_waitcnt vmcnt(0)
	v_dual_mov_b32 v65, v33 :: v_dual_mov_b32 v64, v32
	v_dual_mov_b32 v63, v31 :: v_dual_mov_b32 v62, v30
	;; [unrolled: 1-line block ×16, first 2 shown]
	v_cmp_eq_u32_e64 s1, 12, v0
	ds_store_b64 v94, v[24:25]
	s_waitcnt lgkmcnt(0)
	s_barrier
	buffer_gl0_inv
	s_and_saveexec_b32 s0, s1
	s_cbranch_execz .LBB12_11
; %bb.5:
	s_and_b32 vcc_lo, exec_lo, s13
	s_cbranch_vccz .LBB12_8
; %bb.6:
	v_cmp_eq_u32_e32 vcc_lo, 1, v0
	v_dual_cndmask_b32 v34, v3, v5 :: v_dual_cndmask_b32 v35, v2, v4
	v_cmp_eq_u32_e32 vcc_lo, 2, v0
	s_delay_alu instid0(VALU_DEP_2) | instskip(SKIP_1) | instid1(VALU_DEP_2)
	v_dual_cndmask_b32 v34, v34, v7 :: v_dual_cndmask_b32 v35, v35, v6
	v_cmp_eq_u32_e32 vcc_lo, 3, v0
	v_dual_cndmask_b32 v34, v34, v9 :: v_dual_cndmask_b32 v35, v35, v8
	v_cmp_eq_u32_e32 vcc_lo, 4, v0
	s_delay_alu instid0(VALU_DEP_2) | instskip(SKIP_1) | instid1(VALU_DEP_2)
	v_dual_cndmask_b32 v34, v34, v11 :: v_dual_cndmask_b32 v35, v35, v10
	;; [unrolled: 5-line block ×4, first 2 shown]
	v_cmp_eq_u32_e32 vcc_lo, 9, v0
	v_dual_cndmask_b32 v36, v34, v21 :: v_dual_cndmask_b32 v37, v35, v20
	v_cmp_eq_u32_e32 vcc_lo, 10, v0
	ds_load_b64 v[34:35], v94
	v_dual_cndmask_b32 v36, v36, v23 :: v_dual_cndmask_b32 v37, v37, v22
	v_cmp_eq_u32_e32 vcc_lo, 11, v0
	s_delay_alu instid0(VALU_DEP_2) | instskip(NEXT) | instid1(VALU_DEP_3)
	v_cndmask_b32_e32 v36, v36, v25, vcc_lo
	v_cndmask_b32_e32 v38, v37, v24, vcc_lo
	v_cmp_eq_u32_e32 vcc_lo, 12, v0
	s_delay_alu instid0(VALU_DEP_2) | instskip(SKIP_1) | instid1(VALU_DEP_1)
	v_dual_cndmask_b32 v37, v36, v27 :: v_dual_cndmask_b32 v36, v38, v26
	s_waitcnt lgkmcnt(0)
	v_mul_f64 v[34:35], v[36:37], v[34:35]
	s_cbranch_execz .LBB12_9
	s_branch .LBB12_10
.LBB12_7:
                                        ; implicit-def: $vgpr34_vgpr35_vgpr36_vgpr37_vgpr38_vgpr39_vgpr40_vgpr41_vgpr42_vgpr43_vgpr44_vgpr45_vgpr46_vgpr47_vgpr48_vgpr49_vgpr50_vgpr51_vgpr52_vgpr53_vgpr54_vgpr55_vgpr56_vgpr57_vgpr58_vgpr59_vgpr60_vgpr61_vgpr62_vgpr63_vgpr64_vgpr65
	s_cbranch_execnz .LBB12_180
	s_branch .LBB12_307
.LBB12_8:
                                        ; implicit-def: $vgpr34_vgpr35
.LBB12_9:
	ds_load_b64 v[34:35], v94
.LBB12_10:
	v_mov_b32_e32 v36, 0
	v_dual_mov_b32 v38, v6 :: v_dual_mov_b32 v41, v9
	v_dual_mov_b32 v40, v8 :: v_dual_mov_b32 v43, v11
	ds_load_b64 v[36:37], v36 offset:88
	v_dual_mov_b32 v42, v10 :: v_dual_mov_b32 v45, v13
	v_dual_mov_b32 v44, v12 :: v_dual_mov_b32 v47, v15
	;; [unrolled: 1-line block ×8, first 2 shown]
	s_waitcnt lgkmcnt(0)
	v_mul_f64 v[56:57], v[34:35], v[36:37]
	v_dual_mov_b32 v34, v2 :: v_dual_mov_b32 v37, v5
	v_dual_mov_b32 v35, v3 :: v_dual_mov_b32 v36, v4
.LBB12_11:
	s_or_b32 exec_lo, exec_lo, s0
	v_cmp_lt_u32_e64 s0, 10, v0
	ds_store_b64 v94, v[54:55]
	s_waitcnt lgkmcnt(0)
	s_barrier
	buffer_gl0_inv
	s_and_saveexec_b32 s2, s0
	s_cbranch_execz .LBB12_19
; %bb.12:
	s_and_not1_b32 vcc_lo, exec_lo, s13
	s_cbranch_vccnz .LBB12_14
; %bb.13:
	v_cmp_eq_u32_e32 vcc_lo, 1, v0
	v_dual_cndmask_b32 v60, v35, v37 :: v_dual_cndmask_b32 v61, v34, v36
	v_cmp_eq_u32_e32 vcc_lo, 2, v0
	s_delay_alu instid0(VALU_DEP_2) | instskip(SKIP_1) | instid1(VALU_DEP_2)
	v_dual_cndmask_b32 v60, v60, v39 :: v_dual_cndmask_b32 v61, v61, v38
	v_cmp_eq_u32_e32 vcc_lo, 3, v0
	v_dual_cndmask_b32 v60, v60, v41 :: v_dual_cndmask_b32 v61, v61, v40
	v_cmp_eq_u32_e32 vcc_lo, 4, v0
	s_delay_alu instid0(VALU_DEP_2) | instskip(SKIP_1) | instid1(VALU_DEP_2)
	v_dual_cndmask_b32 v60, v60, v43 :: v_dual_cndmask_b32 v61, v61, v42
	;; [unrolled: 5-line block ×4, first 2 shown]
	v_cmp_eq_u32_e32 vcc_lo, 9, v0
	v_dual_cndmask_b32 v62, v60, v53 :: v_dual_cndmask_b32 v63, v61, v52
	v_cmp_eq_u32_e32 vcc_lo, 10, v0
	ds_load_b64 v[60:61], v94
	v_dual_cndmask_b32 v55, v62, v55 :: v_dual_cndmask_b32 v54, v63, v54
	v_cmp_eq_u32_e32 vcc_lo, 11, v0
	s_delay_alu instid0(VALU_DEP_2) | instskip(SKIP_1) | instid1(VALU_DEP_2)
	v_dual_cndmask_b32 v55, v55, v57 :: v_dual_cndmask_b32 v54, v54, v56
	v_cmp_eq_u32_e32 vcc_lo, 12, v0
	v_dual_cndmask_b32 v55, v55, v59 :: v_dual_cndmask_b32 v54, v54, v58
	s_waitcnt lgkmcnt(0)
	s_delay_alu instid0(VALU_DEP_1)
	v_mul_f64 v[54:55], v[54:55], v[60:61]
	s_cbranch_execz .LBB12_15
	s_branch .LBB12_16
.LBB12_14:
                                        ; implicit-def: $vgpr54_vgpr55
.LBB12_15:
	ds_load_b64 v[54:55], v94
.LBB12_16:
	s_and_saveexec_b32 s3, s1
	s_cbranch_execz .LBB12_18
; %bb.17:
	v_mov_b32_e32 v60, 0
	ds_load_b64 v[60:61], v60 offset:200
	s_waitcnt lgkmcnt(0)
	v_fma_f64 v[54:55], v[56:57], v[60:61], v[54:55]
.LBB12_18:
	s_or_b32 exec_lo, exec_lo, s3
	v_mov_b32_e32 v60, 0
	ds_load_b64 v[60:61], v60 offset:80
	s_waitcnt lgkmcnt(0)
	v_mul_f64 v[54:55], v[54:55], v[60:61]
.LBB12_19:
	s_or_b32 exec_lo, exec_lo, s2
	v_cmp_lt_u32_e64 s1, 9, v0
	ds_store_b64 v94, v[52:53]
	s_waitcnt lgkmcnt(0)
	s_barrier
	buffer_gl0_inv
	s_and_saveexec_b32 s4, s1
	s_cbranch_execz .LBB12_35
; %bb.20:
	s_and_not1_b32 vcc_lo, exec_lo, s13
	s_cbranch_vccnz .LBB12_22
; %bb.21:
	v_cmp_eq_u32_e32 vcc_lo, 1, v0
	v_dual_cndmask_b32 v92, v35, v37 :: v_dual_cndmask_b32 v93, v34, v36
	v_cmp_eq_u32_e32 vcc_lo, 2, v0
	s_delay_alu instid0(VALU_DEP_2) | instskip(SKIP_1) | instid1(VALU_DEP_2)
	v_dual_cndmask_b32 v92, v92, v39 :: v_dual_cndmask_b32 v93, v93, v38
	v_cmp_eq_u32_e32 vcc_lo, 3, v0
	v_dual_cndmask_b32 v92, v92, v41 :: v_dual_cndmask_b32 v93, v93, v40
	v_cmp_eq_u32_e32 vcc_lo, 4, v0
	s_delay_alu instid0(VALU_DEP_2) | instskip(SKIP_1) | instid1(VALU_DEP_2)
	v_dual_cndmask_b32 v92, v92, v43 :: v_dual_cndmask_b32 v93, v93, v42
	;; [unrolled: 5-line block ×4, first 2 shown]
	v_cmp_eq_u32_e32 vcc_lo, 9, v0
	v_dual_cndmask_b32 v95, v92, v53 :: v_dual_cndmask_b32 v96, v93, v52
	v_cmp_eq_u32_e32 vcc_lo, 10, v0
	ds_load_b64 v[92:93], v94
	v_dual_cndmask_b32 v95, v95, v55 :: v_dual_cndmask_b32 v96, v96, v54
	v_cmp_eq_u32_e32 vcc_lo, 11, v0
	s_delay_alu instid0(VALU_DEP_2) | instskip(NEXT) | instid1(VALU_DEP_3)
	v_cndmask_b32_e32 v95, v95, v57, vcc_lo
	v_cndmask_b32_e32 v97, v96, v56, vcc_lo
	v_cmp_eq_u32_e32 vcc_lo, 12, v0
	s_delay_alu instid0(VALU_DEP_2) | instskip(SKIP_1) | instid1(VALU_DEP_1)
	v_dual_cndmask_b32 v96, v95, v59 :: v_dual_cndmask_b32 v95, v97, v58
	s_waitcnt lgkmcnt(0)
	v_mul_f64 v[92:93], v[95:96], v[92:93]
	s_cbranch_execz .LBB12_23
	s_branch .LBB12_24
.LBB12_22:
                                        ; implicit-def: $vgpr92_vgpr93
.LBB12_23:
	ds_load_b64 v[92:93], v94
.LBB12_24:
	s_and_saveexec_b32 s5, s0
	s_cbranch_execz .LBB12_34
; %bb.25:
	v_add_nc_u32_e32 v96, -11, v0
	v_add_nc_u32_e32 v95, -10, v0
	s_delay_alu instid0(VALU_DEP_2)
	v_cmp_lt_u32_e32 vcc_lo, 6, v96
	v_mov_b32_e32 v96, 10
	s_and_saveexec_b32 s0, vcc_lo
	s_cbranch_execz .LBB12_29
; %bb.26:
	v_and_b32_e32 v96, -8, v95
	s_mov_b32 s6, 0
	s_mov_b64 s[2:3], 17
	s_movk_i32 s7, 0xc0
	s_delay_alu instid0(VALU_DEP_1)
	v_sub_nc_u32_e32 v97, 0, v96
.LBB12_27:                              ; =>This Inner Loop Header: Depth=1
	v_mov_b32_e32 v96, s7
	s_lshl_b32 s8, s2, 1
	s_delay_alu instid0(SALU_CYCLE_1)
	s_add_i32 m0, s8, -13
	v_movrels_b32_e32 v107, v34
	ds_load_b128 v[98:101], v96
	ds_load_b128 v[102:105], v96 offset:16
	s_add_i32 m0, s8, -14
	v_movrels_b32_e32 v106, v34
	s_add_i32 m0, s8, -11
	s_waitcnt lgkmcnt(1)
	s_delay_alu instid0(VALU_DEP_1) | instskip(SKIP_4) | instid1(VALU_DEP_1)
	v_fma_f64 v[92:93], v[106:107], v[98:99], v[92:93]
	v_movrels_b32_e32 v99, v34
	s_add_i32 m0, s8, -12
	v_movrels_b32_e32 v98, v34
	s_add_i32 m0, s8, -9
	v_fma_f64 v[92:93], v[98:99], v[100:101], v[92:93]
	v_movrels_b32_e32 v99, v34
	s_add_i32 m0, s8, -10
	v_movrels_b32_e32 v98, v34
	s_add_i32 m0, s8, -7
	s_waitcnt lgkmcnt(0)
	s_delay_alu instid0(VALU_DEP_1)
	v_fma_f64 v[92:93], v[98:99], v[102:103], v[92:93]
	v_movrels_b32_e32 v99, v34
	s_add_i32 m0, s8, -8
	v_movrels_b32_e32 v98, v34
	s_add_i32 m0, s8, -5
	v_movrels_b32_e32 v107, v34
	s_add_i32 m0, s8, -6
	v_movrels_b32_e32 v106, v34
	s_add_i32 m0, s8, -3
	v_fma_f64 v[92:93], v[98:99], v[104:105], v[92:93]
	ds_load_b128 v[98:101], v96 offset:32
	ds_load_b128 v[102:105], v96 offset:48
	s_waitcnt lgkmcnt(1)
	v_fma_f64 v[92:93], v[106:107], v[98:99], v[92:93]
	v_movrels_b32_e32 v99, v34
	s_add_i32 m0, s8, -4
	v_movrels_b32_e32 v98, v34
	s_add_i32 m0, s8, -1
	s_delay_alu instid0(VALU_DEP_1)
	v_fma_f64 v[92:93], v[98:99], v[100:101], v[92:93]
	v_movrels_b32_e32 v99, v34
	s_add_i32 m0, s8, -2
	s_add_u32 s2, s2, 8
	v_movrels_b32_e32 v98, v34
	s_mov_b32 m0, s8
	v_add_nc_u32_e32 v96, s2, v97
	s_addc_u32 s3, s3, 0
	s_add_i32 s8, s2, -7
	s_add_i32 s7, s7, 64
	s_delay_alu instid0(VALU_DEP_1)
	v_cmp_eq_u32_e32 vcc_lo, 17, v96
	v_mov_b32_e32 v96, s8
	s_or_b32 s6, vcc_lo, s6
	s_waitcnt lgkmcnt(0)
	v_fma_f64 v[92:93], v[98:99], v[102:103], v[92:93]
	v_movrels_b32_e32 v99, v35
	v_movrels_b32_e32 v98, v34
	s_delay_alu instid0(VALU_DEP_1)
	v_fma_f64 v[92:93], v[98:99], v[104:105], v[92:93]
	s_and_not1_b32 exec_lo, exec_lo, s6
	s_cbranch_execnz .LBB12_27
; %bb.28:
	s_or_b32 exec_lo, exec_lo, s6
.LBB12_29:
	s_delay_alu instid0(SALU_CYCLE_1) | instskip(SKIP_3) | instid1(VALU_DEP_1)
	s_or_b32 exec_lo, exec_lo, s0
	v_and_b32_e32 v60, 7, v95
	s_mov_b32 s3, 0
	s_mov_b32 s2, exec_lo
	v_cmpx_ne_u32_e32 0, v60
	s_cbranch_execz .LBB12_33
; %bb.30:
	v_lshl_add_u32 v61, v96, 3, 0x70
	v_mov_b32_e32 v62, 0
.LBB12_31:                              ; =>This Inner Loop Header: Depth=1
	v_cmp_eq_u32_e32 vcc_lo, 1, v96
	v_cmp_eq_u32_e64 s0, 2, v96
	v_dual_cndmask_b32 v63, v35, v37 :: v_dual_add_nc_u32 v60, -1, v60
	v_cndmask_b32_e32 v64, v34, v36, vcc_lo
	v_cmp_eq_u32_e32 vcc_lo, 3, v96
	s_delay_alu instid0(VALU_DEP_3) | instskip(NEXT) | instid1(VALU_DEP_3)
	v_cndmask_b32_e64 v63, v63, v39, s0
	v_cndmask_b32_e64 v64, v64, v38, s0
	v_cmp_eq_u32_e64 s0, 4, v96
	s_delay_alu instid0(VALU_DEP_2) | instskip(SKIP_1) | instid1(VALU_DEP_2)
	v_dual_cndmask_b32 v63, v63, v41 :: v_dual_cndmask_b32 v64, v64, v40
	v_cmp_eq_u32_e32 vcc_lo, 5, v96
	v_cndmask_b32_e64 v63, v63, v43, s0
	s_delay_alu instid0(VALU_DEP_3) | instskip(SKIP_1) | instid1(VALU_DEP_2)
	v_cndmask_b32_e64 v64, v64, v42, s0
	v_cmp_eq_u32_e64 s0, 6, v96
	v_dual_cndmask_b32 v63, v63, v45 :: v_dual_cndmask_b32 v64, v64, v44
	v_cmp_eq_u32_e32 vcc_lo, 7, v96
	s_delay_alu instid0(VALU_DEP_2) | instskip(NEXT) | instid1(VALU_DEP_3)
	v_cndmask_b32_e64 v63, v63, v47, s0
	v_cndmask_b32_e64 v64, v64, v46, s0
	v_cmp_eq_u32_e64 s0, 8, v96
	s_delay_alu instid0(VALU_DEP_2) | instskip(SKIP_1) | instid1(VALU_DEP_2)
	v_dual_cndmask_b32 v63, v63, v49 :: v_dual_cndmask_b32 v64, v64, v48
	v_cmp_eq_u32_e32 vcc_lo, 9, v96
	v_cndmask_b32_e64 v65, v63, v51, s0
	s_delay_alu instid0(VALU_DEP_3)
	v_cndmask_b32_e64 v95, v64, v50, s0
	ds_load_b64 v[63:64], v61
	v_cmp_eq_u32_e64 s0, 10, v96
	v_add_nc_u32_e32 v61, 8, v61
	v_cndmask_b32_e32 v65, v65, v53, vcc_lo
	v_cndmask_b32_e32 v95, v95, v52, vcc_lo
	v_cmp_eq_u32_e32 vcc_lo, 11, v96
	s_delay_alu instid0(VALU_DEP_3) | instskip(NEXT) | instid1(VALU_DEP_3)
	v_cndmask_b32_e64 v65, v65, v55, s0
	v_cndmask_b32_e64 v95, v95, v54, s0
	v_cmp_eq_u32_e64 s0, 12, v96
	s_delay_alu instid0(VALU_DEP_3) | instskip(NEXT) | instid1(VALU_DEP_3)
	v_cndmask_b32_e32 v65, v65, v57, vcc_lo
	v_cndmask_b32_e32 v95, v95, v56, vcc_lo
	v_cmp_eq_u32_e32 vcc_lo, 0, v60
	s_delay_alu instid0(VALU_DEP_3) | instskip(NEXT) | instid1(VALU_DEP_3)
	v_cndmask_b32_e64 v98, v65, v59, s0
	v_cndmask_b32_e64 v97, v95, v58, s0
	v_add_co_u32 v96, s0, v96, 1
	s_delay_alu instid0(VALU_DEP_1) | instskip(SKIP_1) | instid1(VALU_DEP_3)
	v_add_co_ci_u32_e64 v62, s0, 0, v62, s0
	s_waitcnt lgkmcnt(0)
	v_fma_f64 v[92:93], v[97:98], v[63:64], v[92:93]
	s_or_b32 s3, vcc_lo, s3
	s_delay_alu instid0(SALU_CYCLE_1)
	s_and_not1_b32 exec_lo, exec_lo, s3
	s_cbranch_execnz .LBB12_31
; %bb.32:
	s_or_b32 exec_lo, exec_lo, s3
.LBB12_33:
	s_delay_alu instid0(SALU_CYCLE_1)
	s_or_b32 exec_lo, exec_lo, s2
.LBB12_34:
	s_delay_alu instid0(SALU_CYCLE_1)
	s_or_b32 exec_lo, exec_lo, s5
	v_mov_b32_e32 v52, 0
	ds_load_b64 v[52:53], v52 offset:72
	s_waitcnt lgkmcnt(0)
	v_mul_f64 v[52:53], v[92:93], v[52:53]
.LBB12_35:
	s_or_b32 exec_lo, exec_lo, s4
	v_cmp_lt_u32_e64 s0, 8, v0
	ds_store_b64 v94, v[50:51]
	s_waitcnt lgkmcnt(0)
	s_barrier
	buffer_gl0_inv
	s_and_saveexec_b32 s4, s0
	s_cbranch_execz .LBB12_51
; %bb.36:
	s_and_not1_b32 vcc_lo, exec_lo, s13
	s_cbranch_vccnz .LBB12_38
; %bb.37:
	v_cmp_eq_u32_e32 vcc_lo, 1, v0
	v_dual_cndmask_b32 v92, v35, v37 :: v_dual_cndmask_b32 v93, v34, v36
	v_cmp_eq_u32_e32 vcc_lo, 2, v0
	s_delay_alu instid0(VALU_DEP_2) | instskip(SKIP_1) | instid1(VALU_DEP_2)
	v_dual_cndmask_b32 v92, v92, v39 :: v_dual_cndmask_b32 v93, v93, v38
	v_cmp_eq_u32_e32 vcc_lo, 3, v0
	v_dual_cndmask_b32 v92, v92, v41 :: v_dual_cndmask_b32 v93, v93, v40
	v_cmp_eq_u32_e32 vcc_lo, 4, v0
	s_delay_alu instid0(VALU_DEP_2) | instskip(SKIP_1) | instid1(VALU_DEP_2)
	v_dual_cndmask_b32 v92, v92, v43 :: v_dual_cndmask_b32 v93, v93, v42
	;; [unrolled: 5-line block ×4, first 2 shown]
	v_cmp_eq_u32_e32 vcc_lo, 9, v0
	v_dual_cndmask_b32 v95, v92, v53 :: v_dual_cndmask_b32 v96, v93, v52
	v_cmp_eq_u32_e32 vcc_lo, 10, v0
	ds_load_b64 v[92:93], v94
	v_dual_cndmask_b32 v95, v95, v55 :: v_dual_cndmask_b32 v96, v96, v54
	v_cmp_eq_u32_e32 vcc_lo, 11, v0
	s_delay_alu instid0(VALU_DEP_2) | instskip(NEXT) | instid1(VALU_DEP_3)
	v_cndmask_b32_e32 v95, v95, v57, vcc_lo
	v_cndmask_b32_e32 v97, v96, v56, vcc_lo
	v_cmp_eq_u32_e32 vcc_lo, 12, v0
	s_delay_alu instid0(VALU_DEP_2) | instskip(SKIP_1) | instid1(VALU_DEP_1)
	v_dual_cndmask_b32 v96, v95, v59 :: v_dual_cndmask_b32 v95, v97, v58
	s_waitcnt lgkmcnt(0)
	v_mul_f64 v[92:93], v[95:96], v[92:93]
	s_cbranch_execz .LBB12_39
	s_branch .LBB12_40
.LBB12_38:
                                        ; implicit-def: $vgpr92_vgpr93
.LBB12_39:
	ds_load_b64 v[92:93], v94
.LBB12_40:
	s_and_saveexec_b32 s5, s1
	s_cbranch_execz .LBB12_50
; %bb.41:
	v_dual_mov_b32 v97, 9 :: v_dual_add_nc_u32 v96, -10, v0
	v_add_nc_u32_e32 v95, -9, v0
	s_mov_b32 s1, exec_lo
	s_delay_alu instid0(VALU_DEP_2)
	v_cmpx_lt_u32_e32 6, v96
	s_cbranch_execz .LBB12_45
; %bb.42:
	s_delay_alu instid0(VALU_DEP_2) | instskip(SKIP_3) | instid1(VALU_DEP_1)
	v_and_b32_e32 v96, -8, v95
	s_mov_b32 s6, 0
	s_mov_b64 s[2:3], 16
	s_movk_i32 s7, 0xb8
	v_sub_nc_u32_e32 v96, 0, v96
.LBB12_43:                              ; =>This Inner Loop Header: Depth=1
	v_mov_b32_e32 v107, s7
	s_lshl_b32 s8, s2, 1
	s_delay_alu instid0(SALU_CYCLE_1)
	s_add_i32 m0, s8, -13
	v_movrels_b32_e32 v106, v34
	ds_load_2addr_b64 v[97:100], v107 offset1:1
	ds_load_2addr_b64 v[101:104], v107 offset0:2 offset1:3
	s_add_i32 m0, s8, -14
	v_movrels_b32_e32 v105, v34
	s_add_i32 m0, s8, -11
	s_waitcnt lgkmcnt(1)
	s_delay_alu instid0(VALU_DEP_1) | instskip(SKIP_4) | instid1(VALU_DEP_1)
	v_fma_f64 v[92:93], v[105:106], v[97:98], v[92:93]
	v_movrels_b32_e32 v98, v34
	s_add_i32 m0, s8, -12
	v_movrels_b32_e32 v97, v34
	s_add_i32 m0, s8, -9
	v_fma_f64 v[92:93], v[97:98], v[99:100], v[92:93]
	v_movrels_b32_e32 v98, v34
	s_add_i32 m0, s8, -10
	v_movrels_b32_e32 v97, v34
	s_add_i32 m0, s8, -7
	s_waitcnt lgkmcnt(0)
	s_delay_alu instid0(VALU_DEP_1)
	v_fma_f64 v[92:93], v[97:98], v[101:102], v[92:93]
	v_movrels_b32_e32 v98, v34
	s_add_i32 m0, s8, -8
	v_movrels_b32_e32 v97, v34
	s_add_i32 m0, s8, -5
	;; [unrolled: 2-line block ×4, first 2 shown]
	v_fma_f64 v[92:93], v[97:98], v[103:104], v[92:93]
	ds_load_2addr_b64 v[97:100], v107 offset0:4 offset1:5
	ds_load_2addr_b64 v[101:104], v107 offset0:6 offset1:7
	s_waitcnt lgkmcnt(1)
	v_fma_f64 v[92:93], v[105:106], v[97:98], v[92:93]
	v_movrels_b32_e32 v98, v34
	s_add_i32 m0, s8, -4
	v_movrels_b32_e32 v97, v34
	s_add_i32 m0, s8, -1
	s_delay_alu instid0(VALU_DEP_1)
	v_fma_f64 v[92:93], v[97:98], v[99:100], v[92:93]
	v_movrels_b32_e32 v98, v34
	s_add_i32 m0, s8, -2
	s_add_u32 s2, s2, 8
	v_movrels_b32_e32 v97, v34
	s_mov_b32 m0, s8
	s_addc_u32 s3, s3, 0
	s_add_i32 s8, s2, -7
	s_add_i32 s7, s7, 64
	s_waitcnt lgkmcnt(0)
	s_delay_alu instid0(VALU_DEP_3) | instskip(SKIP_2) | instid1(VALU_DEP_1)
	v_fma_f64 v[92:93], v[97:98], v[101:102], v[92:93]
	v_movrels_b32_e32 v98, v35
	v_movrels_b32_e32 v97, v34
	v_fma_f64 v[92:93], v[97:98], v[103:104], v[92:93]
	v_add_nc_u32_e32 v97, s2, v96
	s_delay_alu instid0(VALU_DEP_1) | instskip(SKIP_2) | instid1(SALU_CYCLE_1)
	v_cmp_eq_u32_e32 vcc_lo, 16, v97
	v_mov_b32_e32 v97, s8
	s_or_b32 s6, vcc_lo, s6
	s_and_not1_b32 exec_lo, exec_lo, s6
	s_cbranch_execnz .LBB12_43
; %bb.44:
	s_or_b32 exec_lo, exec_lo, s6
.LBB12_45:
	s_delay_alu instid0(SALU_CYCLE_1) | instskip(SKIP_3) | instid1(VALU_DEP_1)
	s_or_b32 exec_lo, exec_lo, s1
	v_and_b32_e32 v60, 7, v95
	s_mov_b32 s3, 0
	s_mov_b32 s2, exec_lo
	v_cmpx_ne_u32_e32 0, v60
	s_cbranch_execz .LBB12_49
; %bb.46:
	v_lshl_add_u32 v61, v97, 3, 0x70
	v_mov_b32_e32 v62, 0
.LBB12_47:                              ; =>This Inner Loop Header: Depth=1
	v_cmp_eq_u32_e32 vcc_lo, 1, v97
	v_cmp_eq_u32_e64 s1, 2, v97
	v_dual_cndmask_b32 v63, v35, v37 :: v_dual_add_nc_u32 v60, -1, v60
	v_cndmask_b32_e32 v64, v34, v36, vcc_lo
	v_cmp_eq_u32_e32 vcc_lo, 3, v97
	s_delay_alu instid0(VALU_DEP_3) | instskip(NEXT) | instid1(VALU_DEP_3)
	v_cndmask_b32_e64 v63, v63, v39, s1
	v_cndmask_b32_e64 v64, v64, v38, s1
	v_cmp_eq_u32_e64 s1, 4, v97
	s_delay_alu instid0(VALU_DEP_2) | instskip(SKIP_1) | instid1(VALU_DEP_2)
	v_dual_cndmask_b32 v63, v63, v41 :: v_dual_cndmask_b32 v64, v64, v40
	v_cmp_eq_u32_e32 vcc_lo, 5, v97
	v_cndmask_b32_e64 v63, v63, v43, s1
	s_delay_alu instid0(VALU_DEP_3) | instskip(SKIP_1) | instid1(VALU_DEP_2)
	v_cndmask_b32_e64 v64, v64, v42, s1
	v_cmp_eq_u32_e64 s1, 6, v97
	v_dual_cndmask_b32 v63, v63, v45 :: v_dual_cndmask_b32 v64, v64, v44
	v_cmp_eq_u32_e32 vcc_lo, 7, v97
	s_delay_alu instid0(VALU_DEP_2) | instskip(NEXT) | instid1(VALU_DEP_3)
	v_cndmask_b32_e64 v63, v63, v47, s1
	v_cndmask_b32_e64 v64, v64, v46, s1
	v_cmp_eq_u32_e64 s1, 8, v97
	s_delay_alu instid0(VALU_DEP_2) | instskip(SKIP_1) | instid1(VALU_DEP_2)
	v_dual_cndmask_b32 v63, v63, v49 :: v_dual_cndmask_b32 v64, v64, v48
	v_cmp_eq_u32_e32 vcc_lo, 9, v97
	v_cndmask_b32_e64 v65, v63, v51, s1
	s_delay_alu instid0(VALU_DEP_3)
	v_cndmask_b32_e64 v95, v64, v50, s1
	ds_load_b64 v[63:64], v61
	v_cmp_eq_u32_e64 s1, 10, v97
	v_add_nc_u32_e32 v61, 8, v61
	v_cndmask_b32_e32 v65, v65, v53, vcc_lo
	v_cndmask_b32_e32 v95, v95, v52, vcc_lo
	v_cmp_eq_u32_e32 vcc_lo, 11, v97
	s_delay_alu instid0(VALU_DEP_3) | instskip(NEXT) | instid1(VALU_DEP_3)
	v_cndmask_b32_e64 v65, v65, v55, s1
	v_cndmask_b32_e64 v95, v95, v54, s1
	v_cmp_eq_u32_e64 s1, 12, v97
	s_delay_alu instid0(VALU_DEP_3) | instskip(NEXT) | instid1(VALU_DEP_3)
	v_cndmask_b32_e32 v65, v65, v57, vcc_lo
	v_cndmask_b32_e32 v95, v95, v56, vcc_lo
	v_cmp_eq_u32_e32 vcc_lo, 0, v60
	s_delay_alu instid0(VALU_DEP_3) | instskip(NEXT) | instid1(VALU_DEP_3)
	v_cndmask_b32_e64 v96, v65, v59, s1
	v_cndmask_b32_e64 v95, v95, v58, s1
	v_add_co_u32 v97, s1, v97, 1
	s_delay_alu instid0(VALU_DEP_1) | instskip(SKIP_1) | instid1(VALU_DEP_3)
	v_add_co_ci_u32_e64 v62, s1, 0, v62, s1
	s_waitcnt lgkmcnt(0)
	v_fma_f64 v[92:93], v[95:96], v[63:64], v[92:93]
	s_or_b32 s3, vcc_lo, s3
	s_delay_alu instid0(SALU_CYCLE_1)
	s_and_not1_b32 exec_lo, exec_lo, s3
	s_cbranch_execnz .LBB12_47
; %bb.48:
	s_or_b32 exec_lo, exec_lo, s3
.LBB12_49:
	s_delay_alu instid0(SALU_CYCLE_1)
	s_or_b32 exec_lo, exec_lo, s2
.LBB12_50:
	s_delay_alu instid0(SALU_CYCLE_1)
	s_or_b32 exec_lo, exec_lo, s5
	v_mov_b32_e32 v50, 0
	ds_load_b64 v[50:51], v50 offset:64
	s_waitcnt lgkmcnt(0)
	v_mul_f64 v[50:51], v[92:93], v[50:51]
.LBB12_51:
	s_or_b32 exec_lo, exec_lo, s4
	v_cmp_lt_u32_e64 s1, 7, v0
	ds_store_b64 v94, v[48:49]
	s_waitcnt lgkmcnt(0)
	s_barrier
	buffer_gl0_inv
	s_and_saveexec_b32 s4, s1
	s_cbranch_execz .LBB12_67
; %bb.52:
	s_and_not1_b32 vcc_lo, exec_lo, s13
	s_cbranch_vccnz .LBB12_54
; %bb.53:
	v_cmp_eq_u32_e32 vcc_lo, 1, v0
	v_dual_cndmask_b32 v92, v35, v37 :: v_dual_cndmask_b32 v93, v34, v36
	v_cmp_eq_u32_e32 vcc_lo, 2, v0
	s_delay_alu instid0(VALU_DEP_2) | instskip(SKIP_1) | instid1(VALU_DEP_2)
	v_dual_cndmask_b32 v92, v92, v39 :: v_dual_cndmask_b32 v93, v93, v38
	v_cmp_eq_u32_e32 vcc_lo, 3, v0
	v_dual_cndmask_b32 v92, v92, v41 :: v_dual_cndmask_b32 v93, v93, v40
	v_cmp_eq_u32_e32 vcc_lo, 4, v0
	s_delay_alu instid0(VALU_DEP_2) | instskip(SKIP_1) | instid1(VALU_DEP_2)
	v_dual_cndmask_b32 v92, v92, v43 :: v_dual_cndmask_b32 v93, v93, v42
	v_cmp_eq_u32_e32 vcc_lo, 5, v0
	v_dual_cndmask_b32 v92, v92, v45 :: v_dual_cndmask_b32 v93, v93, v44
	v_cmp_eq_u32_e32 vcc_lo, 6, v0
	s_delay_alu instid0(VALU_DEP_2) | instskip(SKIP_1) | instid1(VALU_DEP_2)
	v_dual_cndmask_b32 v92, v92, v47 :: v_dual_cndmask_b32 v93, v93, v46
	v_cmp_eq_u32_e32 vcc_lo, 7, v0
	v_dual_cndmask_b32 v92, v92, v49 :: v_dual_cndmask_b32 v93, v93, v48
	v_cmp_eq_u32_e32 vcc_lo, 8, v0
	s_delay_alu instid0(VALU_DEP_2) | instskip(SKIP_1) | instid1(VALU_DEP_2)
	v_dual_cndmask_b32 v92, v92, v51 :: v_dual_cndmask_b32 v93, v93, v50
	v_cmp_eq_u32_e32 vcc_lo, 9, v0
	v_dual_cndmask_b32 v95, v92, v53 :: v_dual_cndmask_b32 v96, v93, v52
	v_cmp_eq_u32_e32 vcc_lo, 10, v0
	ds_load_b64 v[92:93], v94
	v_dual_cndmask_b32 v95, v95, v55 :: v_dual_cndmask_b32 v96, v96, v54
	v_cmp_eq_u32_e32 vcc_lo, 11, v0
	s_delay_alu instid0(VALU_DEP_2) | instskip(NEXT) | instid1(VALU_DEP_3)
	v_cndmask_b32_e32 v95, v95, v57, vcc_lo
	v_cndmask_b32_e32 v97, v96, v56, vcc_lo
	v_cmp_eq_u32_e32 vcc_lo, 12, v0
	s_delay_alu instid0(VALU_DEP_2) | instskip(SKIP_1) | instid1(VALU_DEP_1)
	v_dual_cndmask_b32 v96, v95, v59 :: v_dual_cndmask_b32 v95, v97, v58
	s_waitcnt lgkmcnt(0)
	v_mul_f64 v[92:93], v[95:96], v[92:93]
	s_cbranch_execz .LBB12_55
	s_branch .LBB12_56
.LBB12_54:
                                        ; implicit-def: $vgpr92_vgpr93
.LBB12_55:
	ds_load_b64 v[92:93], v94
.LBB12_56:
	s_and_saveexec_b32 s5, s0
	s_cbranch_execz .LBB12_66
; %bb.57:
	v_add_nc_u32_e32 v95, -9, v0
	s_delay_alu instid0(VALU_DEP_1)
	v_cmp_lt_u32_e32 vcc_lo, 6, v95
	v_mov_b32_e32 v95, 8
	s_and_saveexec_b32 s0, vcc_lo
	s_cbranch_execz .LBB12_61
; %bb.58:
	v_and_b32_e32 v95, 8, v0
	s_mov_b32 s6, 0
	s_mov_b64 s[2:3], 15
	s_movk_i32 s7, 0xb0
	s_delay_alu instid0(VALU_DEP_1)
	v_sub_nc_u32_e32 v96, 0, v95
.LBB12_59:                              ; =>This Inner Loop Header: Depth=1
	v_mov_b32_e32 v95, s7
	s_lshl_b32 s8, s2, 1
	s_delay_alu instid0(SALU_CYCLE_1)
	s_add_i32 m0, s8, -13
	v_movrels_b32_e32 v106, v34
	ds_load_b128 v[97:100], v95
	ds_load_b128 v[101:104], v95 offset:16
	s_add_i32 m0, s8, -14
	v_movrels_b32_e32 v105, v34
	s_add_i32 m0, s8, -11
	s_waitcnt lgkmcnt(1)
	s_delay_alu instid0(VALU_DEP_1) | instskip(SKIP_4) | instid1(VALU_DEP_1)
	v_fma_f64 v[92:93], v[105:106], v[97:98], v[92:93]
	v_movrels_b32_e32 v98, v34
	s_add_i32 m0, s8, -12
	v_movrels_b32_e32 v97, v34
	s_add_i32 m0, s8, -9
	v_fma_f64 v[92:93], v[97:98], v[99:100], v[92:93]
	v_movrels_b32_e32 v98, v34
	s_add_i32 m0, s8, -10
	v_movrels_b32_e32 v97, v34
	s_add_i32 m0, s8, -7
	s_waitcnt lgkmcnt(0)
	s_delay_alu instid0(VALU_DEP_1)
	v_fma_f64 v[92:93], v[97:98], v[101:102], v[92:93]
	v_movrels_b32_e32 v98, v34
	s_add_i32 m0, s8, -8
	v_movrels_b32_e32 v97, v34
	s_add_i32 m0, s8, -5
	v_movrels_b32_e32 v106, v34
	s_add_i32 m0, s8, -6
	v_movrels_b32_e32 v105, v34
	s_add_i32 m0, s8, -3
	v_fma_f64 v[92:93], v[97:98], v[103:104], v[92:93]
	ds_load_b128 v[97:100], v95 offset:32
	ds_load_b128 v[101:104], v95 offset:48
	s_waitcnt lgkmcnt(1)
	v_fma_f64 v[92:93], v[105:106], v[97:98], v[92:93]
	v_movrels_b32_e32 v98, v34
	s_add_i32 m0, s8, -4
	v_movrels_b32_e32 v97, v34
	s_add_i32 m0, s8, -1
	s_delay_alu instid0(VALU_DEP_1)
	v_fma_f64 v[92:93], v[97:98], v[99:100], v[92:93]
	v_movrels_b32_e32 v98, v34
	s_add_i32 m0, s8, -2
	s_add_u32 s2, s2, 8
	v_movrels_b32_e32 v97, v34
	s_mov_b32 m0, s8
	v_add_nc_u32_e32 v95, s2, v96
	s_addc_u32 s3, s3, 0
	s_add_i32 s8, s2, -7
	s_add_i32 s7, s7, 64
	s_delay_alu instid0(VALU_DEP_1)
	v_cmp_eq_u32_e32 vcc_lo, 7, v95
	v_mov_b32_e32 v95, s8
	s_or_b32 s6, vcc_lo, s6
	s_waitcnt lgkmcnt(0)
	v_fma_f64 v[92:93], v[97:98], v[101:102], v[92:93]
	v_movrels_b32_e32 v98, v35
	v_movrels_b32_e32 v97, v34
	s_delay_alu instid0(VALU_DEP_1)
	v_fma_f64 v[92:93], v[97:98], v[103:104], v[92:93]
	s_and_not1_b32 exec_lo, exec_lo, s6
	s_cbranch_execnz .LBB12_59
; %bb.60:
	s_or_b32 exec_lo, exec_lo, s6
.LBB12_61:
	s_delay_alu instid0(SALU_CYCLE_1) | instskip(SKIP_3) | instid1(VALU_DEP_1)
	s_or_b32 exec_lo, exec_lo, s0
	v_and_b32_e32 v60, 7, v0
	s_mov_b32 s3, 0
	s_mov_b32 s2, exec_lo
	v_cmpx_ne_u32_e32 0, v60
	s_cbranch_execz .LBB12_65
; %bb.62:
	v_lshl_add_u32 v61, v95, 3, 0x70
	v_mov_b32_e32 v62, 0
.LBB12_63:                              ; =>This Inner Loop Header: Depth=1
	v_cmp_eq_u32_e32 vcc_lo, 1, v95
	v_cmp_eq_u32_e64 s0, 2, v95
	v_dual_cndmask_b32 v63, v35, v37 :: v_dual_add_nc_u32 v60, -1, v60
	v_cndmask_b32_e32 v64, v34, v36, vcc_lo
	v_cmp_eq_u32_e32 vcc_lo, 3, v95
	s_delay_alu instid0(VALU_DEP_3) | instskip(NEXT) | instid1(VALU_DEP_3)
	v_cndmask_b32_e64 v63, v63, v39, s0
	v_cndmask_b32_e64 v64, v64, v38, s0
	v_cmp_eq_u32_e64 s0, 4, v95
	s_delay_alu instid0(VALU_DEP_2) | instskip(SKIP_1) | instid1(VALU_DEP_2)
	v_dual_cndmask_b32 v63, v63, v41 :: v_dual_cndmask_b32 v64, v64, v40
	v_cmp_eq_u32_e32 vcc_lo, 5, v95
	v_cndmask_b32_e64 v63, v63, v43, s0
	s_delay_alu instid0(VALU_DEP_3) | instskip(SKIP_1) | instid1(VALU_DEP_2)
	v_cndmask_b32_e64 v64, v64, v42, s0
	v_cmp_eq_u32_e64 s0, 6, v95
	v_dual_cndmask_b32 v63, v63, v45 :: v_dual_cndmask_b32 v64, v64, v44
	v_cmp_eq_u32_e32 vcc_lo, 7, v95
	s_delay_alu instid0(VALU_DEP_2) | instskip(NEXT) | instid1(VALU_DEP_3)
	v_cndmask_b32_e64 v63, v63, v47, s0
	v_cndmask_b32_e64 v64, v64, v46, s0
	v_cmp_eq_u32_e64 s0, 8, v95
	s_delay_alu instid0(VALU_DEP_2) | instskip(SKIP_1) | instid1(VALU_DEP_2)
	v_dual_cndmask_b32 v63, v63, v49 :: v_dual_cndmask_b32 v64, v64, v48
	v_cmp_eq_u32_e32 vcc_lo, 9, v95
	v_cndmask_b32_e64 v65, v63, v51, s0
	s_delay_alu instid0(VALU_DEP_3)
	v_cndmask_b32_e64 v96, v64, v50, s0
	ds_load_b64 v[63:64], v61
	v_cmp_eq_u32_e64 s0, 10, v95
	v_add_nc_u32_e32 v61, 8, v61
	v_dual_cndmask_b32 v65, v65, v53 :: v_dual_cndmask_b32 v96, v96, v52
	v_cmp_eq_u32_e32 vcc_lo, 11, v95
	s_delay_alu instid0(VALU_DEP_2) | instskip(NEXT) | instid1(VALU_DEP_3)
	v_cndmask_b32_e64 v65, v65, v55, s0
	v_cndmask_b32_e64 v96, v96, v54, s0
	v_cmp_eq_u32_e64 s0, 12, v95
	s_delay_alu instid0(VALU_DEP_2) | instskip(SKIP_1) | instid1(VALU_DEP_2)
	v_dual_cndmask_b32 v65, v65, v57 :: v_dual_cndmask_b32 v96, v96, v56
	v_cmp_eq_u32_e32 vcc_lo, 0, v60
	v_cndmask_b32_e64 v97, v65, v59, s0
	s_delay_alu instid0(VALU_DEP_3) | instskip(SKIP_1) | instid1(VALU_DEP_1)
	v_cndmask_b32_e64 v96, v96, v58, s0
	v_add_co_u32 v95, s0, v95, 1
	v_add_co_ci_u32_e64 v62, s0, 0, v62, s0
	s_waitcnt lgkmcnt(0)
	s_delay_alu instid0(VALU_DEP_3) | instskip(SKIP_1) | instid1(SALU_CYCLE_1)
	v_fma_f64 v[92:93], v[96:97], v[63:64], v[92:93]
	s_or_b32 s3, vcc_lo, s3
	s_and_not1_b32 exec_lo, exec_lo, s3
	s_cbranch_execnz .LBB12_63
; %bb.64:
	s_or_b32 exec_lo, exec_lo, s3
.LBB12_65:
	s_delay_alu instid0(SALU_CYCLE_1)
	s_or_b32 exec_lo, exec_lo, s2
.LBB12_66:
	s_delay_alu instid0(SALU_CYCLE_1)
	s_or_b32 exec_lo, exec_lo, s5
	v_mov_b32_e32 v48, 0
	ds_load_b64 v[48:49], v48 offset:56
	s_waitcnt lgkmcnt(0)
	v_mul_f64 v[48:49], v[92:93], v[48:49]
.LBB12_67:
	s_or_b32 exec_lo, exec_lo, s4
	v_cmp_lt_u32_e64 s0, 6, v0
	ds_store_b64 v94, v[46:47]
	s_waitcnt lgkmcnt(0)
	s_barrier
	buffer_gl0_inv
	s_and_saveexec_b32 s4, s0
	s_cbranch_execz .LBB12_83
; %bb.68:
	s_and_not1_b32 vcc_lo, exec_lo, s13
	s_cbranch_vccnz .LBB12_70
; %bb.69:
	v_cmp_eq_u32_e32 vcc_lo, 1, v0
	v_dual_cndmask_b32 v92, v35, v37 :: v_dual_cndmask_b32 v93, v34, v36
	v_cmp_eq_u32_e32 vcc_lo, 2, v0
	s_delay_alu instid0(VALU_DEP_2) | instskip(SKIP_1) | instid1(VALU_DEP_2)
	v_dual_cndmask_b32 v92, v92, v39 :: v_dual_cndmask_b32 v93, v93, v38
	v_cmp_eq_u32_e32 vcc_lo, 3, v0
	v_dual_cndmask_b32 v92, v92, v41 :: v_dual_cndmask_b32 v93, v93, v40
	v_cmp_eq_u32_e32 vcc_lo, 4, v0
	s_delay_alu instid0(VALU_DEP_2) | instskip(SKIP_1) | instid1(VALU_DEP_2)
	v_dual_cndmask_b32 v92, v92, v43 :: v_dual_cndmask_b32 v93, v93, v42
	;; [unrolled: 5-line block ×4, first 2 shown]
	v_cmp_eq_u32_e32 vcc_lo, 9, v0
	v_dual_cndmask_b32 v95, v92, v53 :: v_dual_cndmask_b32 v96, v93, v52
	v_cmp_eq_u32_e32 vcc_lo, 10, v0
	ds_load_b64 v[92:93], v94
	v_dual_cndmask_b32 v95, v95, v55 :: v_dual_cndmask_b32 v96, v96, v54
	v_cmp_eq_u32_e32 vcc_lo, 11, v0
	s_delay_alu instid0(VALU_DEP_2) | instskip(NEXT) | instid1(VALU_DEP_3)
	v_cndmask_b32_e32 v95, v95, v57, vcc_lo
	v_cndmask_b32_e32 v97, v96, v56, vcc_lo
	v_cmp_eq_u32_e32 vcc_lo, 12, v0
	s_delay_alu instid0(VALU_DEP_2) | instskip(SKIP_1) | instid1(VALU_DEP_1)
	v_dual_cndmask_b32 v96, v95, v59 :: v_dual_cndmask_b32 v95, v97, v58
	s_waitcnt lgkmcnt(0)
	v_mul_f64 v[92:93], v[95:96], v[92:93]
	s_cbranch_execz .LBB12_71
	s_branch .LBB12_72
.LBB12_70:
                                        ; implicit-def: $vgpr92_vgpr93
.LBB12_71:
	ds_load_b64 v[92:93], v94
.LBB12_72:
	s_and_saveexec_b32 s5, s1
	s_cbranch_execz .LBB12_82
; %bb.73:
	v_dual_mov_b32 v97, 7 :: v_dual_add_nc_u32 v96, -8, v0
	v_add_nc_u32_e32 v95, -7, v0
	s_mov_b32 s1, exec_lo
	s_delay_alu instid0(VALU_DEP_2)
	v_cmpx_lt_u32_e32 6, v96
	s_cbranch_execz .LBB12_77
; %bb.74:
	s_delay_alu instid0(VALU_DEP_2) | instskip(SKIP_3) | instid1(VALU_DEP_1)
	v_and_b32_e32 v96, -8, v95
	s_mov_b32 s6, 0
	s_mov_b64 s[2:3], 14
	s_movk_i32 s7, 0xa8
	v_sub_nc_u32_e32 v96, 0, v96
.LBB12_75:                              ; =>This Inner Loop Header: Depth=1
	v_mov_b32_e32 v107, s7
	s_lshl_b32 s8, s2, 1
	s_delay_alu instid0(SALU_CYCLE_1)
	s_add_i32 m0, s8, -13
	v_movrels_b32_e32 v106, v34
	ds_load_2addr_b64 v[97:100], v107 offset1:1
	ds_load_2addr_b64 v[101:104], v107 offset0:2 offset1:3
	s_add_i32 m0, s8, -14
	v_movrels_b32_e32 v105, v34
	s_add_i32 m0, s8, -11
	s_waitcnt lgkmcnt(1)
	s_delay_alu instid0(VALU_DEP_1) | instskip(SKIP_4) | instid1(VALU_DEP_1)
	v_fma_f64 v[92:93], v[105:106], v[97:98], v[92:93]
	v_movrels_b32_e32 v98, v34
	s_add_i32 m0, s8, -12
	v_movrels_b32_e32 v97, v34
	s_add_i32 m0, s8, -9
	v_fma_f64 v[92:93], v[97:98], v[99:100], v[92:93]
	v_movrels_b32_e32 v98, v34
	s_add_i32 m0, s8, -10
	v_movrels_b32_e32 v97, v34
	s_add_i32 m0, s8, -7
	s_waitcnt lgkmcnt(0)
	s_delay_alu instid0(VALU_DEP_1)
	v_fma_f64 v[92:93], v[97:98], v[101:102], v[92:93]
	v_movrels_b32_e32 v98, v34
	s_add_i32 m0, s8, -8
	v_movrels_b32_e32 v97, v34
	s_add_i32 m0, s8, -5
	v_movrels_b32_e32 v106, v34
	s_add_i32 m0, s8, -6
	v_movrels_b32_e32 v105, v34
	s_add_i32 m0, s8, -3
	v_fma_f64 v[92:93], v[97:98], v[103:104], v[92:93]
	ds_load_2addr_b64 v[97:100], v107 offset0:4 offset1:5
	ds_load_2addr_b64 v[101:104], v107 offset0:6 offset1:7
	s_waitcnt lgkmcnt(1)
	v_fma_f64 v[92:93], v[105:106], v[97:98], v[92:93]
	v_movrels_b32_e32 v98, v34
	s_add_i32 m0, s8, -4
	v_movrels_b32_e32 v97, v34
	s_add_i32 m0, s8, -1
	s_delay_alu instid0(VALU_DEP_1)
	v_fma_f64 v[92:93], v[97:98], v[99:100], v[92:93]
	v_movrels_b32_e32 v98, v34
	s_add_i32 m0, s8, -2
	s_add_u32 s2, s2, 8
	v_movrels_b32_e32 v97, v34
	s_mov_b32 m0, s8
	s_addc_u32 s3, s3, 0
	s_add_i32 s8, s2, -7
	s_add_i32 s7, s7, 64
	s_waitcnt lgkmcnt(0)
	s_delay_alu instid0(VALU_DEP_3) | instskip(SKIP_2) | instid1(VALU_DEP_1)
	v_fma_f64 v[92:93], v[97:98], v[101:102], v[92:93]
	v_movrels_b32_e32 v98, v35
	v_movrels_b32_e32 v97, v34
	v_fma_f64 v[92:93], v[97:98], v[103:104], v[92:93]
	v_add_nc_u32_e32 v97, s2, v96
	s_delay_alu instid0(VALU_DEP_1) | instskip(SKIP_2) | instid1(SALU_CYCLE_1)
	v_cmp_eq_u32_e32 vcc_lo, 14, v97
	v_mov_b32_e32 v97, s8
	s_or_b32 s6, vcc_lo, s6
	s_and_not1_b32 exec_lo, exec_lo, s6
	s_cbranch_execnz .LBB12_75
; %bb.76:
	s_or_b32 exec_lo, exec_lo, s6
.LBB12_77:
	s_delay_alu instid0(SALU_CYCLE_1) | instskip(SKIP_3) | instid1(VALU_DEP_1)
	s_or_b32 exec_lo, exec_lo, s1
	v_and_b32_e32 v60, 7, v95
	s_mov_b32 s3, 0
	s_mov_b32 s2, exec_lo
	v_cmpx_ne_u32_e32 0, v60
	s_cbranch_execz .LBB12_81
; %bb.78:
	v_lshl_add_u32 v61, v97, 3, 0x70
	v_mov_b32_e32 v62, 0
.LBB12_79:                              ; =>This Inner Loop Header: Depth=1
	v_cmp_eq_u32_e32 vcc_lo, 1, v97
	v_cmp_eq_u32_e64 s1, 2, v97
	v_dual_cndmask_b32 v63, v35, v37 :: v_dual_add_nc_u32 v60, -1, v60
	v_cndmask_b32_e32 v64, v34, v36, vcc_lo
	v_cmp_eq_u32_e32 vcc_lo, 3, v97
	s_delay_alu instid0(VALU_DEP_3) | instskip(NEXT) | instid1(VALU_DEP_3)
	v_cndmask_b32_e64 v63, v63, v39, s1
	v_cndmask_b32_e64 v64, v64, v38, s1
	v_cmp_eq_u32_e64 s1, 4, v97
	s_delay_alu instid0(VALU_DEP_2) | instskip(SKIP_1) | instid1(VALU_DEP_2)
	v_dual_cndmask_b32 v63, v63, v41 :: v_dual_cndmask_b32 v64, v64, v40
	v_cmp_eq_u32_e32 vcc_lo, 5, v97
	v_cndmask_b32_e64 v63, v63, v43, s1
	s_delay_alu instid0(VALU_DEP_3) | instskip(SKIP_1) | instid1(VALU_DEP_2)
	v_cndmask_b32_e64 v64, v64, v42, s1
	v_cmp_eq_u32_e64 s1, 6, v97
	v_dual_cndmask_b32 v63, v63, v45 :: v_dual_cndmask_b32 v64, v64, v44
	v_cmp_eq_u32_e32 vcc_lo, 7, v97
	s_delay_alu instid0(VALU_DEP_2) | instskip(NEXT) | instid1(VALU_DEP_3)
	v_cndmask_b32_e64 v63, v63, v47, s1
	v_cndmask_b32_e64 v64, v64, v46, s1
	v_cmp_eq_u32_e64 s1, 8, v97
	s_delay_alu instid0(VALU_DEP_2) | instskip(SKIP_1) | instid1(VALU_DEP_2)
	v_dual_cndmask_b32 v63, v63, v49 :: v_dual_cndmask_b32 v64, v64, v48
	v_cmp_eq_u32_e32 vcc_lo, 9, v97
	v_cndmask_b32_e64 v65, v63, v51, s1
	s_delay_alu instid0(VALU_DEP_3)
	v_cndmask_b32_e64 v95, v64, v50, s1
	ds_load_b64 v[63:64], v61
	v_cmp_eq_u32_e64 s1, 10, v97
	v_add_nc_u32_e32 v61, 8, v61
	v_cndmask_b32_e32 v65, v65, v53, vcc_lo
	v_cndmask_b32_e32 v95, v95, v52, vcc_lo
	v_cmp_eq_u32_e32 vcc_lo, 11, v97
	s_delay_alu instid0(VALU_DEP_3) | instskip(NEXT) | instid1(VALU_DEP_3)
	v_cndmask_b32_e64 v65, v65, v55, s1
	v_cndmask_b32_e64 v95, v95, v54, s1
	v_cmp_eq_u32_e64 s1, 12, v97
	s_delay_alu instid0(VALU_DEP_3) | instskip(NEXT) | instid1(VALU_DEP_3)
	v_cndmask_b32_e32 v65, v65, v57, vcc_lo
	v_cndmask_b32_e32 v95, v95, v56, vcc_lo
	v_cmp_eq_u32_e32 vcc_lo, 0, v60
	s_delay_alu instid0(VALU_DEP_3) | instskip(NEXT) | instid1(VALU_DEP_3)
	v_cndmask_b32_e64 v96, v65, v59, s1
	v_cndmask_b32_e64 v95, v95, v58, s1
	v_add_co_u32 v97, s1, v97, 1
	s_delay_alu instid0(VALU_DEP_1) | instskip(SKIP_1) | instid1(VALU_DEP_3)
	v_add_co_ci_u32_e64 v62, s1, 0, v62, s1
	s_waitcnt lgkmcnt(0)
	v_fma_f64 v[92:93], v[95:96], v[63:64], v[92:93]
	s_or_b32 s3, vcc_lo, s3
	s_delay_alu instid0(SALU_CYCLE_1)
	s_and_not1_b32 exec_lo, exec_lo, s3
	s_cbranch_execnz .LBB12_79
; %bb.80:
	s_or_b32 exec_lo, exec_lo, s3
.LBB12_81:
	s_delay_alu instid0(SALU_CYCLE_1)
	s_or_b32 exec_lo, exec_lo, s2
.LBB12_82:
	s_delay_alu instid0(SALU_CYCLE_1)
	s_or_b32 exec_lo, exec_lo, s5
	v_mov_b32_e32 v46, 0
	ds_load_b64 v[46:47], v46 offset:48
	s_waitcnt lgkmcnt(0)
	v_mul_f64 v[46:47], v[92:93], v[46:47]
.LBB12_83:
	s_or_b32 exec_lo, exec_lo, s4
	v_cmp_lt_u32_e64 s2, 5, v0
	ds_store_b64 v94, v[44:45]
	s_waitcnt lgkmcnt(0)
	s_barrier
	buffer_gl0_inv
	s_and_saveexec_b32 s3, s2
	s_cbranch_execz .LBB12_99
; %bb.84:
	s_and_not1_b32 vcc_lo, exec_lo, s13
	s_cbranch_vccnz .LBB12_86
; %bb.85:
	v_cmp_eq_u32_e32 vcc_lo, 1, v0
	v_dual_cndmask_b32 v92, v35, v37 :: v_dual_cndmask_b32 v93, v34, v36
	v_cmp_eq_u32_e32 vcc_lo, 2, v0
	s_delay_alu instid0(VALU_DEP_2) | instskip(SKIP_1) | instid1(VALU_DEP_2)
	v_dual_cndmask_b32 v92, v92, v39 :: v_dual_cndmask_b32 v93, v93, v38
	v_cmp_eq_u32_e32 vcc_lo, 3, v0
	v_dual_cndmask_b32 v92, v92, v41 :: v_dual_cndmask_b32 v93, v93, v40
	v_cmp_eq_u32_e32 vcc_lo, 4, v0
	s_delay_alu instid0(VALU_DEP_2) | instskip(SKIP_1) | instid1(VALU_DEP_2)
	v_dual_cndmask_b32 v92, v92, v43 :: v_dual_cndmask_b32 v93, v93, v42
	;; [unrolled: 5-line block ×4, first 2 shown]
	v_cmp_eq_u32_e32 vcc_lo, 9, v0
	v_dual_cndmask_b32 v95, v92, v53 :: v_dual_cndmask_b32 v96, v93, v52
	v_cmp_eq_u32_e32 vcc_lo, 10, v0
	ds_load_b64 v[92:93], v94
	v_dual_cndmask_b32 v95, v95, v55 :: v_dual_cndmask_b32 v96, v96, v54
	v_cmp_eq_u32_e32 vcc_lo, 11, v0
	s_delay_alu instid0(VALU_DEP_2) | instskip(NEXT) | instid1(VALU_DEP_3)
	v_cndmask_b32_e32 v95, v95, v57, vcc_lo
	v_cndmask_b32_e32 v97, v96, v56, vcc_lo
	v_cmp_eq_u32_e32 vcc_lo, 12, v0
	s_delay_alu instid0(VALU_DEP_2) | instskip(SKIP_1) | instid1(VALU_DEP_1)
	v_dual_cndmask_b32 v96, v95, v59 :: v_dual_cndmask_b32 v95, v97, v58
	s_waitcnt lgkmcnt(0)
	v_mul_f64 v[92:93], v[95:96], v[92:93]
	s_cbranch_execz .LBB12_87
	s_branch .LBB12_88
.LBB12_86:
                                        ; implicit-def: $vgpr92_vgpr93
.LBB12_87:
	ds_load_b64 v[92:93], v94
.LBB12_88:
	s_and_saveexec_b32 s4, s0
	s_cbranch_execz .LBB12_98
; %bb.89:
	v_add_nc_u32_e32 v96, -7, v0
	v_add_nc_u32_e32 v95, -6, v0
	s_delay_alu instid0(VALU_DEP_2)
	v_cmp_lt_u32_e32 vcc_lo, 6, v96
	v_mov_b32_e32 v96, 6
	s_and_saveexec_b32 s5, vcc_lo
	s_cbranch_execz .LBB12_93
; %bb.90:
	v_and_b32_e32 v96, -8, v95
	s_mov_b32 s6, 0
	s_mov_b64 s[0:1], 13
	s_movk_i32 s7, 0xa0
	s_delay_alu instid0(VALU_DEP_1)
	v_sub_nc_u32_e32 v97, 0, v96
.LBB12_91:                              ; =>This Inner Loop Header: Depth=1
	v_mov_b32_e32 v96, s7
	s_lshl_b32 s8, s0, 1
	s_delay_alu instid0(SALU_CYCLE_1)
	s_add_i32 m0, s8, -13
	v_movrels_b32_e32 v107, v34
	ds_load_b128 v[98:101], v96
	ds_load_b128 v[102:105], v96 offset:16
	s_add_i32 m0, s8, -14
	v_movrels_b32_e32 v106, v34
	s_add_i32 m0, s8, -11
	s_waitcnt lgkmcnt(1)
	s_delay_alu instid0(VALU_DEP_1) | instskip(SKIP_4) | instid1(VALU_DEP_1)
	v_fma_f64 v[92:93], v[106:107], v[98:99], v[92:93]
	v_movrels_b32_e32 v99, v34
	s_add_i32 m0, s8, -12
	v_movrels_b32_e32 v98, v34
	s_add_i32 m0, s8, -9
	v_fma_f64 v[92:93], v[98:99], v[100:101], v[92:93]
	v_movrels_b32_e32 v99, v34
	s_add_i32 m0, s8, -10
	v_movrels_b32_e32 v98, v34
	s_add_i32 m0, s8, -7
	s_waitcnt lgkmcnt(0)
	s_delay_alu instid0(VALU_DEP_1)
	v_fma_f64 v[92:93], v[98:99], v[102:103], v[92:93]
	v_movrels_b32_e32 v99, v34
	s_add_i32 m0, s8, -8
	v_movrels_b32_e32 v98, v34
	s_add_i32 m0, s8, -5
	;; [unrolled: 2-line block ×4, first 2 shown]
	v_fma_f64 v[92:93], v[98:99], v[104:105], v[92:93]
	ds_load_b128 v[98:101], v96 offset:32
	ds_load_b128 v[102:105], v96 offset:48
	s_waitcnt lgkmcnt(1)
	v_fma_f64 v[92:93], v[106:107], v[98:99], v[92:93]
	v_movrels_b32_e32 v99, v34
	s_add_i32 m0, s8, -4
	v_movrels_b32_e32 v98, v34
	s_add_i32 m0, s8, -1
	s_delay_alu instid0(VALU_DEP_1)
	v_fma_f64 v[92:93], v[98:99], v[100:101], v[92:93]
	v_movrels_b32_e32 v99, v34
	s_add_i32 m0, s8, -2
	s_add_u32 s0, s0, 8
	v_movrels_b32_e32 v98, v34
	s_mov_b32 m0, s8
	v_add_nc_u32_e32 v96, s0, v97
	s_addc_u32 s1, s1, 0
	s_add_i32 s8, s0, -7
	s_add_i32 s7, s7, 64
	s_delay_alu instid0(VALU_DEP_1)
	v_cmp_eq_u32_e32 vcc_lo, 13, v96
	v_mov_b32_e32 v96, s8
	s_or_b32 s6, vcc_lo, s6
	s_waitcnt lgkmcnt(0)
	v_fma_f64 v[92:93], v[98:99], v[102:103], v[92:93]
	v_movrels_b32_e32 v99, v35
	v_movrels_b32_e32 v98, v34
	s_delay_alu instid0(VALU_DEP_1)
	v_fma_f64 v[92:93], v[98:99], v[104:105], v[92:93]
	s_and_not1_b32 exec_lo, exec_lo, s6
	s_cbranch_execnz .LBB12_91
; %bb.92:
	s_or_b32 exec_lo, exec_lo, s6
.LBB12_93:
	s_delay_alu instid0(SALU_CYCLE_1) | instskip(SKIP_3) | instid1(VALU_DEP_1)
	s_or_b32 exec_lo, exec_lo, s5
	v_and_b32_e32 v60, 7, v95
	s_mov_b32 s5, 0
	s_mov_b32 s1, exec_lo
	v_cmpx_ne_u32_e32 0, v60
	s_cbranch_execz .LBB12_97
; %bb.94:
	v_lshl_add_u32 v61, v96, 3, 0x70
	v_mov_b32_e32 v62, 0
.LBB12_95:                              ; =>This Inner Loop Header: Depth=1
	v_cmp_eq_u32_e32 vcc_lo, 1, v96
	v_cmp_eq_u32_e64 s0, 2, v96
	v_dual_cndmask_b32 v63, v35, v37 :: v_dual_add_nc_u32 v60, -1, v60
	v_cndmask_b32_e32 v64, v34, v36, vcc_lo
	v_cmp_eq_u32_e32 vcc_lo, 3, v96
	s_delay_alu instid0(VALU_DEP_3) | instskip(NEXT) | instid1(VALU_DEP_3)
	v_cndmask_b32_e64 v63, v63, v39, s0
	v_cndmask_b32_e64 v64, v64, v38, s0
	v_cmp_eq_u32_e64 s0, 4, v96
	s_delay_alu instid0(VALU_DEP_2) | instskip(SKIP_1) | instid1(VALU_DEP_2)
	v_dual_cndmask_b32 v63, v63, v41 :: v_dual_cndmask_b32 v64, v64, v40
	v_cmp_eq_u32_e32 vcc_lo, 5, v96
	v_cndmask_b32_e64 v63, v63, v43, s0
	s_delay_alu instid0(VALU_DEP_3) | instskip(SKIP_1) | instid1(VALU_DEP_2)
	v_cndmask_b32_e64 v64, v64, v42, s0
	v_cmp_eq_u32_e64 s0, 6, v96
	v_dual_cndmask_b32 v63, v63, v45 :: v_dual_cndmask_b32 v64, v64, v44
	v_cmp_eq_u32_e32 vcc_lo, 7, v96
	s_delay_alu instid0(VALU_DEP_2) | instskip(NEXT) | instid1(VALU_DEP_3)
	v_cndmask_b32_e64 v63, v63, v47, s0
	v_cndmask_b32_e64 v64, v64, v46, s0
	v_cmp_eq_u32_e64 s0, 8, v96
	s_delay_alu instid0(VALU_DEP_2) | instskip(SKIP_1) | instid1(VALU_DEP_2)
	v_dual_cndmask_b32 v63, v63, v49 :: v_dual_cndmask_b32 v64, v64, v48
	v_cmp_eq_u32_e32 vcc_lo, 9, v96
	v_cndmask_b32_e64 v65, v63, v51, s0
	s_delay_alu instid0(VALU_DEP_3)
	v_cndmask_b32_e64 v95, v64, v50, s0
	ds_load_b64 v[63:64], v61
	v_cmp_eq_u32_e64 s0, 10, v96
	v_add_nc_u32_e32 v61, 8, v61
	v_cndmask_b32_e32 v65, v65, v53, vcc_lo
	v_cndmask_b32_e32 v95, v95, v52, vcc_lo
	v_cmp_eq_u32_e32 vcc_lo, 11, v96
	s_delay_alu instid0(VALU_DEP_3) | instskip(NEXT) | instid1(VALU_DEP_3)
	v_cndmask_b32_e64 v65, v65, v55, s0
	v_cndmask_b32_e64 v95, v95, v54, s0
	v_cmp_eq_u32_e64 s0, 12, v96
	s_delay_alu instid0(VALU_DEP_3) | instskip(NEXT) | instid1(VALU_DEP_3)
	v_cndmask_b32_e32 v65, v65, v57, vcc_lo
	v_cndmask_b32_e32 v95, v95, v56, vcc_lo
	v_cmp_eq_u32_e32 vcc_lo, 0, v60
	s_delay_alu instid0(VALU_DEP_3) | instskip(NEXT) | instid1(VALU_DEP_3)
	v_cndmask_b32_e64 v98, v65, v59, s0
	v_cndmask_b32_e64 v97, v95, v58, s0
	v_add_co_u32 v96, s0, v96, 1
	s_delay_alu instid0(VALU_DEP_1) | instskip(SKIP_1) | instid1(VALU_DEP_3)
	v_add_co_ci_u32_e64 v62, s0, 0, v62, s0
	s_waitcnt lgkmcnt(0)
	v_fma_f64 v[92:93], v[97:98], v[63:64], v[92:93]
	s_or_b32 s5, vcc_lo, s5
	s_delay_alu instid0(SALU_CYCLE_1)
	s_and_not1_b32 exec_lo, exec_lo, s5
	s_cbranch_execnz .LBB12_95
; %bb.96:
	s_or_b32 exec_lo, exec_lo, s5
.LBB12_97:
	s_delay_alu instid0(SALU_CYCLE_1)
	s_or_b32 exec_lo, exec_lo, s1
.LBB12_98:
	s_delay_alu instid0(SALU_CYCLE_1)
	s_or_b32 exec_lo, exec_lo, s4
	v_mov_b32_e32 v44, 0
	ds_load_b64 v[44:45], v44 offset:40
	s_waitcnt lgkmcnt(0)
	v_mul_f64 v[44:45], v[92:93], v[44:45]
.LBB12_99:
	s_or_b32 exec_lo, exec_lo, s3
	v_cmp_lt_u32_e64 s1, 4, v0
	ds_store_b64 v94, v[42:43]
	s_waitcnt lgkmcnt(0)
	s_barrier
	buffer_gl0_inv
	s_and_saveexec_b32 s4, s1
	s_cbranch_execz .LBB12_115
; %bb.100:
	s_and_not1_b32 vcc_lo, exec_lo, s13
	s_cbranch_vccnz .LBB12_102
; %bb.101:
	v_cmp_eq_u32_e32 vcc_lo, 1, v0
	v_dual_cndmask_b32 v92, v35, v37 :: v_dual_cndmask_b32 v93, v34, v36
	v_cmp_eq_u32_e32 vcc_lo, 2, v0
	s_delay_alu instid0(VALU_DEP_2) | instskip(SKIP_1) | instid1(VALU_DEP_2)
	v_dual_cndmask_b32 v92, v92, v39 :: v_dual_cndmask_b32 v93, v93, v38
	v_cmp_eq_u32_e32 vcc_lo, 3, v0
	v_dual_cndmask_b32 v92, v92, v41 :: v_dual_cndmask_b32 v93, v93, v40
	v_cmp_eq_u32_e32 vcc_lo, 4, v0
	s_delay_alu instid0(VALU_DEP_2) | instskip(SKIP_1) | instid1(VALU_DEP_2)
	v_dual_cndmask_b32 v92, v92, v43 :: v_dual_cndmask_b32 v93, v93, v42
	v_cmp_eq_u32_e32 vcc_lo, 5, v0
	v_dual_cndmask_b32 v92, v92, v45 :: v_dual_cndmask_b32 v93, v93, v44
	v_cmp_eq_u32_e32 vcc_lo, 6, v0
	s_delay_alu instid0(VALU_DEP_2) | instskip(SKIP_1) | instid1(VALU_DEP_2)
	v_dual_cndmask_b32 v92, v92, v47 :: v_dual_cndmask_b32 v93, v93, v46
	v_cmp_eq_u32_e32 vcc_lo, 7, v0
	v_dual_cndmask_b32 v92, v92, v49 :: v_dual_cndmask_b32 v93, v93, v48
	v_cmp_eq_u32_e32 vcc_lo, 8, v0
	s_delay_alu instid0(VALU_DEP_2) | instskip(SKIP_1) | instid1(VALU_DEP_2)
	v_dual_cndmask_b32 v92, v92, v51 :: v_dual_cndmask_b32 v93, v93, v50
	v_cmp_eq_u32_e32 vcc_lo, 9, v0
	v_dual_cndmask_b32 v95, v92, v53 :: v_dual_cndmask_b32 v96, v93, v52
	v_cmp_eq_u32_e32 vcc_lo, 10, v0
	ds_load_b64 v[92:93], v94
	v_dual_cndmask_b32 v95, v95, v55 :: v_dual_cndmask_b32 v96, v96, v54
	v_cmp_eq_u32_e32 vcc_lo, 11, v0
	s_delay_alu instid0(VALU_DEP_2) | instskip(NEXT) | instid1(VALU_DEP_3)
	v_cndmask_b32_e32 v95, v95, v57, vcc_lo
	v_cndmask_b32_e32 v97, v96, v56, vcc_lo
	v_cmp_eq_u32_e32 vcc_lo, 12, v0
	s_delay_alu instid0(VALU_DEP_2) | instskip(SKIP_1) | instid1(VALU_DEP_1)
	v_dual_cndmask_b32 v96, v95, v59 :: v_dual_cndmask_b32 v95, v97, v58
	s_waitcnt lgkmcnt(0)
	v_mul_f64 v[92:93], v[95:96], v[92:93]
	s_cbranch_execz .LBB12_103
	s_branch .LBB12_104
.LBB12_102:
                                        ; implicit-def: $vgpr92_vgpr93
.LBB12_103:
	ds_load_b64 v[92:93], v94
.LBB12_104:
	s_and_saveexec_b32 s5, s2
	s_cbranch_execz .LBB12_114
; %bb.105:
	v_dual_mov_b32 v97, 5 :: v_dual_add_nc_u32 v96, -6, v0
	v_add_nc_u32_e32 v95, -5, v0
	s_mov_b32 s0, exec_lo
	s_delay_alu instid0(VALU_DEP_2)
	v_cmpx_lt_u32_e32 6, v96
	s_cbranch_execz .LBB12_109
; %bb.106:
	s_delay_alu instid0(VALU_DEP_2) | instskip(SKIP_3) | instid1(VALU_DEP_1)
	v_and_b32_e32 v96, -8, v95
	s_mov_b32 s6, 0
	s_mov_b64 s[2:3], 12
	s_movk_i32 s7, 0x98
	v_sub_nc_u32_e32 v96, 0, v96
.LBB12_107:                             ; =>This Inner Loop Header: Depth=1
	v_mov_b32_e32 v107, s7
	s_lshl_b32 s8, s2, 1
	s_delay_alu instid0(SALU_CYCLE_1)
	s_add_i32 m0, s8, -13
	v_movrels_b32_e32 v106, v34
	ds_load_2addr_b64 v[97:100], v107 offset1:1
	ds_load_2addr_b64 v[101:104], v107 offset0:2 offset1:3
	s_add_i32 m0, s8, -14
	v_movrels_b32_e32 v105, v34
	s_add_i32 m0, s8, -11
	s_waitcnt lgkmcnt(1)
	s_delay_alu instid0(VALU_DEP_1) | instskip(SKIP_4) | instid1(VALU_DEP_1)
	v_fma_f64 v[92:93], v[105:106], v[97:98], v[92:93]
	v_movrels_b32_e32 v98, v34
	s_add_i32 m0, s8, -12
	v_movrels_b32_e32 v97, v34
	s_add_i32 m0, s8, -9
	v_fma_f64 v[92:93], v[97:98], v[99:100], v[92:93]
	v_movrels_b32_e32 v98, v34
	s_add_i32 m0, s8, -10
	v_movrels_b32_e32 v97, v34
	s_add_i32 m0, s8, -7
	s_waitcnt lgkmcnt(0)
	s_delay_alu instid0(VALU_DEP_1)
	v_fma_f64 v[92:93], v[97:98], v[101:102], v[92:93]
	v_movrels_b32_e32 v98, v34
	s_add_i32 m0, s8, -8
	v_movrels_b32_e32 v97, v34
	s_add_i32 m0, s8, -5
	;; [unrolled: 2-line block ×4, first 2 shown]
	v_fma_f64 v[92:93], v[97:98], v[103:104], v[92:93]
	ds_load_2addr_b64 v[97:100], v107 offset0:4 offset1:5
	ds_load_2addr_b64 v[101:104], v107 offset0:6 offset1:7
	s_waitcnt lgkmcnt(1)
	v_fma_f64 v[92:93], v[105:106], v[97:98], v[92:93]
	v_movrels_b32_e32 v98, v34
	s_add_i32 m0, s8, -4
	v_movrels_b32_e32 v97, v34
	s_add_i32 m0, s8, -1
	s_delay_alu instid0(VALU_DEP_1)
	v_fma_f64 v[92:93], v[97:98], v[99:100], v[92:93]
	v_movrels_b32_e32 v98, v34
	s_add_i32 m0, s8, -2
	s_add_u32 s2, s2, 8
	v_movrels_b32_e32 v97, v34
	s_mov_b32 m0, s8
	s_addc_u32 s3, s3, 0
	s_add_i32 s8, s2, -7
	s_add_i32 s7, s7, 64
	s_waitcnt lgkmcnt(0)
	s_delay_alu instid0(VALU_DEP_3) | instskip(SKIP_2) | instid1(VALU_DEP_1)
	v_fma_f64 v[92:93], v[97:98], v[101:102], v[92:93]
	v_movrels_b32_e32 v98, v35
	v_movrels_b32_e32 v97, v34
	v_fma_f64 v[92:93], v[97:98], v[103:104], v[92:93]
	v_add_nc_u32_e32 v97, s2, v96
	s_delay_alu instid0(VALU_DEP_1) | instskip(SKIP_2) | instid1(SALU_CYCLE_1)
	v_cmp_eq_u32_e32 vcc_lo, 12, v97
	v_mov_b32_e32 v97, s8
	s_or_b32 s6, vcc_lo, s6
	s_and_not1_b32 exec_lo, exec_lo, s6
	s_cbranch_execnz .LBB12_107
; %bb.108:
	s_or_b32 exec_lo, exec_lo, s6
.LBB12_109:
	s_delay_alu instid0(SALU_CYCLE_1) | instskip(SKIP_3) | instid1(VALU_DEP_1)
	s_or_b32 exec_lo, exec_lo, s0
	v_and_b32_e32 v60, 7, v95
	s_mov_b32 s3, 0
	s_mov_b32 s2, exec_lo
	v_cmpx_ne_u32_e32 0, v60
	s_cbranch_execz .LBB12_113
; %bb.110:
	v_lshl_add_u32 v61, v97, 3, 0x70
	v_mov_b32_e32 v62, 0
.LBB12_111:                             ; =>This Inner Loop Header: Depth=1
	v_cmp_eq_u32_e32 vcc_lo, 1, v97
	v_cmp_eq_u32_e64 s0, 2, v97
	v_dual_cndmask_b32 v63, v35, v37 :: v_dual_add_nc_u32 v60, -1, v60
	v_cndmask_b32_e32 v64, v34, v36, vcc_lo
	v_cmp_eq_u32_e32 vcc_lo, 3, v97
	s_delay_alu instid0(VALU_DEP_3) | instskip(NEXT) | instid1(VALU_DEP_3)
	v_cndmask_b32_e64 v63, v63, v39, s0
	v_cndmask_b32_e64 v64, v64, v38, s0
	v_cmp_eq_u32_e64 s0, 4, v97
	s_delay_alu instid0(VALU_DEP_2) | instskip(SKIP_1) | instid1(VALU_DEP_2)
	v_dual_cndmask_b32 v63, v63, v41 :: v_dual_cndmask_b32 v64, v64, v40
	v_cmp_eq_u32_e32 vcc_lo, 5, v97
	v_cndmask_b32_e64 v63, v63, v43, s0
	s_delay_alu instid0(VALU_DEP_3) | instskip(SKIP_1) | instid1(VALU_DEP_2)
	v_cndmask_b32_e64 v64, v64, v42, s0
	v_cmp_eq_u32_e64 s0, 6, v97
	v_dual_cndmask_b32 v63, v63, v45 :: v_dual_cndmask_b32 v64, v64, v44
	v_cmp_eq_u32_e32 vcc_lo, 7, v97
	s_delay_alu instid0(VALU_DEP_2) | instskip(NEXT) | instid1(VALU_DEP_3)
	v_cndmask_b32_e64 v63, v63, v47, s0
	v_cndmask_b32_e64 v64, v64, v46, s0
	v_cmp_eq_u32_e64 s0, 8, v97
	s_delay_alu instid0(VALU_DEP_2) | instskip(SKIP_1) | instid1(VALU_DEP_2)
	v_dual_cndmask_b32 v63, v63, v49 :: v_dual_cndmask_b32 v64, v64, v48
	v_cmp_eq_u32_e32 vcc_lo, 9, v97
	v_cndmask_b32_e64 v65, v63, v51, s0
	s_delay_alu instid0(VALU_DEP_3)
	v_cndmask_b32_e64 v95, v64, v50, s0
	ds_load_b64 v[63:64], v61
	v_cmp_eq_u32_e64 s0, 10, v97
	v_add_nc_u32_e32 v61, 8, v61
	v_cndmask_b32_e32 v65, v65, v53, vcc_lo
	v_cndmask_b32_e32 v95, v95, v52, vcc_lo
	v_cmp_eq_u32_e32 vcc_lo, 11, v97
	s_delay_alu instid0(VALU_DEP_3) | instskip(NEXT) | instid1(VALU_DEP_3)
	v_cndmask_b32_e64 v65, v65, v55, s0
	v_cndmask_b32_e64 v95, v95, v54, s0
	v_cmp_eq_u32_e64 s0, 12, v97
	s_delay_alu instid0(VALU_DEP_3) | instskip(NEXT) | instid1(VALU_DEP_3)
	v_cndmask_b32_e32 v65, v65, v57, vcc_lo
	v_cndmask_b32_e32 v95, v95, v56, vcc_lo
	v_cmp_eq_u32_e32 vcc_lo, 0, v60
	s_delay_alu instid0(VALU_DEP_3) | instskip(NEXT) | instid1(VALU_DEP_3)
	v_cndmask_b32_e64 v96, v65, v59, s0
	v_cndmask_b32_e64 v95, v95, v58, s0
	v_add_co_u32 v97, s0, v97, 1
	s_delay_alu instid0(VALU_DEP_1) | instskip(SKIP_1) | instid1(VALU_DEP_3)
	v_add_co_ci_u32_e64 v62, s0, 0, v62, s0
	s_waitcnt lgkmcnt(0)
	v_fma_f64 v[92:93], v[95:96], v[63:64], v[92:93]
	s_or_b32 s3, vcc_lo, s3
	s_delay_alu instid0(SALU_CYCLE_1)
	s_and_not1_b32 exec_lo, exec_lo, s3
	s_cbranch_execnz .LBB12_111
; %bb.112:
	s_or_b32 exec_lo, exec_lo, s3
.LBB12_113:
	s_delay_alu instid0(SALU_CYCLE_1)
	s_or_b32 exec_lo, exec_lo, s2
.LBB12_114:
	s_delay_alu instid0(SALU_CYCLE_1)
	s_or_b32 exec_lo, exec_lo, s5
	v_mov_b32_e32 v42, 0
	ds_load_b64 v[42:43], v42 offset:32
	s_waitcnt lgkmcnt(0)
	v_mul_f64 v[42:43], v[92:93], v[42:43]
.LBB12_115:
	s_or_b32 exec_lo, exec_lo, s4
	v_cmp_lt_u32_e64 s0, 3, v0
	ds_store_b64 v94, v[40:41]
	s_waitcnt lgkmcnt(0)
	s_barrier
	buffer_gl0_inv
	s_and_saveexec_b32 s4, s0
	s_cbranch_execz .LBB12_131
; %bb.116:
	s_and_not1_b32 vcc_lo, exec_lo, s13
	s_cbranch_vccnz .LBB12_118
; %bb.117:
	v_cmp_eq_u32_e32 vcc_lo, 1, v0
	v_dual_cndmask_b32 v92, v35, v37 :: v_dual_cndmask_b32 v93, v34, v36
	v_cmp_eq_u32_e32 vcc_lo, 2, v0
	s_delay_alu instid0(VALU_DEP_2) | instskip(SKIP_1) | instid1(VALU_DEP_2)
	v_dual_cndmask_b32 v92, v92, v39 :: v_dual_cndmask_b32 v93, v93, v38
	v_cmp_eq_u32_e32 vcc_lo, 3, v0
	v_dual_cndmask_b32 v92, v92, v41 :: v_dual_cndmask_b32 v93, v93, v40
	v_cmp_eq_u32_e32 vcc_lo, 4, v0
	s_delay_alu instid0(VALU_DEP_2) | instskip(SKIP_1) | instid1(VALU_DEP_2)
	v_dual_cndmask_b32 v92, v92, v43 :: v_dual_cndmask_b32 v93, v93, v42
	;; [unrolled: 5-line block ×4, first 2 shown]
	v_cmp_eq_u32_e32 vcc_lo, 9, v0
	v_dual_cndmask_b32 v95, v92, v53 :: v_dual_cndmask_b32 v96, v93, v52
	v_cmp_eq_u32_e32 vcc_lo, 10, v0
	ds_load_b64 v[92:93], v94
	v_dual_cndmask_b32 v95, v95, v55 :: v_dual_cndmask_b32 v96, v96, v54
	v_cmp_eq_u32_e32 vcc_lo, 11, v0
	s_delay_alu instid0(VALU_DEP_2) | instskip(NEXT) | instid1(VALU_DEP_3)
	v_cndmask_b32_e32 v95, v95, v57, vcc_lo
	v_cndmask_b32_e32 v97, v96, v56, vcc_lo
	v_cmp_eq_u32_e32 vcc_lo, 12, v0
	s_delay_alu instid0(VALU_DEP_2) | instskip(SKIP_1) | instid1(VALU_DEP_1)
	v_dual_cndmask_b32 v96, v95, v59 :: v_dual_cndmask_b32 v95, v97, v58
	s_waitcnt lgkmcnt(0)
	v_mul_f64 v[92:93], v[95:96], v[92:93]
	s_cbranch_execz .LBB12_119
	s_branch .LBB12_120
.LBB12_118:
                                        ; implicit-def: $vgpr92_vgpr93
.LBB12_119:
	ds_load_b64 v[92:93], v94
.LBB12_120:
	s_and_saveexec_b32 s5, s1
	s_cbranch_execz .LBB12_130
; %bb.121:
	v_dual_mov_b32 v97, 4 :: v_dual_add_nc_u32 v96, -5, v0
	v_add_nc_u32_e32 v95, -4, v0
	s_mov_b32 s1, exec_lo
	s_delay_alu instid0(VALU_DEP_2)
	v_cmpx_lt_u32_e32 6, v96
	s_cbranch_execz .LBB12_125
; %bb.122:
	s_delay_alu instid0(VALU_DEP_2) | instskip(SKIP_3) | instid1(VALU_DEP_1)
	v_and_b32_e32 v96, -8, v95
	s_mov_b32 s6, 0
	s_mov_b64 s[2:3], 5
	s_movk_i32 s7, 0x90
	v_sub_nc_u32_e32 v96, 0, v96
.LBB12_123:                             ; =>This Inner Loop Header: Depth=1
	v_mov_b32_e32 v107, s7
	s_lshl_b32 s8, s2, 1
	s_delay_alu instid0(SALU_CYCLE_1)
	s_add_i32 m0, s8, -1
	s_add_i32 s9, s8, 3
	ds_load_b128 v[97:100], v107
	ds_load_b128 v[101:104], v107 offset:16
	v_movrels_b32_e32 v106, v34
	s_add_i32 m0, s8, -2
	s_add_i32 s10, s8, 2
	v_movrels_b32_e32 v105, v34
	s_mov_b32 m0, s8
	s_waitcnt lgkmcnt(1)
	s_delay_alu instid0(VALU_DEP_1) | instskip(SKIP_4) | instid1(VALU_DEP_1)
	v_fma_f64 v[92:93], v[105:106], v[97:98], v[92:93]
	v_movrels_b32_e32 v98, v35
	v_movrels_b32_e32 v97, v34
	s_mov_b32 m0, s9
	s_add_i32 s9, s8, 5
	v_fma_f64 v[92:93], v[97:98], v[99:100], v[92:93]
	v_movrels_b32_e32 v98, v34
	s_mov_b32 m0, s10
	s_add_i32 s10, s8, 4
	v_movrels_b32_e32 v97, v34
	s_mov_b32 m0, s9
	s_add_i32 s9, s8, 7
	s_waitcnt lgkmcnt(0)
	s_delay_alu instid0(VALU_DEP_1)
	v_fma_f64 v[92:93], v[97:98], v[101:102], v[92:93]
	v_movrels_b32_e32 v98, v34
	s_mov_b32 m0, s10
	s_add_i32 s10, s8, 6
	v_movrels_b32_e32 v97, v34
	s_mov_b32 m0, s9
	s_add_i32 s9, s8, 9
	;; [unrolled: 3-line block ×4, first 2 shown]
	v_fma_f64 v[92:93], v[97:98], v[103:104], v[92:93]
	ds_load_b128 v[97:100], v107 offset:32
	ds_load_b128 v[101:104], v107 offset:48
	s_waitcnt lgkmcnt(1)
	v_fma_f64 v[92:93], v[105:106], v[97:98], v[92:93]
	v_movrels_b32_e32 v98, v34
	s_mov_b32 m0, s10
	s_add_i32 s10, s8, 10
	v_movrels_b32_e32 v97, v34
	s_mov_b32 m0, s9
	s_add_i32 s9, s8, 13
	s_add_i32 s8, s8, 12
	s_add_u32 s2, s2, 8
	s_addc_u32 s3, s3, 0
	s_add_i32 s7, s7, 64
	s_delay_alu instid0(VALU_DEP_3)
	v_fma_f64 v[92:93], v[97:98], v[99:100], v[92:93]
	v_movrels_b32_e32 v98, v34
	s_mov_b32 m0, s10
	v_movrels_b32_e32 v97, v34
	s_mov_b32 m0, s9
	s_waitcnt lgkmcnt(0)
	s_delay_alu instid0(VALU_DEP_1) | instskip(SKIP_4) | instid1(VALU_DEP_1)
	v_fma_f64 v[92:93], v[97:98], v[101:102], v[92:93]
	v_movrels_b32_e32 v98, v34
	s_mov_b32 m0, s8
	s_add_i32 s8, s2, -1
	v_movrels_b32_e32 v97, v34
	v_fma_f64 v[92:93], v[97:98], v[103:104], v[92:93]
	v_add_nc_u32_e32 v97, s2, v96
	s_delay_alu instid0(VALU_DEP_1) | instskip(SKIP_2) | instid1(SALU_CYCLE_1)
	v_cmp_eq_u32_e32 vcc_lo, 5, v97
	v_mov_b32_e32 v97, s8
	s_or_b32 s6, vcc_lo, s6
	s_and_not1_b32 exec_lo, exec_lo, s6
	s_cbranch_execnz .LBB12_123
; %bb.124:
	s_or_b32 exec_lo, exec_lo, s6
.LBB12_125:
	s_delay_alu instid0(SALU_CYCLE_1) | instskip(SKIP_3) | instid1(VALU_DEP_1)
	s_or_b32 exec_lo, exec_lo, s1
	v_and_b32_e32 v60, 7, v95
	s_mov_b32 s3, 0
	s_mov_b32 s2, exec_lo
	v_cmpx_ne_u32_e32 0, v60
	s_cbranch_execz .LBB12_129
; %bb.126:
	v_lshl_add_u32 v61, v97, 3, 0x70
	v_mov_b32_e32 v62, 0
.LBB12_127:                             ; =>This Inner Loop Header: Depth=1
	v_cmp_eq_u32_e32 vcc_lo, 1, v97
	v_cmp_eq_u32_e64 s1, 2, v97
	v_dual_cndmask_b32 v63, v35, v37 :: v_dual_add_nc_u32 v60, -1, v60
	v_cndmask_b32_e32 v64, v34, v36, vcc_lo
	v_cmp_eq_u32_e32 vcc_lo, 3, v97
	s_delay_alu instid0(VALU_DEP_3) | instskip(NEXT) | instid1(VALU_DEP_3)
	v_cndmask_b32_e64 v63, v63, v39, s1
	v_cndmask_b32_e64 v64, v64, v38, s1
	v_cmp_eq_u32_e64 s1, 4, v97
	s_delay_alu instid0(VALU_DEP_2) | instskip(SKIP_1) | instid1(VALU_DEP_2)
	v_dual_cndmask_b32 v63, v63, v41 :: v_dual_cndmask_b32 v64, v64, v40
	v_cmp_eq_u32_e32 vcc_lo, 5, v97
	v_cndmask_b32_e64 v63, v63, v43, s1
	s_delay_alu instid0(VALU_DEP_3) | instskip(SKIP_1) | instid1(VALU_DEP_2)
	v_cndmask_b32_e64 v64, v64, v42, s1
	v_cmp_eq_u32_e64 s1, 6, v97
	v_dual_cndmask_b32 v63, v63, v45 :: v_dual_cndmask_b32 v64, v64, v44
	v_cmp_eq_u32_e32 vcc_lo, 7, v97
	s_delay_alu instid0(VALU_DEP_2) | instskip(NEXT) | instid1(VALU_DEP_3)
	v_cndmask_b32_e64 v63, v63, v47, s1
	v_cndmask_b32_e64 v64, v64, v46, s1
	v_cmp_eq_u32_e64 s1, 8, v97
	s_delay_alu instid0(VALU_DEP_2) | instskip(SKIP_1) | instid1(VALU_DEP_2)
	v_dual_cndmask_b32 v63, v63, v49 :: v_dual_cndmask_b32 v64, v64, v48
	v_cmp_eq_u32_e32 vcc_lo, 9, v97
	v_cndmask_b32_e64 v65, v63, v51, s1
	s_delay_alu instid0(VALU_DEP_3)
	v_cndmask_b32_e64 v95, v64, v50, s1
	ds_load_b64 v[63:64], v61
	v_cmp_eq_u32_e64 s1, 10, v97
	v_add_nc_u32_e32 v61, 8, v61
	v_cndmask_b32_e32 v65, v65, v53, vcc_lo
	v_cndmask_b32_e32 v95, v95, v52, vcc_lo
	v_cmp_eq_u32_e32 vcc_lo, 11, v97
	s_delay_alu instid0(VALU_DEP_3) | instskip(NEXT) | instid1(VALU_DEP_3)
	v_cndmask_b32_e64 v65, v65, v55, s1
	v_cndmask_b32_e64 v95, v95, v54, s1
	v_cmp_eq_u32_e64 s1, 12, v97
	s_delay_alu instid0(VALU_DEP_3) | instskip(NEXT) | instid1(VALU_DEP_3)
	v_cndmask_b32_e32 v65, v65, v57, vcc_lo
	v_cndmask_b32_e32 v95, v95, v56, vcc_lo
	v_cmp_eq_u32_e32 vcc_lo, 0, v60
	s_delay_alu instid0(VALU_DEP_3) | instskip(NEXT) | instid1(VALU_DEP_3)
	v_cndmask_b32_e64 v96, v65, v59, s1
	v_cndmask_b32_e64 v95, v95, v58, s1
	v_add_co_u32 v97, s1, v97, 1
	s_delay_alu instid0(VALU_DEP_1) | instskip(SKIP_1) | instid1(VALU_DEP_3)
	v_add_co_ci_u32_e64 v62, s1, 0, v62, s1
	s_waitcnt lgkmcnt(0)
	v_fma_f64 v[92:93], v[95:96], v[63:64], v[92:93]
	s_or_b32 s3, vcc_lo, s3
	s_delay_alu instid0(SALU_CYCLE_1)
	s_and_not1_b32 exec_lo, exec_lo, s3
	s_cbranch_execnz .LBB12_127
; %bb.128:
	s_or_b32 exec_lo, exec_lo, s3
.LBB12_129:
	s_delay_alu instid0(SALU_CYCLE_1)
	s_or_b32 exec_lo, exec_lo, s2
.LBB12_130:
	s_delay_alu instid0(SALU_CYCLE_1)
	s_or_b32 exec_lo, exec_lo, s5
	v_mov_b32_e32 v40, 0
	ds_load_b64 v[40:41], v40 offset:24
	s_waitcnt lgkmcnt(0)
	v_mul_f64 v[40:41], v[92:93], v[40:41]
.LBB12_131:
	s_or_b32 exec_lo, exec_lo, s4
	v_cmp_lt_u32_e64 s1, 2, v0
	ds_store_b64 v94, v[38:39]
	s_waitcnt lgkmcnt(0)
	s_barrier
	buffer_gl0_inv
	s_and_saveexec_b32 s4, s1
	s_cbranch_execz .LBB12_147
; %bb.132:
	s_and_not1_b32 vcc_lo, exec_lo, s13
	s_cbranch_vccnz .LBB12_134
; %bb.133:
	v_cmp_eq_u32_e32 vcc_lo, 1, v0
	v_dual_cndmask_b32 v92, v35, v37 :: v_dual_cndmask_b32 v93, v34, v36
	v_cmp_eq_u32_e32 vcc_lo, 2, v0
	s_delay_alu instid0(VALU_DEP_2) | instskip(SKIP_1) | instid1(VALU_DEP_2)
	v_dual_cndmask_b32 v92, v92, v39 :: v_dual_cndmask_b32 v93, v93, v38
	v_cmp_eq_u32_e32 vcc_lo, 3, v0
	v_dual_cndmask_b32 v92, v92, v41 :: v_dual_cndmask_b32 v93, v93, v40
	v_cmp_eq_u32_e32 vcc_lo, 4, v0
	s_delay_alu instid0(VALU_DEP_2) | instskip(SKIP_1) | instid1(VALU_DEP_2)
	v_dual_cndmask_b32 v92, v92, v43 :: v_dual_cndmask_b32 v93, v93, v42
	;; [unrolled: 5-line block ×4, first 2 shown]
	v_cmp_eq_u32_e32 vcc_lo, 9, v0
	v_dual_cndmask_b32 v95, v92, v53 :: v_dual_cndmask_b32 v96, v93, v52
	v_cmp_eq_u32_e32 vcc_lo, 10, v0
	ds_load_b64 v[92:93], v94
	v_dual_cndmask_b32 v95, v95, v55 :: v_dual_cndmask_b32 v96, v96, v54
	v_cmp_eq_u32_e32 vcc_lo, 11, v0
	s_delay_alu instid0(VALU_DEP_2) | instskip(NEXT) | instid1(VALU_DEP_3)
	v_cndmask_b32_e32 v95, v95, v57, vcc_lo
	v_cndmask_b32_e32 v97, v96, v56, vcc_lo
	v_cmp_eq_u32_e32 vcc_lo, 12, v0
	s_delay_alu instid0(VALU_DEP_2) | instskip(SKIP_1) | instid1(VALU_DEP_1)
	v_dual_cndmask_b32 v96, v95, v59 :: v_dual_cndmask_b32 v95, v97, v58
	s_waitcnt lgkmcnt(0)
	v_mul_f64 v[92:93], v[95:96], v[92:93]
	s_cbranch_execz .LBB12_135
	s_branch .LBB12_136
.LBB12_134:
                                        ; implicit-def: $vgpr92_vgpr93
.LBB12_135:
	ds_load_b64 v[92:93], v94
.LBB12_136:
	s_and_saveexec_b32 s5, s0
	s_cbranch_execz .LBB12_146
; %bb.137:
	v_dual_mov_b32 v97, 3 :: v_dual_add_nc_u32 v96, -4, v0
	v_add_nc_u32_e32 v95, -3, v0
	s_mov_b32 s0, exec_lo
	s_delay_alu instid0(VALU_DEP_2)
	v_cmpx_lt_u32_e32 6, v96
	s_cbranch_execz .LBB12_141
; %bb.138:
	s_delay_alu instid0(VALU_DEP_2) | instskip(SKIP_3) | instid1(VALU_DEP_1)
	v_and_b32_e32 v96, -8, v95
	s_mov_b32 s6, 0
	s_mov_b64 s[2:3], 10
	s_movk_i32 s7, 0x88
	v_sub_nc_u32_e32 v96, 0, v96
.LBB12_139:                             ; =>This Inner Loop Header: Depth=1
	v_mov_b32_e32 v107, s7
	s_lshl_b32 s8, s2, 1
	s_delay_alu instid0(SALU_CYCLE_1)
	s_add_i32 m0, s8, -13
	v_movrels_b32_e32 v106, v34
	ds_load_2addr_b64 v[97:100], v107 offset1:1
	ds_load_2addr_b64 v[101:104], v107 offset0:2 offset1:3
	s_add_i32 m0, s8, -14
	v_movrels_b32_e32 v105, v34
	s_add_i32 m0, s8, -11
	s_waitcnt lgkmcnt(1)
	s_delay_alu instid0(VALU_DEP_1) | instskip(SKIP_4) | instid1(VALU_DEP_1)
	v_fma_f64 v[92:93], v[105:106], v[97:98], v[92:93]
	v_movrels_b32_e32 v98, v34
	s_add_i32 m0, s8, -12
	v_movrels_b32_e32 v97, v34
	s_add_i32 m0, s8, -9
	v_fma_f64 v[92:93], v[97:98], v[99:100], v[92:93]
	v_movrels_b32_e32 v98, v34
	s_add_i32 m0, s8, -10
	v_movrels_b32_e32 v97, v34
	s_add_i32 m0, s8, -7
	s_waitcnt lgkmcnt(0)
	s_delay_alu instid0(VALU_DEP_1)
	v_fma_f64 v[92:93], v[97:98], v[101:102], v[92:93]
	v_movrels_b32_e32 v98, v34
	s_add_i32 m0, s8, -8
	v_movrels_b32_e32 v97, v34
	s_add_i32 m0, s8, -5
	;; [unrolled: 2-line block ×4, first 2 shown]
	v_fma_f64 v[92:93], v[97:98], v[103:104], v[92:93]
	ds_load_2addr_b64 v[97:100], v107 offset0:4 offset1:5
	ds_load_2addr_b64 v[101:104], v107 offset0:6 offset1:7
	s_waitcnt lgkmcnt(1)
	v_fma_f64 v[92:93], v[105:106], v[97:98], v[92:93]
	v_movrels_b32_e32 v98, v34
	s_add_i32 m0, s8, -4
	v_movrels_b32_e32 v97, v34
	s_add_i32 m0, s8, -1
	s_delay_alu instid0(VALU_DEP_1)
	v_fma_f64 v[92:93], v[97:98], v[99:100], v[92:93]
	v_movrels_b32_e32 v98, v34
	s_add_i32 m0, s8, -2
	s_add_u32 s2, s2, 8
	v_movrels_b32_e32 v97, v34
	s_mov_b32 m0, s8
	s_addc_u32 s3, s3, 0
	s_add_i32 s8, s2, -7
	s_add_i32 s7, s7, 64
	s_waitcnt lgkmcnt(0)
	s_delay_alu instid0(VALU_DEP_3) | instskip(SKIP_2) | instid1(VALU_DEP_1)
	v_fma_f64 v[92:93], v[97:98], v[101:102], v[92:93]
	v_movrels_b32_e32 v98, v35
	v_movrels_b32_e32 v97, v34
	v_fma_f64 v[92:93], v[97:98], v[103:104], v[92:93]
	v_add_nc_u32_e32 v97, s2, v96
	s_delay_alu instid0(VALU_DEP_1) | instskip(SKIP_2) | instid1(SALU_CYCLE_1)
	v_cmp_eq_u32_e32 vcc_lo, 10, v97
	v_mov_b32_e32 v97, s8
	s_or_b32 s6, vcc_lo, s6
	s_and_not1_b32 exec_lo, exec_lo, s6
	s_cbranch_execnz .LBB12_139
; %bb.140:
	s_or_b32 exec_lo, exec_lo, s6
.LBB12_141:
	s_delay_alu instid0(SALU_CYCLE_1) | instskip(SKIP_3) | instid1(VALU_DEP_1)
	s_or_b32 exec_lo, exec_lo, s0
	v_and_b32_e32 v60, 7, v95
	s_mov_b32 s3, 0
	s_mov_b32 s2, exec_lo
	v_cmpx_ne_u32_e32 0, v60
	s_cbranch_execz .LBB12_145
; %bb.142:
	v_lshl_add_u32 v61, v97, 3, 0x70
	v_mov_b32_e32 v62, 0
.LBB12_143:                             ; =>This Inner Loop Header: Depth=1
	v_cmp_eq_u32_e32 vcc_lo, 1, v97
	v_cmp_eq_u32_e64 s0, 2, v97
	v_dual_cndmask_b32 v63, v35, v37 :: v_dual_add_nc_u32 v60, -1, v60
	v_cndmask_b32_e32 v64, v34, v36, vcc_lo
	v_cmp_eq_u32_e32 vcc_lo, 3, v97
	s_delay_alu instid0(VALU_DEP_3) | instskip(NEXT) | instid1(VALU_DEP_3)
	v_cndmask_b32_e64 v63, v63, v39, s0
	v_cndmask_b32_e64 v64, v64, v38, s0
	v_cmp_eq_u32_e64 s0, 4, v97
	s_delay_alu instid0(VALU_DEP_2) | instskip(SKIP_1) | instid1(VALU_DEP_2)
	v_dual_cndmask_b32 v63, v63, v41 :: v_dual_cndmask_b32 v64, v64, v40
	v_cmp_eq_u32_e32 vcc_lo, 5, v97
	v_cndmask_b32_e64 v63, v63, v43, s0
	s_delay_alu instid0(VALU_DEP_3) | instskip(SKIP_1) | instid1(VALU_DEP_2)
	v_cndmask_b32_e64 v64, v64, v42, s0
	v_cmp_eq_u32_e64 s0, 6, v97
	v_dual_cndmask_b32 v63, v63, v45 :: v_dual_cndmask_b32 v64, v64, v44
	v_cmp_eq_u32_e32 vcc_lo, 7, v97
	s_delay_alu instid0(VALU_DEP_2) | instskip(NEXT) | instid1(VALU_DEP_3)
	v_cndmask_b32_e64 v63, v63, v47, s0
	v_cndmask_b32_e64 v64, v64, v46, s0
	v_cmp_eq_u32_e64 s0, 8, v97
	s_delay_alu instid0(VALU_DEP_2) | instskip(SKIP_1) | instid1(VALU_DEP_2)
	v_dual_cndmask_b32 v63, v63, v49 :: v_dual_cndmask_b32 v64, v64, v48
	v_cmp_eq_u32_e32 vcc_lo, 9, v97
	v_cndmask_b32_e64 v65, v63, v51, s0
	s_delay_alu instid0(VALU_DEP_3)
	v_cndmask_b32_e64 v95, v64, v50, s0
	ds_load_b64 v[63:64], v61
	v_cmp_eq_u32_e64 s0, 10, v97
	v_add_nc_u32_e32 v61, 8, v61
	v_cndmask_b32_e32 v65, v65, v53, vcc_lo
	v_cndmask_b32_e32 v95, v95, v52, vcc_lo
	v_cmp_eq_u32_e32 vcc_lo, 11, v97
	s_delay_alu instid0(VALU_DEP_3) | instskip(NEXT) | instid1(VALU_DEP_3)
	v_cndmask_b32_e64 v65, v65, v55, s0
	v_cndmask_b32_e64 v95, v95, v54, s0
	v_cmp_eq_u32_e64 s0, 12, v97
	s_delay_alu instid0(VALU_DEP_3) | instskip(NEXT) | instid1(VALU_DEP_3)
	v_cndmask_b32_e32 v65, v65, v57, vcc_lo
	v_cndmask_b32_e32 v95, v95, v56, vcc_lo
	v_cmp_eq_u32_e32 vcc_lo, 0, v60
	s_delay_alu instid0(VALU_DEP_3) | instskip(NEXT) | instid1(VALU_DEP_3)
	v_cndmask_b32_e64 v96, v65, v59, s0
	v_cndmask_b32_e64 v95, v95, v58, s0
	v_add_co_u32 v97, s0, v97, 1
	s_delay_alu instid0(VALU_DEP_1) | instskip(SKIP_1) | instid1(VALU_DEP_3)
	v_add_co_ci_u32_e64 v62, s0, 0, v62, s0
	s_waitcnt lgkmcnt(0)
	v_fma_f64 v[92:93], v[95:96], v[63:64], v[92:93]
	s_or_b32 s3, vcc_lo, s3
	s_delay_alu instid0(SALU_CYCLE_1)
	s_and_not1_b32 exec_lo, exec_lo, s3
	s_cbranch_execnz .LBB12_143
; %bb.144:
	s_or_b32 exec_lo, exec_lo, s3
.LBB12_145:
	s_delay_alu instid0(SALU_CYCLE_1)
	s_or_b32 exec_lo, exec_lo, s2
.LBB12_146:
	s_delay_alu instid0(SALU_CYCLE_1)
	s_or_b32 exec_lo, exec_lo, s5
	v_mov_b32_e32 v38, 0
	ds_load_b64 v[38:39], v38 offset:16
	s_waitcnt lgkmcnt(0)
	v_mul_f64 v[38:39], v[92:93], v[38:39]
.LBB12_147:
	s_or_b32 exec_lo, exec_lo, s4
	v_cmp_lt_u32_e64 s0, 1, v0
	ds_store_b64 v94, v[36:37]
	s_waitcnt lgkmcnt(0)
	s_barrier
	buffer_gl0_inv
	s_and_saveexec_b32 s4, s0
	s_cbranch_execz .LBB12_163
; %bb.148:
	s_and_not1_b32 vcc_lo, exec_lo, s13
	s_cbranch_vccnz .LBB12_150
; %bb.149:
	v_cmp_eq_u32_e32 vcc_lo, 1, v0
	v_dual_cndmask_b32 v92, v35, v37 :: v_dual_cndmask_b32 v93, v34, v36
	v_cmp_eq_u32_e32 vcc_lo, 2, v0
	s_delay_alu instid0(VALU_DEP_2) | instskip(SKIP_1) | instid1(VALU_DEP_2)
	v_dual_cndmask_b32 v92, v92, v39 :: v_dual_cndmask_b32 v93, v93, v38
	v_cmp_eq_u32_e32 vcc_lo, 3, v0
	v_dual_cndmask_b32 v92, v92, v41 :: v_dual_cndmask_b32 v93, v93, v40
	v_cmp_eq_u32_e32 vcc_lo, 4, v0
	s_delay_alu instid0(VALU_DEP_2) | instskip(SKIP_1) | instid1(VALU_DEP_2)
	v_dual_cndmask_b32 v92, v92, v43 :: v_dual_cndmask_b32 v93, v93, v42
	;; [unrolled: 5-line block ×4, first 2 shown]
	v_cmp_eq_u32_e32 vcc_lo, 9, v0
	v_dual_cndmask_b32 v95, v92, v53 :: v_dual_cndmask_b32 v96, v93, v52
	v_cmp_eq_u32_e32 vcc_lo, 10, v0
	ds_load_b64 v[92:93], v94
	v_dual_cndmask_b32 v95, v95, v55 :: v_dual_cndmask_b32 v96, v96, v54
	v_cmp_eq_u32_e32 vcc_lo, 11, v0
	s_delay_alu instid0(VALU_DEP_2) | instskip(NEXT) | instid1(VALU_DEP_3)
	v_cndmask_b32_e32 v95, v95, v57, vcc_lo
	v_cndmask_b32_e32 v97, v96, v56, vcc_lo
	v_cmp_eq_u32_e32 vcc_lo, 12, v0
	s_delay_alu instid0(VALU_DEP_2) | instskip(SKIP_1) | instid1(VALU_DEP_1)
	v_dual_cndmask_b32 v96, v95, v59 :: v_dual_cndmask_b32 v95, v97, v58
	s_waitcnt lgkmcnt(0)
	v_mul_f64 v[92:93], v[95:96], v[92:93]
	s_cbranch_execz .LBB12_151
	s_branch .LBB12_152
.LBB12_150:
                                        ; implicit-def: $vgpr92_vgpr93
.LBB12_151:
	ds_load_b64 v[92:93], v94
.LBB12_152:
	s_and_saveexec_b32 s5, s1
	s_cbranch_execz .LBB12_162
; %bb.153:
	v_add_nc_u32_e32 v96, -3, v0
	v_add_nc_u32_e32 v95, -2, v0
	s_delay_alu instid0(VALU_DEP_2)
	v_cmp_lt_u32_e32 vcc_lo, 6, v96
	v_mov_b32_e32 v96, 2
	s_and_saveexec_b32 s1, vcc_lo
	s_cbranch_execz .LBB12_157
; %bb.154:
	v_and_b32_e32 v96, -8, v95
	s_mov_b32 s6, 0
	s_mov_b64 s[2:3], 9
	s_movk_i32 s7, 0x80
	s_delay_alu instid0(VALU_DEP_1)
	v_sub_nc_u32_e32 v97, 0, v96
.LBB12_155:                             ; =>This Inner Loop Header: Depth=1
	v_mov_b32_e32 v96, s7
	s_lshl_b32 s8, s2, 1
	s_delay_alu instid0(SALU_CYCLE_1)
	s_add_i32 m0, s8, -13
	v_movrels_b32_e32 v107, v34
	ds_load_b128 v[98:101], v96
	ds_load_b128 v[102:105], v96 offset:16
	s_add_i32 m0, s8, -14
	v_movrels_b32_e32 v106, v34
	s_add_i32 m0, s8, -11
	s_waitcnt lgkmcnt(1)
	s_delay_alu instid0(VALU_DEP_1) | instskip(SKIP_4) | instid1(VALU_DEP_1)
	v_fma_f64 v[92:93], v[106:107], v[98:99], v[92:93]
	v_movrels_b32_e32 v99, v34
	s_add_i32 m0, s8, -12
	v_movrels_b32_e32 v98, v34
	s_add_i32 m0, s8, -9
	v_fma_f64 v[92:93], v[98:99], v[100:101], v[92:93]
	v_movrels_b32_e32 v99, v34
	s_add_i32 m0, s8, -10
	v_movrels_b32_e32 v98, v34
	s_add_i32 m0, s8, -7
	s_waitcnt lgkmcnt(0)
	s_delay_alu instid0(VALU_DEP_1)
	v_fma_f64 v[92:93], v[98:99], v[102:103], v[92:93]
	v_movrels_b32_e32 v99, v34
	s_add_i32 m0, s8, -8
	v_movrels_b32_e32 v98, v34
	s_add_i32 m0, s8, -5
	;; [unrolled: 2-line block ×4, first 2 shown]
	v_fma_f64 v[92:93], v[98:99], v[104:105], v[92:93]
	ds_load_b128 v[98:101], v96 offset:32
	ds_load_b128 v[102:105], v96 offset:48
	s_waitcnt lgkmcnt(1)
	v_fma_f64 v[92:93], v[106:107], v[98:99], v[92:93]
	v_movrels_b32_e32 v99, v34
	s_add_i32 m0, s8, -4
	v_movrels_b32_e32 v98, v34
	s_add_i32 m0, s8, -1
	s_delay_alu instid0(VALU_DEP_1)
	v_fma_f64 v[92:93], v[98:99], v[100:101], v[92:93]
	v_movrels_b32_e32 v99, v34
	s_add_i32 m0, s8, -2
	s_add_u32 s2, s2, 8
	v_movrels_b32_e32 v98, v34
	s_mov_b32 m0, s8
	v_add_nc_u32_e32 v96, s2, v97
	s_addc_u32 s3, s3, 0
	s_add_i32 s8, s2, -7
	s_add_i32 s7, s7, 64
	s_delay_alu instid0(VALU_DEP_1)
	v_cmp_eq_u32_e32 vcc_lo, 9, v96
	v_mov_b32_e32 v96, s8
	s_or_b32 s6, vcc_lo, s6
	s_waitcnt lgkmcnt(0)
	v_fma_f64 v[92:93], v[98:99], v[102:103], v[92:93]
	v_movrels_b32_e32 v99, v35
	v_movrels_b32_e32 v98, v34
	s_delay_alu instid0(VALU_DEP_1)
	v_fma_f64 v[92:93], v[98:99], v[104:105], v[92:93]
	s_and_not1_b32 exec_lo, exec_lo, s6
	s_cbranch_execnz .LBB12_155
; %bb.156:
	s_or_b32 exec_lo, exec_lo, s6
.LBB12_157:
	s_delay_alu instid0(SALU_CYCLE_1) | instskip(SKIP_3) | instid1(VALU_DEP_1)
	s_or_b32 exec_lo, exec_lo, s1
	v_and_b32_e32 v60, 7, v95
	s_mov_b32 s3, 0
	s_mov_b32 s2, exec_lo
	v_cmpx_ne_u32_e32 0, v60
	s_cbranch_execz .LBB12_161
; %bb.158:
	v_lshl_add_u32 v61, v96, 3, 0x70
	v_mov_b32_e32 v62, 0
.LBB12_159:                             ; =>This Inner Loop Header: Depth=1
	v_cmp_eq_u32_e32 vcc_lo, 1, v96
	v_cmp_eq_u32_e64 s1, 2, v96
	v_dual_cndmask_b32 v63, v35, v37 :: v_dual_add_nc_u32 v60, -1, v60
	v_cndmask_b32_e32 v64, v34, v36, vcc_lo
	v_cmp_eq_u32_e32 vcc_lo, 3, v96
	s_delay_alu instid0(VALU_DEP_3) | instskip(NEXT) | instid1(VALU_DEP_3)
	v_cndmask_b32_e64 v63, v63, v39, s1
	v_cndmask_b32_e64 v64, v64, v38, s1
	v_cmp_eq_u32_e64 s1, 4, v96
	s_delay_alu instid0(VALU_DEP_2) | instskip(SKIP_1) | instid1(VALU_DEP_2)
	v_dual_cndmask_b32 v63, v63, v41 :: v_dual_cndmask_b32 v64, v64, v40
	v_cmp_eq_u32_e32 vcc_lo, 5, v96
	v_cndmask_b32_e64 v63, v63, v43, s1
	s_delay_alu instid0(VALU_DEP_3) | instskip(SKIP_1) | instid1(VALU_DEP_2)
	v_cndmask_b32_e64 v64, v64, v42, s1
	v_cmp_eq_u32_e64 s1, 6, v96
	v_dual_cndmask_b32 v63, v63, v45 :: v_dual_cndmask_b32 v64, v64, v44
	v_cmp_eq_u32_e32 vcc_lo, 7, v96
	s_delay_alu instid0(VALU_DEP_2) | instskip(NEXT) | instid1(VALU_DEP_3)
	v_cndmask_b32_e64 v63, v63, v47, s1
	v_cndmask_b32_e64 v64, v64, v46, s1
	v_cmp_eq_u32_e64 s1, 8, v96
	s_delay_alu instid0(VALU_DEP_2) | instskip(SKIP_1) | instid1(VALU_DEP_2)
	v_dual_cndmask_b32 v63, v63, v49 :: v_dual_cndmask_b32 v64, v64, v48
	v_cmp_eq_u32_e32 vcc_lo, 9, v96
	v_cndmask_b32_e64 v65, v63, v51, s1
	s_delay_alu instid0(VALU_DEP_3)
	v_cndmask_b32_e64 v95, v64, v50, s1
	ds_load_b64 v[63:64], v61
	v_cmp_eq_u32_e64 s1, 10, v96
	v_add_nc_u32_e32 v61, 8, v61
	v_cndmask_b32_e32 v65, v65, v53, vcc_lo
	v_cndmask_b32_e32 v95, v95, v52, vcc_lo
	v_cmp_eq_u32_e32 vcc_lo, 11, v96
	s_delay_alu instid0(VALU_DEP_3) | instskip(NEXT) | instid1(VALU_DEP_3)
	v_cndmask_b32_e64 v65, v65, v55, s1
	v_cndmask_b32_e64 v95, v95, v54, s1
	v_cmp_eq_u32_e64 s1, 12, v96
	s_delay_alu instid0(VALU_DEP_3) | instskip(NEXT) | instid1(VALU_DEP_3)
	v_cndmask_b32_e32 v65, v65, v57, vcc_lo
	v_cndmask_b32_e32 v95, v95, v56, vcc_lo
	v_cmp_eq_u32_e32 vcc_lo, 0, v60
	s_delay_alu instid0(VALU_DEP_3) | instskip(NEXT) | instid1(VALU_DEP_3)
	v_cndmask_b32_e64 v98, v65, v59, s1
	v_cndmask_b32_e64 v97, v95, v58, s1
	v_add_co_u32 v96, s1, v96, 1
	s_delay_alu instid0(VALU_DEP_1) | instskip(SKIP_1) | instid1(VALU_DEP_3)
	v_add_co_ci_u32_e64 v62, s1, 0, v62, s1
	s_waitcnt lgkmcnt(0)
	v_fma_f64 v[92:93], v[97:98], v[63:64], v[92:93]
	s_or_b32 s3, vcc_lo, s3
	s_delay_alu instid0(SALU_CYCLE_1)
	s_and_not1_b32 exec_lo, exec_lo, s3
	s_cbranch_execnz .LBB12_159
; %bb.160:
	s_or_b32 exec_lo, exec_lo, s3
.LBB12_161:
	s_delay_alu instid0(SALU_CYCLE_1)
	s_or_b32 exec_lo, exec_lo, s2
.LBB12_162:
	s_delay_alu instid0(SALU_CYCLE_1)
	s_or_b32 exec_lo, exec_lo, s5
	v_mov_b32_e32 v36, 0
	ds_load_b64 v[36:37], v36 offset:8
	s_waitcnt lgkmcnt(0)
	v_mul_f64 v[36:37], v[92:93], v[36:37]
.LBB12_163:
	s_or_b32 exec_lo, exec_lo, s4
	s_mov_b32 s2, 0
	s_mov_b32 s3, exec_lo
	ds_store_b64 v94, v[34:35]
	s_waitcnt lgkmcnt(0)
	s_barrier
	buffer_gl0_inv
	v_cmpx_ne_u32_e32 0, v0
	s_cbranch_execz .LBB12_179
; %bb.164:
	s_and_not1_b32 vcc_lo, exec_lo, s13
	s_cbranch_vccnz .LBB12_166
; %bb.165:
	v_cmp_eq_u32_e32 vcc_lo, 1, v0
	v_dual_cndmask_b32 v92, v35, v37 :: v_dual_cndmask_b32 v93, v34, v36
	v_cmp_eq_u32_e32 vcc_lo, 2, v0
	s_delay_alu instid0(VALU_DEP_2) | instskip(SKIP_1) | instid1(VALU_DEP_2)
	v_dual_cndmask_b32 v92, v92, v39 :: v_dual_cndmask_b32 v93, v93, v38
	v_cmp_eq_u32_e32 vcc_lo, 3, v0
	v_dual_cndmask_b32 v92, v92, v41 :: v_dual_cndmask_b32 v93, v93, v40
	v_cmp_eq_u32_e32 vcc_lo, 4, v0
	s_delay_alu instid0(VALU_DEP_2) | instskip(SKIP_1) | instid1(VALU_DEP_2)
	v_dual_cndmask_b32 v92, v92, v43 :: v_dual_cndmask_b32 v93, v93, v42
	v_cmp_eq_u32_e32 vcc_lo, 5, v0
	v_dual_cndmask_b32 v92, v92, v45 :: v_dual_cndmask_b32 v93, v93, v44
	v_cmp_eq_u32_e32 vcc_lo, 6, v0
	s_delay_alu instid0(VALU_DEP_2) | instskip(SKIP_1) | instid1(VALU_DEP_2)
	v_dual_cndmask_b32 v92, v92, v47 :: v_dual_cndmask_b32 v93, v93, v46
	v_cmp_eq_u32_e32 vcc_lo, 7, v0
	v_dual_cndmask_b32 v92, v92, v49 :: v_dual_cndmask_b32 v93, v93, v48
	v_cmp_eq_u32_e32 vcc_lo, 8, v0
	s_delay_alu instid0(VALU_DEP_2) | instskip(SKIP_1) | instid1(VALU_DEP_2)
	v_dual_cndmask_b32 v92, v92, v51 :: v_dual_cndmask_b32 v93, v93, v50
	v_cmp_eq_u32_e32 vcc_lo, 9, v0
	v_dual_cndmask_b32 v95, v92, v53 :: v_dual_cndmask_b32 v96, v93, v52
	v_cmp_eq_u32_e32 vcc_lo, 10, v0
	ds_load_b64 v[92:93], v94
	v_dual_cndmask_b32 v95, v95, v55 :: v_dual_cndmask_b32 v96, v96, v54
	v_cmp_eq_u32_e32 vcc_lo, 11, v0
	s_delay_alu instid0(VALU_DEP_2) | instskip(NEXT) | instid1(VALU_DEP_3)
	v_cndmask_b32_e32 v95, v95, v57, vcc_lo
	v_cndmask_b32_e32 v97, v96, v56, vcc_lo
	v_cmp_eq_u32_e32 vcc_lo, 12, v0
	s_delay_alu instid0(VALU_DEP_2) | instskip(SKIP_1) | instid1(VALU_DEP_1)
	v_dual_cndmask_b32 v96, v95, v59 :: v_dual_cndmask_b32 v95, v97, v58
	s_waitcnt lgkmcnt(0)
	v_mul_f64 v[92:93], v[95:96], v[92:93]
	s_cbranch_execz .LBB12_167
	s_branch .LBB12_168
.LBB12_166:
                                        ; implicit-def: $vgpr92_vgpr93
.LBB12_167:
	ds_load_b64 v[92:93], v94
.LBB12_168:
	s_and_saveexec_b32 s4, s0
	s_cbranch_execz .LBB12_178
; %bb.169:
	v_dual_mov_b32 v97, 1 :: v_dual_add_nc_u32 v96, -2, v0
	v_add_nc_u32_e32 v95, -1, v0
	s_mov_b32 s5, exec_lo
	s_delay_alu instid0(VALU_DEP_2)
	v_cmpx_lt_u32_e32 6, v96
	s_cbranch_execz .LBB12_173
; %bb.170:
	s_delay_alu instid0(VALU_DEP_2) | instskip(SKIP_3) | instid1(VALU_DEP_1)
	v_and_b32_e32 v96, -8, v95
	s_mov_b32 s6, 0
	s_mov_b64 s[0:1], 8
	s_movk_i32 s7, 0x78
	v_sub_nc_u32_e32 v96, 0, v96
.LBB12_171:                             ; =>This Inner Loop Header: Depth=1
	v_mov_b32_e32 v107, s7
	s_lshl_b32 s8, s0, 1
	s_delay_alu instid0(SALU_CYCLE_1)
	s_add_i32 m0, s8, -13
	v_movrels_b32_e32 v106, v34
	ds_load_2addr_b64 v[97:100], v107 offset1:1
	ds_load_2addr_b64 v[101:104], v107 offset0:2 offset1:3
	s_add_i32 m0, s8, -14
	v_movrels_b32_e32 v105, v34
	s_add_i32 m0, s8, -11
	s_waitcnt lgkmcnt(1)
	s_delay_alu instid0(VALU_DEP_1) | instskip(SKIP_4) | instid1(VALU_DEP_1)
	v_fma_f64 v[92:93], v[105:106], v[97:98], v[92:93]
	v_movrels_b32_e32 v98, v34
	s_add_i32 m0, s8, -12
	v_movrels_b32_e32 v97, v34
	s_add_i32 m0, s8, -9
	v_fma_f64 v[92:93], v[97:98], v[99:100], v[92:93]
	v_movrels_b32_e32 v98, v34
	s_add_i32 m0, s8, -10
	v_movrels_b32_e32 v97, v34
	s_add_i32 m0, s8, -7
	s_waitcnt lgkmcnt(0)
	s_delay_alu instid0(VALU_DEP_1)
	v_fma_f64 v[92:93], v[97:98], v[101:102], v[92:93]
	v_movrels_b32_e32 v98, v34
	s_add_i32 m0, s8, -8
	v_movrels_b32_e32 v97, v34
	s_add_i32 m0, s8, -5
	;; [unrolled: 2-line block ×4, first 2 shown]
	v_fma_f64 v[92:93], v[97:98], v[103:104], v[92:93]
	ds_load_2addr_b64 v[97:100], v107 offset0:4 offset1:5
	ds_load_2addr_b64 v[101:104], v107 offset0:6 offset1:7
	s_waitcnt lgkmcnt(1)
	v_fma_f64 v[92:93], v[105:106], v[97:98], v[92:93]
	v_movrels_b32_e32 v98, v34
	s_add_i32 m0, s8, -4
	v_movrels_b32_e32 v97, v34
	s_add_i32 m0, s8, -1
	s_delay_alu instid0(VALU_DEP_1)
	v_fma_f64 v[92:93], v[97:98], v[99:100], v[92:93]
	v_movrels_b32_e32 v98, v34
	s_add_i32 m0, s8, -2
	s_add_u32 s0, s0, 8
	v_movrels_b32_e32 v97, v34
	s_mov_b32 m0, s8
	s_addc_u32 s1, s1, 0
	s_add_i32 s8, s0, -7
	s_add_i32 s7, s7, 64
	s_waitcnt lgkmcnt(0)
	s_delay_alu instid0(VALU_DEP_3) | instskip(SKIP_2) | instid1(VALU_DEP_1)
	v_fma_f64 v[92:93], v[97:98], v[101:102], v[92:93]
	v_movrels_b32_e32 v98, v35
	v_movrels_b32_e32 v97, v34
	v_fma_f64 v[92:93], v[97:98], v[103:104], v[92:93]
	v_add_nc_u32_e32 v97, s0, v96
	s_delay_alu instid0(VALU_DEP_1) | instskip(SKIP_2) | instid1(SALU_CYCLE_1)
	v_cmp_eq_u32_e32 vcc_lo, 8, v97
	v_mov_b32_e32 v97, s8
	s_or_b32 s6, vcc_lo, s6
	s_and_not1_b32 exec_lo, exec_lo, s6
	s_cbranch_execnz .LBB12_171
; %bb.172:
	s_or_b32 exec_lo, exec_lo, s6
.LBB12_173:
	s_delay_alu instid0(SALU_CYCLE_1) | instskip(SKIP_3) | instid1(VALU_DEP_1)
	s_or_b32 exec_lo, exec_lo, s5
	v_and_b32_e32 v60, 7, v95
	s_mov_b32 s5, 0
	s_mov_b32 s1, exec_lo
	v_cmpx_ne_u32_e32 0, v60
	s_cbranch_execz .LBB12_177
; %bb.174:
	v_lshl_add_u32 v61, v97, 3, 0x70
	v_mov_b32_e32 v62, 0
.LBB12_175:                             ; =>This Inner Loop Header: Depth=1
	v_cmp_eq_u32_e32 vcc_lo, 1, v97
	v_cmp_eq_u32_e64 s0, 2, v97
	v_dual_cndmask_b32 v63, v35, v37 :: v_dual_add_nc_u32 v60, -1, v60
	v_cndmask_b32_e32 v64, v34, v36, vcc_lo
	v_cmp_eq_u32_e32 vcc_lo, 3, v97
	s_delay_alu instid0(VALU_DEP_3) | instskip(NEXT) | instid1(VALU_DEP_3)
	v_cndmask_b32_e64 v63, v63, v39, s0
	v_cndmask_b32_e64 v64, v64, v38, s0
	v_cmp_eq_u32_e64 s0, 4, v97
	s_delay_alu instid0(VALU_DEP_2) | instskip(SKIP_1) | instid1(VALU_DEP_2)
	v_dual_cndmask_b32 v63, v63, v41 :: v_dual_cndmask_b32 v64, v64, v40
	v_cmp_eq_u32_e32 vcc_lo, 5, v97
	v_cndmask_b32_e64 v63, v63, v43, s0
	s_delay_alu instid0(VALU_DEP_3) | instskip(SKIP_1) | instid1(VALU_DEP_2)
	v_cndmask_b32_e64 v64, v64, v42, s0
	v_cmp_eq_u32_e64 s0, 6, v97
	v_dual_cndmask_b32 v63, v63, v45 :: v_dual_cndmask_b32 v64, v64, v44
	v_cmp_eq_u32_e32 vcc_lo, 7, v97
	s_delay_alu instid0(VALU_DEP_2) | instskip(NEXT) | instid1(VALU_DEP_3)
	v_cndmask_b32_e64 v63, v63, v47, s0
	v_cndmask_b32_e64 v64, v64, v46, s0
	v_cmp_eq_u32_e64 s0, 8, v97
	s_delay_alu instid0(VALU_DEP_2) | instskip(SKIP_1) | instid1(VALU_DEP_2)
	v_dual_cndmask_b32 v63, v63, v49 :: v_dual_cndmask_b32 v64, v64, v48
	v_cmp_eq_u32_e32 vcc_lo, 9, v97
	v_cndmask_b32_e64 v65, v63, v51, s0
	s_delay_alu instid0(VALU_DEP_3)
	v_cndmask_b32_e64 v95, v64, v50, s0
	ds_load_b64 v[63:64], v61
	v_cmp_eq_u32_e64 s0, 10, v97
	v_add_nc_u32_e32 v61, 8, v61
	v_cndmask_b32_e32 v65, v65, v53, vcc_lo
	v_cndmask_b32_e32 v95, v95, v52, vcc_lo
	v_cmp_eq_u32_e32 vcc_lo, 11, v97
	s_delay_alu instid0(VALU_DEP_3) | instskip(NEXT) | instid1(VALU_DEP_3)
	v_cndmask_b32_e64 v65, v65, v55, s0
	v_cndmask_b32_e64 v95, v95, v54, s0
	v_cmp_eq_u32_e64 s0, 12, v97
	s_delay_alu instid0(VALU_DEP_3) | instskip(NEXT) | instid1(VALU_DEP_3)
	v_cndmask_b32_e32 v65, v65, v57, vcc_lo
	v_cndmask_b32_e32 v95, v95, v56, vcc_lo
	v_cmp_eq_u32_e32 vcc_lo, 0, v60
	s_delay_alu instid0(VALU_DEP_3) | instskip(NEXT) | instid1(VALU_DEP_3)
	v_cndmask_b32_e64 v96, v65, v59, s0
	v_cndmask_b32_e64 v95, v95, v58, s0
	v_add_co_u32 v97, s0, v97, 1
	s_delay_alu instid0(VALU_DEP_1) | instskip(SKIP_1) | instid1(VALU_DEP_3)
	v_add_co_ci_u32_e64 v62, s0, 0, v62, s0
	s_waitcnt lgkmcnt(0)
	v_fma_f64 v[92:93], v[95:96], v[63:64], v[92:93]
	s_or_b32 s5, vcc_lo, s5
	s_delay_alu instid0(SALU_CYCLE_1)
	s_and_not1_b32 exec_lo, exec_lo, s5
	s_cbranch_execnz .LBB12_175
; %bb.176:
	s_or_b32 exec_lo, exec_lo, s5
.LBB12_177:
	s_delay_alu instid0(SALU_CYCLE_1)
	s_or_b32 exec_lo, exec_lo, s1
.LBB12_178:
	s_delay_alu instid0(SALU_CYCLE_1)
	s_or_b32 exec_lo, exec_lo, s4
	v_mov_b32_e32 v34, 0
	ds_load_b64 v[34:35], v34
	s_waitcnt lgkmcnt(0)
	v_mul_f64 v[34:35], v[92:93], v[34:35]
.LBB12_179:
	s_or_b32 exec_lo, exec_lo, s3
	s_delay_alu instid0(SALU_CYCLE_1)
	s_and_b32 vcc_lo, exec_lo, s2
	s_cbranch_vccz .LBB12_307
.LBB12_180:
	v_cmp_eq_u32_e64 s0, 0, v0
	s_waitcnt vmcnt(11)
	ds_store_b64 v94, v[4:5]
	s_waitcnt vmcnt(0) lgkmcnt(0)
	s_barrier
	buffer_gl0_inv
	s_and_saveexec_b32 s1, s0
	s_cbranch_execz .LBB12_186
; %bb.181:
	s_and_b32 vcc_lo, exec_lo, s13
	s_cbranch_vccz .LBB12_183
; %bb.182:
	v_cmp_eq_u32_e32 vcc_lo, 1, v0
	v_dual_cndmask_b32 v5, v3, v5 :: v_dual_cndmask_b32 v4, v2, v4
	v_cmp_eq_u32_e32 vcc_lo, 2, v0
	s_delay_alu instid0(VALU_DEP_2) | instskip(SKIP_1) | instid1(VALU_DEP_2)
	v_dual_cndmask_b32 v5, v5, v7 :: v_dual_cndmask_b32 v4, v4, v6
	v_cmp_eq_u32_e32 vcc_lo, 3, v0
	v_dual_cndmask_b32 v5, v5, v9 :: v_dual_cndmask_b32 v4, v4, v8
	v_cmp_eq_u32_e32 vcc_lo, 4, v0
	s_delay_alu instid0(VALU_DEP_2) | instskip(SKIP_1) | instid1(VALU_DEP_2)
	v_dual_cndmask_b32 v5, v5, v11 :: v_dual_cndmask_b32 v4, v4, v10
	;; [unrolled: 5-line block ×4, first 2 shown]
	v_cmp_eq_u32_e32 vcc_lo, 9, v0
	v_dual_cndmask_b32 v28, v5, v21 :: v_dual_cndmask_b32 v29, v4, v20
	v_cmp_eq_u32_e32 vcc_lo, 10, v0
	ds_load_b64 v[4:5], v94
	v_dual_cndmask_b32 v28, v28, v23 :: v_dual_cndmask_b32 v29, v29, v22
	v_cmp_eq_u32_e32 vcc_lo, 11, v0
	s_delay_alu instid0(VALU_DEP_2) | instskip(NEXT) | instid1(VALU_DEP_3)
	v_cndmask_b32_e32 v28, v28, v25, vcc_lo
	v_cndmask_b32_e32 v30, v29, v24, vcc_lo
	v_cmp_eq_u32_e32 vcc_lo, 12, v0
	s_delay_alu instid0(VALU_DEP_2) | instskip(SKIP_1) | instid1(VALU_DEP_1)
	v_dual_cndmask_b32 v29, v28, v27 :: v_dual_cndmask_b32 v28, v30, v26
	s_waitcnt lgkmcnt(0)
	v_mul_f64 v[4:5], v[28:29], v[4:5]
	s_cbranch_execz .LBB12_184
	s_branch .LBB12_185
.LBB12_183:
                                        ; implicit-def: $vgpr4_vgpr5
.LBB12_184:
	ds_load_b64 v[4:5], v94
.LBB12_185:
	v_mov_b32_e32 v28, 0
	ds_load_b64 v[28:29], v28 offset:8
	s_waitcnt lgkmcnt(0)
	v_mul_f64 v[4:5], v[4:5], v[28:29]
.LBB12_186:
	s_or_b32 exec_lo, exec_lo, s1
	v_add_nc_u32_e32 v35, 1, v0
	v_cndmask_b32_e64 v34, 0, 1, s13
	s_mov_b32 s1, exec_lo
	ds_store_b64 v94, v[6:7]
	s_waitcnt lgkmcnt(0)
	s_barrier
	buffer_gl0_inv
	v_cmpx_gt_u32_e32 2, v0
	s_cbranch_execz .LBB12_194
; %bb.187:
	s_and_not1_b32 vcc_lo, exec_lo, s13
	s_cbranch_vccnz .LBB12_189
; %bb.188:
	v_cmp_eq_u32_e32 vcc_lo, 1, v0
	v_dual_cndmask_b32 v28, v3, v5 :: v_dual_cndmask_b32 v29, v2, v4
	v_cmp_eq_u32_e32 vcc_lo, 2, v0
	s_delay_alu instid0(VALU_DEP_2) | instskip(SKIP_1) | instid1(VALU_DEP_2)
	v_dual_cndmask_b32 v28, v28, v7 :: v_dual_cndmask_b32 v29, v29, v6
	v_cmp_eq_u32_e32 vcc_lo, 3, v0
	v_dual_cndmask_b32 v28, v28, v9 :: v_dual_cndmask_b32 v29, v29, v8
	v_cmp_eq_u32_e32 vcc_lo, 4, v0
	s_delay_alu instid0(VALU_DEP_2) | instskip(SKIP_1) | instid1(VALU_DEP_2)
	v_dual_cndmask_b32 v28, v28, v11 :: v_dual_cndmask_b32 v29, v29, v10
	;; [unrolled: 5-line block ×4, first 2 shown]
	v_cmp_eq_u32_e32 vcc_lo, 9, v0
	v_dual_cndmask_b32 v30, v28, v21 :: v_dual_cndmask_b32 v31, v29, v20
	v_cmp_eq_u32_e32 vcc_lo, 10, v0
	ds_load_b64 v[28:29], v94
	v_dual_cndmask_b32 v30, v30, v23 :: v_dual_cndmask_b32 v31, v31, v22
	v_cmp_eq_u32_e32 vcc_lo, 11, v0
	s_delay_alu instid0(VALU_DEP_2) | instskip(NEXT) | instid1(VALU_DEP_3)
	v_cndmask_b32_e32 v30, v30, v25, vcc_lo
	v_cndmask_b32_e32 v32, v31, v24, vcc_lo
	v_cmp_eq_u32_e32 vcc_lo, 12, v0
	s_delay_alu instid0(VALU_DEP_2) | instskip(SKIP_1) | instid1(VALU_DEP_1)
	v_dual_cndmask_b32 v31, v30, v27 :: v_dual_cndmask_b32 v30, v32, v26
	s_waitcnt lgkmcnt(0)
	v_mul_f64 v[28:29], v[30:31], v[28:29]
	s_cbranch_execz .LBB12_190
	s_branch .LBB12_191
.LBB12_189:
                                        ; implicit-def: $vgpr28_vgpr29
.LBB12_190:
	ds_load_b64 v[28:29], v94
.LBB12_191:
	s_and_saveexec_b32 s2, s0
	s_cbranch_execz .LBB12_193
; %bb.192:
	v_cmp_eq_u32_e32 vcc_lo, 1, v35
	v_dual_cndmask_b32 v30, v3, v5 :: v_dual_cndmask_b32 v31, v2, v4
	v_cmp_eq_u32_e32 vcc_lo, 2, v35
	s_delay_alu instid0(VALU_DEP_2) | instskip(SKIP_1) | instid1(VALU_DEP_2)
	v_dual_cndmask_b32 v7, v30, v7 :: v_dual_cndmask_b32 v6, v31, v6
	v_cmp_eq_u32_e32 vcc_lo, 3, v35
	v_dual_cndmask_b32 v7, v7, v9 :: v_dual_cndmask_b32 v6, v6, v8
	v_cmp_eq_u32_e32 vcc_lo, 4, v35
	s_delay_alu instid0(VALU_DEP_2) | instskip(SKIP_1) | instid1(VALU_DEP_2)
	v_dual_cndmask_b32 v7, v7, v11 :: v_dual_cndmask_b32 v6, v6, v10
	;; [unrolled: 5-line block ×4, first 2 shown]
	v_cmp_eq_u32_e32 vcc_lo, 9, v35
	v_dual_cndmask_b32 v30, v7, v21 :: v_dual_cndmask_b32 v31, v6, v20
	v_cmp_eq_u32_e32 vcc_lo, 10, v35
	ds_load_b64 v[6:7], v94 offset:8
	v_dual_cndmask_b32 v30, v30, v23 :: v_dual_cndmask_b32 v31, v31, v22
	v_cmp_eq_u32_e32 vcc_lo, 11, v35
	s_delay_alu instid0(VALU_DEP_2) | instskip(NEXT) | instid1(VALU_DEP_3)
	v_cndmask_b32_e32 v30, v30, v25, vcc_lo
	v_cndmask_b32_e32 v32, v31, v24, vcc_lo
	v_cmp_eq_u32_e32 vcc_lo, 12, v35
	s_delay_alu instid0(VALU_DEP_2) | instskip(SKIP_1) | instid1(VALU_DEP_1)
	v_dual_cndmask_b32 v31, v30, v27 :: v_dual_cndmask_b32 v30, v32, v26
	s_waitcnt lgkmcnt(0)
	v_fma_f64 v[28:29], v[30:31], v[6:7], v[28:29]
.LBB12_193:
	s_or_b32 exec_lo, exec_lo, s2
	v_mov_b32_e32 v6, 0
	ds_load_b64 v[6:7], v6 offset:16
	s_waitcnt lgkmcnt(0)
	v_mul_f64 v[6:7], v[28:29], v[6:7]
.LBB12_194:
	s_or_b32 exec_lo, exec_lo, s1
	v_cmp_gt_u32_e64 s1, 3, v0
	ds_store_b64 v94, v[8:9]
	s_waitcnt lgkmcnt(0)
	s_barrier
	buffer_gl0_inv
	s_and_saveexec_b32 s2, s1
	s_cbranch_execz .LBB12_204
; %bb.195:
	v_cmp_ne_u32_e32 vcc_lo, 1, v34
	s_cbranch_vccnz .LBB12_197
; %bb.196:
	v_cmp_eq_u32_e32 vcc_lo, 1, v0
	v_dual_cndmask_b32 v28, v3, v5 :: v_dual_cndmask_b32 v29, v2, v4
	v_cmp_eq_u32_e32 vcc_lo, 2, v0
	s_delay_alu instid0(VALU_DEP_2) | instskip(SKIP_1) | instid1(VALU_DEP_2)
	v_dual_cndmask_b32 v28, v28, v7 :: v_dual_cndmask_b32 v29, v29, v6
	v_cmp_eq_u32_e32 vcc_lo, 3, v0
	v_dual_cndmask_b32 v28, v28, v9 :: v_dual_cndmask_b32 v29, v29, v8
	v_cmp_eq_u32_e32 vcc_lo, 4, v0
	s_delay_alu instid0(VALU_DEP_2) | instskip(SKIP_1) | instid1(VALU_DEP_2)
	v_dual_cndmask_b32 v28, v28, v11 :: v_dual_cndmask_b32 v29, v29, v10
	;; [unrolled: 5-line block ×4, first 2 shown]
	v_cmp_eq_u32_e32 vcc_lo, 9, v0
	v_dual_cndmask_b32 v30, v28, v21 :: v_dual_cndmask_b32 v31, v29, v20
	v_cmp_eq_u32_e32 vcc_lo, 10, v0
	ds_load_b64 v[28:29], v94
	v_dual_cndmask_b32 v30, v30, v23 :: v_dual_cndmask_b32 v31, v31, v22
	v_cmp_eq_u32_e32 vcc_lo, 11, v0
	s_delay_alu instid0(VALU_DEP_2) | instskip(NEXT) | instid1(VALU_DEP_3)
	v_cndmask_b32_e32 v30, v30, v25, vcc_lo
	v_cndmask_b32_e32 v32, v31, v24, vcc_lo
	v_cmp_eq_u32_e32 vcc_lo, 12, v0
	s_delay_alu instid0(VALU_DEP_2) | instskip(SKIP_1) | instid1(VALU_DEP_1)
	v_dual_cndmask_b32 v31, v30, v27 :: v_dual_cndmask_b32 v30, v32, v26
	s_waitcnt lgkmcnt(0)
	v_mul_f64 v[28:29], v[30:31], v[28:29]
	s_cbranch_execz .LBB12_198
	s_branch .LBB12_199
.LBB12_197:
                                        ; implicit-def: $vgpr28_vgpr29
.LBB12_198:
	ds_load_b64 v[28:29], v94
.LBB12_199:
	s_mov_b32 s3, exec_lo
	v_cmpx_ne_u32_e32 2, v0
	s_cbranch_execz .LBB12_203
; %bb.200:
	v_cmp_eq_u32_e32 vcc_lo, 1, v35
	v_dual_cndmask_b32 v30, v3, v5 :: v_dual_cndmask_b32 v31, v2, v4
	v_cmp_eq_u32_e32 vcc_lo, 2, v35
	s_delay_alu instid0(VALU_DEP_2) | instskip(SKIP_1) | instid1(VALU_DEP_2)
	v_dual_cndmask_b32 v30, v30, v7 :: v_dual_cndmask_b32 v31, v31, v6
	v_cmp_eq_u32_e32 vcc_lo, 3, v35
	v_dual_cndmask_b32 v9, v30, v9 :: v_dual_cndmask_b32 v8, v31, v8
	v_cmp_eq_u32_e32 vcc_lo, 4, v35
	s_delay_alu instid0(VALU_DEP_2) | instskip(SKIP_1) | instid1(VALU_DEP_2)
	v_dual_cndmask_b32 v9, v9, v11 :: v_dual_cndmask_b32 v8, v8, v10
	;; [unrolled: 5-line block ×4, first 2 shown]
	v_cmp_eq_u32_e32 vcc_lo, 9, v35
	v_dual_cndmask_b32 v30, v9, v21 :: v_dual_cndmask_b32 v31, v8, v20
	v_cmp_eq_u32_e32 vcc_lo, 10, v35
	ds_load_b64 v[8:9], v94 offset:8
	v_dual_cndmask_b32 v30, v30, v23 :: v_dual_cndmask_b32 v31, v31, v22
	v_cmp_eq_u32_e32 vcc_lo, 11, v35
	s_delay_alu instid0(VALU_DEP_2) | instskip(NEXT) | instid1(VALU_DEP_3)
	v_cndmask_b32_e32 v30, v30, v25, vcc_lo
	v_cndmask_b32_e32 v32, v31, v24, vcc_lo
	v_cmp_eq_u32_e32 vcc_lo, 12, v35
	s_delay_alu instid0(VALU_DEP_2) | instskip(SKIP_1) | instid1(VALU_DEP_1)
	v_dual_cndmask_b32 v31, v30, v27 :: v_dual_cndmask_b32 v30, v32, v26
	s_waitcnt lgkmcnt(0)
	v_fma_f64 v[28:29], v[30:31], v[8:9], v[28:29]
	s_and_saveexec_b32 s4, s0
	s_cbranch_execz .LBB12_202
; %bb.201:
	v_mov_b32_e32 v8, 0
	ds_load_b64 v[8:9], v8 offset:128
	s_waitcnt lgkmcnt(0)
	v_fma_f64 v[28:29], v[6:7], v[8:9], v[28:29]
.LBB12_202:
	s_or_b32 exec_lo, exec_lo, s4
.LBB12_203:
	s_delay_alu instid0(SALU_CYCLE_1)
	s_or_b32 exec_lo, exec_lo, s3
	v_mov_b32_e32 v8, 0
	ds_load_b64 v[8:9], v8 offset:24
	s_waitcnt lgkmcnt(0)
	v_mul_f64 v[8:9], v[28:29], v[8:9]
.LBB12_204:
	s_or_b32 exec_lo, exec_lo, s2
	s_delay_alu instid0(SALU_CYCLE_1)
	s_mov_b32 s3, exec_lo
	ds_store_b64 v94, v[10:11]
	s_waitcnt lgkmcnt(0)
	s_barrier
	buffer_gl0_inv
	v_cmpx_gt_u32_e32 4, v0
	s_cbranch_execz .LBB12_214
; %bb.205:
	v_cmp_ne_u32_e32 vcc_lo, 1, v34
	s_cbranch_vccnz .LBB12_207
; %bb.206:
	v_cmp_eq_u32_e32 vcc_lo, 1, v0
	v_dual_cndmask_b32 v28, v3, v5 :: v_dual_cndmask_b32 v29, v2, v4
	v_cmp_eq_u32_e32 vcc_lo, 2, v0
	s_delay_alu instid0(VALU_DEP_2) | instskip(SKIP_1) | instid1(VALU_DEP_2)
	v_dual_cndmask_b32 v28, v28, v7 :: v_dual_cndmask_b32 v29, v29, v6
	v_cmp_eq_u32_e32 vcc_lo, 3, v0
	v_dual_cndmask_b32 v28, v28, v9 :: v_dual_cndmask_b32 v29, v29, v8
	v_cmp_eq_u32_e32 vcc_lo, 4, v0
	s_delay_alu instid0(VALU_DEP_2) | instskip(SKIP_1) | instid1(VALU_DEP_2)
	v_dual_cndmask_b32 v28, v28, v11 :: v_dual_cndmask_b32 v29, v29, v10
	;; [unrolled: 5-line block ×4, first 2 shown]
	v_cmp_eq_u32_e32 vcc_lo, 9, v0
	v_dual_cndmask_b32 v30, v28, v21 :: v_dual_cndmask_b32 v31, v29, v20
	v_cmp_eq_u32_e32 vcc_lo, 10, v0
	ds_load_b64 v[28:29], v94
	v_dual_cndmask_b32 v30, v30, v23 :: v_dual_cndmask_b32 v31, v31, v22
	v_cmp_eq_u32_e32 vcc_lo, 11, v0
	s_delay_alu instid0(VALU_DEP_2) | instskip(NEXT) | instid1(VALU_DEP_3)
	v_cndmask_b32_e32 v30, v30, v25, vcc_lo
	v_cndmask_b32_e32 v32, v31, v24, vcc_lo
	v_cmp_eq_u32_e32 vcc_lo, 12, v0
	s_delay_alu instid0(VALU_DEP_2) | instskip(SKIP_1) | instid1(VALU_DEP_1)
	v_dual_cndmask_b32 v31, v30, v27 :: v_dual_cndmask_b32 v30, v32, v26
	s_waitcnt lgkmcnt(0)
	v_mul_f64 v[28:29], v[30:31], v[28:29]
	s_cbranch_execz .LBB12_208
	s_branch .LBB12_209
.LBB12_207:
                                        ; implicit-def: $vgpr28_vgpr29
.LBB12_208:
	ds_load_b64 v[28:29], v94
.LBB12_209:
	s_mov_b32 s4, exec_lo
	v_cmpx_ne_u32_e32 3, v0
	s_cbranch_execz .LBB12_213
; %bb.210:
	v_lshl_add_u32 v32, v0, 3, 0x78
	v_dual_mov_b32 v31, v1 :: v_dual_mov_b32 v30, v0
	s_mov_b32 s5, 0
.LBB12_211:                             ; =>This Inner Loop Header: Depth=1
	s_delay_alu instid0(VALU_DEP_1) | instskip(NEXT) | instid1(VALU_DEP_2)
	v_add_co_u32 v30, vcc_lo, v30, 1
	v_add_co_ci_u32_e32 v31, vcc_lo, 0, v31, vcc_lo
	s_delay_alu instid0(VALU_DEP_2) | instskip(SKIP_3) | instid1(VALU_DEP_2)
	v_cmp_eq_u32_e32 vcc_lo, 1, v30
	v_cmp_eq_u32_e64 s2, 2, v30
	v_dual_cndmask_b32 v33, v3, v5 :: v_dual_cndmask_b32 v36, v2, v4
	v_cmp_eq_u32_e32 vcc_lo, 3, v30
	v_cndmask_b32_e64 v33, v33, v7, s2
	s_delay_alu instid0(VALU_DEP_3) | instskip(SKIP_1) | instid1(VALU_DEP_2)
	v_cndmask_b32_e64 v36, v36, v6, s2
	v_cmp_eq_u32_e64 s2, 4, v30
	v_dual_cndmask_b32 v33, v33, v9 :: v_dual_cndmask_b32 v36, v36, v8
	v_cmp_eq_u32_e32 vcc_lo, 5, v30
	s_delay_alu instid0(VALU_DEP_2) | instskip(NEXT) | instid1(VALU_DEP_3)
	v_cndmask_b32_e64 v33, v33, v11, s2
	v_cndmask_b32_e64 v36, v36, v10, s2
	v_cmp_eq_u32_e64 s2, 6, v30
	s_delay_alu instid0(VALU_DEP_2) | instskip(SKIP_1) | instid1(VALU_DEP_2)
	v_dual_cndmask_b32 v33, v33, v13 :: v_dual_cndmask_b32 v36, v36, v12
	v_cmp_eq_u32_e32 vcc_lo, 7, v30
	v_cndmask_b32_e64 v33, v33, v15, s2
	s_delay_alu instid0(VALU_DEP_3) | instskip(SKIP_1) | instid1(VALU_DEP_2)
	v_cndmask_b32_e64 v36, v36, v14, s2
	v_cmp_eq_u32_e64 s2, 8, v30
	v_dual_cndmask_b32 v33, v33, v17 :: v_dual_cndmask_b32 v36, v36, v16
	v_cmp_eq_u32_e32 vcc_lo, 9, v30
	s_delay_alu instid0(VALU_DEP_2) | instskip(NEXT) | instid1(VALU_DEP_3)
	v_cndmask_b32_e64 v33, v33, v19, s2
	v_cndmask_b32_e64 v38, v36, v18, s2
	ds_load_b64 v[36:37], v32
	v_cmp_eq_u32_e64 s2, 10, v30
	v_dual_cndmask_b32 v33, v33, v21 :: v_dual_add_nc_u32 v32, 8, v32
	v_cndmask_b32_e32 v38, v38, v20, vcc_lo
	v_cmp_eq_u32_e32 vcc_lo, 11, v30
	s_delay_alu instid0(VALU_DEP_3) | instskip(NEXT) | instid1(VALU_DEP_3)
	v_cndmask_b32_e64 v33, v33, v23, s2
	v_cndmask_b32_e64 v38, v38, v22, s2
	v_cmp_eq_u32_e64 s2, 12, v30
	s_delay_alu instid0(VALU_DEP_2) | instskip(SKIP_1) | instid1(VALU_DEP_2)
	v_dual_cndmask_b32 v33, v33, v25 :: v_dual_cndmask_b32 v38, v38, v24
	v_cmp_lt_u32_e32 vcc_lo, 2, v30
	v_cndmask_b32_e64 v39, v33, v27, s2
	s_delay_alu instid0(VALU_DEP_3) | instskip(SKIP_2) | instid1(VALU_DEP_1)
	v_cndmask_b32_e64 v38, v38, v26, s2
	s_or_b32 s5, vcc_lo, s5
	s_waitcnt lgkmcnt(0)
	v_fma_f64 v[28:29], v[38:39], v[36:37], v[28:29]
	s_and_not1_b32 exec_lo, exec_lo, s5
	s_cbranch_execnz .LBB12_211
; %bb.212:
	s_or_b32 exec_lo, exec_lo, s5
.LBB12_213:
	s_delay_alu instid0(SALU_CYCLE_1)
	s_or_b32 exec_lo, exec_lo, s4
	v_mov_b32_e32 v10, 0
	ds_load_b64 v[10:11], v10 offset:32
	s_waitcnt lgkmcnt(0)
	v_mul_f64 v[10:11], v[28:29], v[10:11]
.LBB12_214:
	s_or_b32 exec_lo, exec_lo, s3
	v_cmp_gt_u32_e64 s2, 5, v0
	ds_store_b64 v94, v[12:13]
	s_waitcnt lgkmcnt(0)
	s_barrier
	buffer_gl0_inv
	s_and_saveexec_b32 s4, s2
	s_cbranch_execz .LBB12_224
; %bb.215:
	v_cmp_ne_u32_e32 vcc_lo, 1, v34
	s_cbranch_vccnz .LBB12_217
; %bb.216:
	v_cmp_eq_u32_e32 vcc_lo, 1, v0
	v_dual_cndmask_b32 v28, v3, v5 :: v_dual_cndmask_b32 v29, v2, v4
	v_cmp_eq_u32_e32 vcc_lo, 2, v0
	s_delay_alu instid0(VALU_DEP_2) | instskip(SKIP_1) | instid1(VALU_DEP_2)
	v_dual_cndmask_b32 v28, v28, v7 :: v_dual_cndmask_b32 v29, v29, v6
	v_cmp_eq_u32_e32 vcc_lo, 3, v0
	v_dual_cndmask_b32 v28, v28, v9 :: v_dual_cndmask_b32 v29, v29, v8
	v_cmp_eq_u32_e32 vcc_lo, 4, v0
	s_delay_alu instid0(VALU_DEP_2) | instskip(SKIP_1) | instid1(VALU_DEP_2)
	v_dual_cndmask_b32 v28, v28, v11 :: v_dual_cndmask_b32 v29, v29, v10
	;; [unrolled: 5-line block ×4, first 2 shown]
	v_cmp_eq_u32_e32 vcc_lo, 9, v0
	v_dual_cndmask_b32 v30, v28, v21 :: v_dual_cndmask_b32 v31, v29, v20
	v_cmp_eq_u32_e32 vcc_lo, 10, v0
	ds_load_b64 v[28:29], v94
	v_dual_cndmask_b32 v30, v30, v23 :: v_dual_cndmask_b32 v31, v31, v22
	v_cmp_eq_u32_e32 vcc_lo, 11, v0
	s_delay_alu instid0(VALU_DEP_2) | instskip(NEXT) | instid1(VALU_DEP_3)
	v_cndmask_b32_e32 v30, v30, v25, vcc_lo
	v_cndmask_b32_e32 v32, v31, v24, vcc_lo
	v_cmp_eq_u32_e32 vcc_lo, 12, v0
	s_delay_alu instid0(VALU_DEP_2) | instskip(SKIP_1) | instid1(VALU_DEP_1)
	v_dual_cndmask_b32 v31, v30, v27 :: v_dual_cndmask_b32 v30, v32, v26
	s_waitcnt lgkmcnt(0)
	v_mul_f64 v[28:29], v[30:31], v[28:29]
	s_cbranch_execz .LBB12_218
	s_branch .LBB12_219
.LBB12_217:
                                        ; implicit-def: $vgpr28_vgpr29
.LBB12_218:
	ds_load_b64 v[28:29], v94
.LBB12_219:
	s_mov_b32 s5, exec_lo
	v_cmpx_ne_u32_e32 4, v0
	s_cbranch_execz .LBB12_223
; %bb.220:
	v_lshl_add_u32 v32, v0, 3, 0x78
	v_dual_mov_b32 v31, v1 :: v_dual_mov_b32 v30, v0
	s_mov_b32 s6, 0
.LBB12_221:                             ; =>This Inner Loop Header: Depth=1
	s_delay_alu instid0(VALU_DEP_1) | instskip(NEXT) | instid1(VALU_DEP_2)
	v_add_co_u32 v30, vcc_lo, v30, 1
	v_add_co_ci_u32_e32 v31, vcc_lo, 0, v31, vcc_lo
	s_delay_alu instid0(VALU_DEP_2) | instskip(SKIP_3) | instid1(VALU_DEP_2)
	v_cmp_eq_u32_e32 vcc_lo, 1, v30
	v_cmp_eq_u32_e64 s3, 2, v30
	v_dual_cndmask_b32 v33, v3, v5 :: v_dual_cndmask_b32 v36, v2, v4
	v_cmp_eq_u32_e32 vcc_lo, 3, v30
	v_cndmask_b32_e64 v33, v33, v7, s3
	s_delay_alu instid0(VALU_DEP_3) | instskip(SKIP_1) | instid1(VALU_DEP_2)
	v_cndmask_b32_e64 v36, v36, v6, s3
	v_cmp_eq_u32_e64 s3, 4, v30
	v_dual_cndmask_b32 v33, v33, v9 :: v_dual_cndmask_b32 v36, v36, v8
	v_cmp_eq_u32_e32 vcc_lo, 5, v30
	s_delay_alu instid0(VALU_DEP_2) | instskip(NEXT) | instid1(VALU_DEP_3)
	v_cndmask_b32_e64 v33, v33, v11, s3
	v_cndmask_b32_e64 v36, v36, v10, s3
	v_cmp_eq_u32_e64 s3, 6, v30
	s_delay_alu instid0(VALU_DEP_2) | instskip(SKIP_1) | instid1(VALU_DEP_2)
	v_dual_cndmask_b32 v33, v33, v13 :: v_dual_cndmask_b32 v36, v36, v12
	v_cmp_eq_u32_e32 vcc_lo, 7, v30
	v_cndmask_b32_e64 v33, v33, v15, s3
	s_delay_alu instid0(VALU_DEP_3) | instskip(SKIP_1) | instid1(VALU_DEP_2)
	v_cndmask_b32_e64 v36, v36, v14, s3
	v_cmp_eq_u32_e64 s3, 8, v30
	v_dual_cndmask_b32 v33, v33, v17 :: v_dual_cndmask_b32 v36, v36, v16
	v_cmp_eq_u32_e32 vcc_lo, 9, v30
	s_delay_alu instid0(VALU_DEP_2) | instskip(NEXT) | instid1(VALU_DEP_3)
	v_cndmask_b32_e64 v33, v33, v19, s3
	v_cndmask_b32_e64 v38, v36, v18, s3
	ds_load_b64 v[36:37], v32
	v_cmp_eq_u32_e64 s3, 10, v30
	v_dual_cndmask_b32 v33, v33, v21 :: v_dual_add_nc_u32 v32, 8, v32
	v_cndmask_b32_e32 v38, v38, v20, vcc_lo
	v_cmp_eq_u32_e32 vcc_lo, 11, v30
	s_delay_alu instid0(VALU_DEP_3) | instskip(NEXT) | instid1(VALU_DEP_3)
	v_cndmask_b32_e64 v33, v33, v23, s3
	v_cndmask_b32_e64 v38, v38, v22, s3
	v_cmp_eq_u32_e64 s3, 12, v30
	s_delay_alu instid0(VALU_DEP_2) | instskip(SKIP_1) | instid1(VALU_DEP_2)
	v_dual_cndmask_b32 v33, v33, v25 :: v_dual_cndmask_b32 v38, v38, v24
	v_cmp_lt_u32_e32 vcc_lo, 3, v30
	v_cndmask_b32_e64 v39, v33, v27, s3
	s_delay_alu instid0(VALU_DEP_3) | instskip(SKIP_2) | instid1(VALU_DEP_1)
	v_cndmask_b32_e64 v38, v38, v26, s3
	s_or_b32 s6, vcc_lo, s6
	s_waitcnt lgkmcnt(0)
	v_fma_f64 v[28:29], v[38:39], v[36:37], v[28:29]
	s_and_not1_b32 exec_lo, exec_lo, s6
	s_cbranch_execnz .LBB12_221
; %bb.222:
	s_or_b32 exec_lo, exec_lo, s6
.LBB12_223:
	s_delay_alu instid0(SALU_CYCLE_1)
	s_or_b32 exec_lo, exec_lo, s5
	v_mov_b32_e32 v12, 0
	ds_load_b64 v[12:13], v12 offset:40
	s_waitcnt lgkmcnt(0)
	v_mul_f64 v[12:13], v[28:29], v[12:13]
.LBB12_224:
	s_or_b32 exec_lo, exec_lo, s4
	s_delay_alu instid0(SALU_CYCLE_1)
	s_mov_b32 s4, exec_lo
	ds_store_b64 v94, v[14:15]
	s_waitcnt lgkmcnt(0)
	s_barrier
	buffer_gl0_inv
	v_cmpx_gt_u32_e32 6, v0
	s_cbranch_execz .LBB12_234
; %bb.225:
	v_cmp_ne_u32_e32 vcc_lo, 1, v34
	s_cbranch_vccnz .LBB12_227
; %bb.226:
	v_cmp_eq_u32_e32 vcc_lo, 1, v0
	v_dual_cndmask_b32 v28, v3, v5 :: v_dual_cndmask_b32 v29, v2, v4
	v_cmp_eq_u32_e32 vcc_lo, 2, v0
	s_delay_alu instid0(VALU_DEP_2) | instskip(SKIP_1) | instid1(VALU_DEP_2)
	v_dual_cndmask_b32 v28, v28, v7 :: v_dual_cndmask_b32 v29, v29, v6
	v_cmp_eq_u32_e32 vcc_lo, 3, v0
	v_dual_cndmask_b32 v28, v28, v9 :: v_dual_cndmask_b32 v29, v29, v8
	v_cmp_eq_u32_e32 vcc_lo, 4, v0
	s_delay_alu instid0(VALU_DEP_2) | instskip(SKIP_1) | instid1(VALU_DEP_2)
	v_dual_cndmask_b32 v28, v28, v11 :: v_dual_cndmask_b32 v29, v29, v10
	;; [unrolled: 5-line block ×4, first 2 shown]
	v_cmp_eq_u32_e32 vcc_lo, 9, v0
	v_dual_cndmask_b32 v30, v28, v21 :: v_dual_cndmask_b32 v31, v29, v20
	v_cmp_eq_u32_e32 vcc_lo, 10, v0
	ds_load_b64 v[28:29], v94
	v_dual_cndmask_b32 v30, v30, v23 :: v_dual_cndmask_b32 v31, v31, v22
	v_cmp_eq_u32_e32 vcc_lo, 11, v0
	s_delay_alu instid0(VALU_DEP_2) | instskip(NEXT) | instid1(VALU_DEP_3)
	v_cndmask_b32_e32 v30, v30, v25, vcc_lo
	v_cndmask_b32_e32 v32, v31, v24, vcc_lo
	v_cmp_eq_u32_e32 vcc_lo, 12, v0
	s_delay_alu instid0(VALU_DEP_2) | instskip(SKIP_1) | instid1(VALU_DEP_1)
	v_dual_cndmask_b32 v31, v30, v27 :: v_dual_cndmask_b32 v30, v32, v26
	s_waitcnt lgkmcnt(0)
	v_mul_f64 v[28:29], v[30:31], v[28:29]
	s_cbranch_execz .LBB12_228
	s_branch .LBB12_229
.LBB12_227:
                                        ; implicit-def: $vgpr28_vgpr29
.LBB12_228:
	ds_load_b64 v[28:29], v94
.LBB12_229:
	s_mov_b32 s5, exec_lo
	v_cmpx_ne_u32_e32 5, v0
	s_cbranch_execz .LBB12_233
; %bb.230:
	v_lshl_add_u32 v32, v0, 3, 0x78
	v_dual_mov_b32 v31, v1 :: v_dual_mov_b32 v30, v0
	s_mov_b32 s6, 0
.LBB12_231:                             ; =>This Inner Loop Header: Depth=1
	s_delay_alu instid0(VALU_DEP_1) | instskip(NEXT) | instid1(VALU_DEP_2)
	v_add_co_u32 v30, vcc_lo, v30, 1
	v_add_co_ci_u32_e32 v31, vcc_lo, 0, v31, vcc_lo
	s_delay_alu instid0(VALU_DEP_2) | instskip(SKIP_3) | instid1(VALU_DEP_2)
	v_cmp_eq_u32_e32 vcc_lo, 1, v30
	v_cmp_eq_u32_e64 s3, 2, v30
	v_dual_cndmask_b32 v33, v3, v5 :: v_dual_cndmask_b32 v36, v2, v4
	v_cmp_eq_u32_e32 vcc_lo, 3, v30
	v_cndmask_b32_e64 v33, v33, v7, s3
	s_delay_alu instid0(VALU_DEP_3) | instskip(SKIP_1) | instid1(VALU_DEP_2)
	v_cndmask_b32_e64 v36, v36, v6, s3
	v_cmp_eq_u32_e64 s3, 4, v30
	v_dual_cndmask_b32 v33, v33, v9 :: v_dual_cndmask_b32 v36, v36, v8
	v_cmp_eq_u32_e32 vcc_lo, 5, v30
	s_delay_alu instid0(VALU_DEP_2) | instskip(NEXT) | instid1(VALU_DEP_3)
	v_cndmask_b32_e64 v33, v33, v11, s3
	v_cndmask_b32_e64 v36, v36, v10, s3
	v_cmp_eq_u32_e64 s3, 6, v30
	s_delay_alu instid0(VALU_DEP_2) | instskip(SKIP_1) | instid1(VALU_DEP_2)
	v_dual_cndmask_b32 v33, v33, v13 :: v_dual_cndmask_b32 v36, v36, v12
	v_cmp_eq_u32_e32 vcc_lo, 7, v30
	v_cndmask_b32_e64 v33, v33, v15, s3
	s_delay_alu instid0(VALU_DEP_3) | instskip(SKIP_1) | instid1(VALU_DEP_2)
	v_cndmask_b32_e64 v36, v36, v14, s3
	v_cmp_eq_u32_e64 s3, 8, v30
	v_dual_cndmask_b32 v33, v33, v17 :: v_dual_cndmask_b32 v36, v36, v16
	v_cmp_eq_u32_e32 vcc_lo, 9, v30
	s_delay_alu instid0(VALU_DEP_2) | instskip(NEXT) | instid1(VALU_DEP_3)
	v_cndmask_b32_e64 v33, v33, v19, s3
	v_cndmask_b32_e64 v38, v36, v18, s3
	ds_load_b64 v[36:37], v32
	v_cmp_eq_u32_e64 s3, 10, v30
	v_dual_cndmask_b32 v33, v33, v21 :: v_dual_add_nc_u32 v32, 8, v32
	v_cndmask_b32_e32 v38, v38, v20, vcc_lo
	v_cmp_eq_u32_e32 vcc_lo, 11, v30
	s_delay_alu instid0(VALU_DEP_3) | instskip(NEXT) | instid1(VALU_DEP_3)
	v_cndmask_b32_e64 v33, v33, v23, s3
	v_cndmask_b32_e64 v38, v38, v22, s3
	v_cmp_eq_u32_e64 s3, 12, v30
	s_delay_alu instid0(VALU_DEP_2) | instskip(SKIP_1) | instid1(VALU_DEP_2)
	v_dual_cndmask_b32 v33, v33, v25 :: v_dual_cndmask_b32 v38, v38, v24
	v_cmp_lt_u32_e32 vcc_lo, 4, v30
	v_cndmask_b32_e64 v39, v33, v27, s3
	s_delay_alu instid0(VALU_DEP_3) | instskip(SKIP_2) | instid1(VALU_DEP_1)
	v_cndmask_b32_e64 v38, v38, v26, s3
	s_or_b32 s6, vcc_lo, s6
	s_waitcnt lgkmcnt(0)
	v_fma_f64 v[28:29], v[38:39], v[36:37], v[28:29]
	s_and_not1_b32 exec_lo, exec_lo, s6
	s_cbranch_execnz .LBB12_231
; %bb.232:
	s_or_b32 exec_lo, exec_lo, s6
.LBB12_233:
	s_delay_alu instid0(SALU_CYCLE_1)
	s_or_b32 exec_lo, exec_lo, s5
	v_mov_b32_e32 v14, 0
	ds_load_b64 v[14:15], v14 offset:48
	s_waitcnt lgkmcnt(0)
	v_mul_f64 v[14:15], v[28:29], v[14:15]
.LBB12_234:
	s_or_b32 exec_lo, exec_lo, s4
	v_cmp_gt_u32_e64 s3, 7, v0
	ds_store_b64 v94, v[16:17]
	s_waitcnt lgkmcnt(0)
	s_barrier
	buffer_gl0_inv
	s_and_saveexec_b32 s5, s3
	s_cbranch_execz .LBB12_244
; %bb.235:
	v_cmp_ne_u32_e32 vcc_lo, 1, v34
	s_cbranch_vccnz .LBB12_237
; %bb.236:
	v_cmp_eq_u32_e32 vcc_lo, 1, v0
	v_dual_cndmask_b32 v28, v3, v5 :: v_dual_cndmask_b32 v29, v2, v4
	v_cmp_eq_u32_e32 vcc_lo, 2, v0
	s_delay_alu instid0(VALU_DEP_2) | instskip(SKIP_1) | instid1(VALU_DEP_2)
	v_dual_cndmask_b32 v28, v28, v7 :: v_dual_cndmask_b32 v29, v29, v6
	v_cmp_eq_u32_e32 vcc_lo, 3, v0
	v_dual_cndmask_b32 v28, v28, v9 :: v_dual_cndmask_b32 v29, v29, v8
	v_cmp_eq_u32_e32 vcc_lo, 4, v0
	s_delay_alu instid0(VALU_DEP_2) | instskip(SKIP_1) | instid1(VALU_DEP_2)
	v_dual_cndmask_b32 v28, v28, v11 :: v_dual_cndmask_b32 v29, v29, v10
	;; [unrolled: 5-line block ×4, first 2 shown]
	v_cmp_eq_u32_e32 vcc_lo, 9, v0
	v_dual_cndmask_b32 v30, v28, v21 :: v_dual_cndmask_b32 v31, v29, v20
	v_cmp_eq_u32_e32 vcc_lo, 10, v0
	ds_load_b64 v[28:29], v94
	v_dual_cndmask_b32 v30, v30, v23 :: v_dual_cndmask_b32 v31, v31, v22
	v_cmp_eq_u32_e32 vcc_lo, 11, v0
	s_delay_alu instid0(VALU_DEP_2) | instskip(NEXT) | instid1(VALU_DEP_3)
	v_cndmask_b32_e32 v30, v30, v25, vcc_lo
	v_cndmask_b32_e32 v32, v31, v24, vcc_lo
	v_cmp_eq_u32_e32 vcc_lo, 12, v0
	s_delay_alu instid0(VALU_DEP_2) | instskip(SKIP_1) | instid1(VALU_DEP_1)
	v_dual_cndmask_b32 v31, v30, v27 :: v_dual_cndmask_b32 v30, v32, v26
	s_waitcnt lgkmcnt(0)
	v_mul_f64 v[28:29], v[30:31], v[28:29]
	s_cbranch_execz .LBB12_238
	s_branch .LBB12_239
.LBB12_237:
                                        ; implicit-def: $vgpr28_vgpr29
.LBB12_238:
	ds_load_b64 v[28:29], v94
.LBB12_239:
	s_mov_b32 s6, exec_lo
	v_cmpx_ne_u32_e32 6, v0
	s_cbranch_execz .LBB12_243
; %bb.240:
	v_lshl_add_u32 v32, v0, 3, 0x78
	v_dual_mov_b32 v31, v1 :: v_dual_mov_b32 v30, v0
	s_mov_b32 s7, 0
.LBB12_241:                             ; =>This Inner Loop Header: Depth=1
	s_delay_alu instid0(VALU_DEP_1) | instskip(NEXT) | instid1(VALU_DEP_2)
	v_add_co_u32 v30, vcc_lo, v30, 1
	v_add_co_ci_u32_e32 v31, vcc_lo, 0, v31, vcc_lo
	s_delay_alu instid0(VALU_DEP_2) | instskip(SKIP_3) | instid1(VALU_DEP_2)
	v_cmp_eq_u32_e32 vcc_lo, 1, v30
	v_cmp_eq_u32_e64 s4, 2, v30
	v_dual_cndmask_b32 v33, v3, v5 :: v_dual_cndmask_b32 v36, v2, v4
	v_cmp_eq_u32_e32 vcc_lo, 3, v30
	v_cndmask_b32_e64 v33, v33, v7, s4
	s_delay_alu instid0(VALU_DEP_3) | instskip(SKIP_1) | instid1(VALU_DEP_2)
	v_cndmask_b32_e64 v36, v36, v6, s4
	v_cmp_eq_u32_e64 s4, 4, v30
	v_dual_cndmask_b32 v33, v33, v9 :: v_dual_cndmask_b32 v36, v36, v8
	v_cmp_eq_u32_e32 vcc_lo, 5, v30
	s_delay_alu instid0(VALU_DEP_2) | instskip(NEXT) | instid1(VALU_DEP_3)
	v_cndmask_b32_e64 v33, v33, v11, s4
	v_cndmask_b32_e64 v36, v36, v10, s4
	v_cmp_eq_u32_e64 s4, 6, v30
	s_delay_alu instid0(VALU_DEP_2) | instskip(SKIP_1) | instid1(VALU_DEP_2)
	v_dual_cndmask_b32 v33, v33, v13 :: v_dual_cndmask_b32 v36, v36, v12
	v_cmp_eq_u32_e32 vcc_lo, 7, v30
	v_cndmask_b32_e64 v33, v33, v15, s4
	s_delay_alu instid0(VALU_DEP_3) | instskip(SKIP_1) | instid1(VALU_DEP_2)
	v_cndmask_b32_e64 v36, v36, v14, s4
	v_cmp_eq_u32_e64 s4, 8, v30
	v_dual_cndmask_b32 v33, v33, v17 :: v_dual_cndmask_b32 v36, v36, v16
	v_cmp_eq_u32_e32 vcc_lo, 9, v30
	s_delay_alu instid0(VALU_DEP_2) | instskip(NEXT) | instid1(VALU_DEP_3)
	v_cndmask_b32_e64 v33, v33, v19, s4
	v_cndmask_b32_e64 v38, v36, v18, s4
	ds_load_b64 v[36:37], v32
	v_cmp_eq_u32_e64 s4, 10, v30
	v_dual_cndmask_b32 v33, v33, v21 :: v_dual_add_nc_u32 v32, 8, v32
	v_cndmask_b32_e32 v38, v38, v20, vcc_lo
	v_cmp_eq_u32_e32 vcc_lo, 11, v30
	s_delay_alu instid0(VALU_DEP_3) | instskip(NEXT) | instid1(VALU_DEP_3)
	v_cndmask_b32_e64 v33, v33, v23, s4
	v_cndmask_b32_e64 v38, v38, v22, s4
	v_cmp_eq_u32_e64 s4, 12, v30
	s_delay_alu instid0(VALU_DEP_2) | instskip(SKIP_1) | instid1(VALU_DEP_2)
	v_dual_cndmask_b32 v33, v33, v25 :: v_dual_cndmask_b32 v38, v38, v24
	v_cmp_lt_u32_e32 vcc_lo, 5, v30
	v_cndmask_b32_e64 v39, v33, v27, s4
	s_delay_alu instid0(VALU_DEP_3) | instskip(SKIP_2) | instid1(VALU_DEP_1)
	v_cndmask_b32_e64 v38, v38, v26, s4
	s_or_b32 s7, vcc_lo, s7
	s_waitcnt lgkmcnt(0)
	v_fma_f64 v[28:29], v[38:39], v[36:37], v[28:29]
	s_and_not1_b32 exec_lo, exec_lo, s7
	s_cbranch_execnz .LBB12_241
; %bb.242:
	s_or_b32 exec_lo, exec_lo, s7
.LBB12_243:
	s_delay_alu instid0(SALU_CYCLE_1)
	s_or_b32 exec_lo, exec_lo, s6
	v_mov_b32_e32 v16, 0
	ds_load_b64 v[16:17], v16 offset:56
	s_waitcnt lgkmcnt(0)
	v_mul_f64 v[16:17], v[28:29], v[16:17]
.LBB12_244:
	s_or_b32 exec_lo, exec_lo, s5
	s_delay_alu instid0(SALU_CYCLE_1)
	s_mov_b32 s5, exec_lo
	ds_store_b64 v94, v[18:19]
	s_waitcnt lgkmcnt(0)
	s_barrier
	buffer_gl0_inv
	v_cmpx_gt_u32_e32 8, v0
	s_cbranch_execz .LBB12_254
; %bb.245:
	v_cmp_ne_u32_e32 vcc_lo, 1, v34
	s_cbranch_vccnz .LBB12_247
; %bb.246:
	v_cmp_eq_u32_e32 vcc_lo, 1, v0
	v_dual_cndmask_b32 v28, v3, v5 :: v_dual_cndmask_b32 v29, v2, v4
	v_cmp_eq_u32_e32 vcc_lo, 2, v0
	s_delay_alu instid0(VALU_DEP_2) | instskip(SKIP_1) | instid1(VALU_DEP_2)
	v_dual_cndmask_b32 v28, v28, v7 :: v_dual_cndmask_b32 v29, v29, v6
	v_cmp_eq_u32_e32 vcc_lo, 3, v0
	v_dual_cndmask_b32 v28, v28, v9 :: v_dual_cndmask_b32 v29, v29, v8
	v_cmp_eq_u32_e32 vcc_lo, 4, v0
	s_delay_alu instid0(VALU_DEP_2) | instskip(SKIP_1) | instid1(VALU_DEP_2)
	v_dual_cndmask_b32 v28, v28, v11 :: v_dual_cndmask_b32 v29, v29, v10
	;; [unrolled: 5-line block ×4, first 2 shown]
	v_cmp_eq_u32_e32 vcc_lo, 9, v0
	v_dual_cndmask_b32 v30, v28, v21 :: v_dual_cndmask_b32 v31, v29, v20
	v_cmp_eq_u32_e32 vcc_lo, 10, v0
	ds_load_b64 v[28:29], v94
	v_dual_cndmask_b32 v30, v30, v23 :: v_dual_cndmask_b32 v31, v31, v22
	v_cmp_eq_u32_e32 vcc_lo, 11, v0
	s_delay_alu instid0(VALU_DEP_2) | instskip(NEXT) | instid1(VALU_DEP_3)
	v_cndmask_b32_e32 v30, v30, v25, vcc_lo
	v_cndmask_b32_e32 v32, v31, v24, vcc_lo
	v_cmp_eq_u32_e32 vcc_lo, 12, v0
	s_delay_alu instid0(VALU_DEP_2) | instskip(SKIP_1) | instid1(VALU_DEP_1)
	v_dual_cndmask_b32 v31, v30, v27 :: v_dual_cndmask_b32 v30, v32, v26
	s_waitcnt lgkmcnt(0)
	v_mul_f64 v[28:29], v[30:31], v[28:29]
	s_cbranch_execz .LBB12_248
	s_branch .LBB12_249
.LBB12_247:
                                        ; implicit-def: $vgpr28_vgpr29
.LBB12_248:
	ds_load_b64 v[28:29], v94
.LBB12_249:
	s_mov_b32 s6, exec_lo
	v_cmpx_ne_u32_e32 7, v0
	s_cbranch_execz .LBB12_253
; %bb.250:
	v_lshl_add_u32 v32, v0, 3, 0x78
	v_dual_mov_b32 v31, v1 :: v_dual_mov_b32 v30, v0
	s_mov_b32 s7, 0
.LBB12_251:                             ; =>This Inner Loop Header: Depth=1
	s_delay_alu instid0(VALU_DEP_1) | instskip(NEXT) | instid1(VALU_DEP_2)
	v_add_co_u32 v30, vcc_lo, v30, 1
	v_add_co_ci_u32_e32 v31, vcc_lo, 0, v31, vcc_lo
	s_delay_alu instid0(VALU_DEP_2) | instskip(SKIP_3) | instid1(VALU_DEP_2)
	v_cmp_eq_u32_e32 vcc_lo, 1, v30
	v_cmp_eq_u32_e64 s4, 2, v30
	v_dual_cndmask_b32 v33, v3, v5 :: v_dual_cndmask_b32 v36, v2, v4
	v_cmp_eq_u32_e32 vcc_lo, 3, v30
	v_cndmask_b32_e64 v33, v33, v7, s4
	s_delay_alu instid0(VALU_DEP_3) | instskip(SKIP_1) | instid1(VALU_DEP_2)
	v_cndmask_b32_e64 v36, v36, v6, s4
	v_cmp_eq_u32_e64 s4, 4, v30
	v_dual_cndmask_b32 v33, v33, v9 :: v_dual_cndmask_b32 v36, v36, v8
	v_cmp_eq_u32_e32 vcc_lo, 5, v30
	s_delay_alu instid0(VALU_DEP_2) | instskip(NEXT) | instid1(VALU_DEP_3)
	v_cndmask_b32_e64 v33, v33, v11, s4
	v_cndmask_b32_e64 v36, v36, v10, s4
	v_cmp_eq_u32_e64 s4, 6, v30
	s_delay_alu instid0(VALU_DEP_2) | instskip(SKIP_1) | instid1(VALU_DEP_2)
	v_dual_cndmask_b32 v33, v33, v13 :: v_dual_cndmask_b32 v36, v36, v12
	v_cmp_eq_u32_e32 vcc_lo, 7, v30
	v_cndmask_b32_e64 v33, v33, v15, s4
	s_delay_alu instid0(VALU_DEP_3) | instskip(SKIP_1) | instid1(VALU_DEP_2)
	v_cndmask_b32_e64 v36, v36, v14, s4
	v_cmp_eq_u32_e64 s4, 8, v30
	v_dual_cndmask_b32 v33, v33, v17 :: v_dual_cndmask_b32 v36, v36, v16
	v_cmp_eq_u32_e32 vcc_lo, 9, v30
	s_delay_alu instid0(VALU_DEP_2) | instskip(NEXT) | instid1(VALU_DEP_3)
	v_cndmask_b32_e64 v33, v33, v19, s4
	v_cndmask_b32_e64 v38, v36, v18, s4
	ds_load_b64 v[36:37], v32
	v_cmp_eq_u32_e64 s4, 10, v30
	v_dual_cndmask_b32 v33, v33, v21 :: v_dual_add_nc_u32 v32, 8, v32
	v_cndmask_b32_e32 v38, v38, v20, vcc_lo
	v_cmp_eq_u32_e32 vcc_lo, 11, v30
	s_delay_alu instid0(VALU_DEP_3) | instskip(NEXT) | instid1(VALU_DEP_3)
	v_cndmask_b32_e64 v33, v33, v23, s4
	v_cndmask_b32_e64 v38, v38, v22, s4
	v_cmp_eq_u32_e64 s4, 12, v30
	s_delay_alu instid0(VALU_DEP_2) | instskip(SKIP_1) | instid1(VALU_DEP_2)
	v_dual_cndmask_b32 v33, v33, v25 :: v_dual_cndmask_b32 v38, v38, v24
	v_cmp_lt_u32_e32 vcc_lo, 6, v30
	v_cndmask_b32_e64 v39, v33, v27, s4
	s_delay_alu instid0(VALU_DEP_3) | instskip(SKIP_2) | instid1(VALU_DEP_1)
	v_cndmask_b32_e64 v38, v38, v26, s4
	s_or_b32 s7, vcc_lo, s7
	s_waitcnt lgkmcnt(0)
	v_fma_f64 v[28:29], v[38:39], v[36:37], v[28:29]
	s_and_not1_b32 exec_lo, exec_lo, s7
	s_cbranch_execnz .LBB12_251
; %bb.252:
	s_or_b32 exec_lo, exec_lo, s7
.LBB12_253:
	s_delay_alu instid0(SALU_CYCLE_1)
	s_or_b32 exec_lo, exec_lo, s6
	v_mov_b32_e32 v18, 0
	ds_load_b64 v[18:19], v18 offset:64
	s_waitcnt lgkmcnt(0)
	v_mul_f64 v[18:19], v[28:29], v[18:19]
.LBB12_254:
	s_or_b32 exec_lo, exec_lo, s5
	s_delay_alu instid0(SALU_CYCLE_1)
	s_mov_b32 s4, exec_lo
	ds_store_b64 v94, v[20:21]
	s_waitcnt lgkmcnt(0)
	s_barrier
	buffer_gl0_inv
	v_cmpx_gt_u32_e32 9, v0
	s_cbranch_execz .LBB12_276
; %bb.255:
	v_cmp_ne_u32_e32 vcc_lo, 1, v34
	s_cbranch_vccnz .LBB12_257
; %bb.256:
	v_cmp_eq_u32_e32 vcc_lo, 1, v0
	v_dual_cndmask_b32 v28, v3, v5 :: v_dual_cndmask_b32 v29, v2, v4
	v_cmp_eq_u32_e32 vcc_lo, 2, v0
	s_delay_alu instid0(VALU_DEP_2) | instskip(SKIP_1) | instid1(VALU_DEP_2)
	v_dual_cndmask_b32 v28, v28, v7 :: v_dual_cndmask_b32 v29, v29, v6
	v_cmp_eq_u32_e32 vcc_lo, 3, v0
	v_dual_cndmask_b32 v28, v28, v9 :: v_dual_cndmask_b32 v29, v29, v8
	v_cmp_eq_u32_e32 vcc_lo, 4, v0
	s_delay_alu instid0(VALU_DEP_2) | instskip(SKIP_1) | instid1(VALU_DEP_2)
	v_dual_cndmask_b32 v28, v28, v11 :: v_dual_cndmask_b32 v29, v29, v10
	;; [unrolled: 5-line block ×4, first 2 shown]
	v_cmp_eq_u32_e32 vcc_lo, 9, v0
	v_dual_cndmask_b32 v30, v28, v21 :: v_dual_cndmask_b32 v31, v29, v20
	v_cmp_eq_u32_e32 vcc_lo, 10, v0
	ds_load_b64 v[28:29], v94
	v_dual_cndmask_b32 v30, v30, v23 :: v_dual_cndmask_b32 v31, v31, v22
	v_cmp_eq_u32_e32 vcc_lo, 11, v0
	s_delay_alu instid0(VALU_DEP_2) | instskip(NEXT) | instid1(VALU_DEP_3)
	v_cndmask_b32_e32 v30, v30, v25, vcc_lo
	v_cndmask_b32_e32 v32, v31, v24, vcc_lo
	v_cmp_eq_u32_e32 vcc_lo, 12, v0
	s_delay_alu instid0(VALU_DEP_2) | instskip(SKIP_1) | instid1(VALU_DEP_1)
	v_dual_cndmask_b32 v31, v30, v27 :: v_dual_cndmask_b32 v30, v32, v26
	s_waitcnt lgkmcnt(0)
	v_mul_f64 v[28:29], v[30:31], v[28:29]
	s_cbranch_execz .LBB12_258
	s_branch .LBB12_259
.LBB12_257:
                                        ; implicit-def: $vgpr28_vgpr29
.LBB12_258:
	ds_load_b64 v[28:29], v94
.LBB12_259:
	s_mov_b32 s5, exec_lo
	v_cmpx_ne_u32_e32 8, v0
	s_cbranch_execz .LBB12_275
; %bb.260:
	v_cmp_eq_u32_e32 vcc_lo, 1, v35
	v_dual_cndmask_b32 v30, v3, v5 :: v_dual_cndmask_b32 v31, v2, v4
	v_cmp_eq_u32_e32 vcc_lo, 2, v35
	s_delay_alu instid0(VALU_DEP_2) | instskip(SKIP_1) | instid1(VALU_DEP_2)
	v_dual_cndmask_b32 v30, v30, v7 :: v_dual_cndmask_b32 v31, v31, v6
	v_cmp_eq_u32_e32 vcc_lo, 3, v35
	v_dual_cndmask_b32 v30, v30, v9 :: v_dual_cndmask_b32 v31, v31, v8
	v_cmp_eq_u32_e32 vcc_lo, 4, v35
	s_delay_alu instid0(VALU_DEP_2) | instskip(SKIP_1) | instid1(VALU_DEP_2)
	v_dual_cndmask_b32 v30, v30, v11 :: v_dual_cndmask_b32 v31, v31, v10
	;; [unrolled: 5-line block ×4, first 2 shown]
	v_cmp_eq_u32_e32 vcc_lo, 9, v35
	v_dual_cndmask_b32 v32, v30, v21 :: v_dual_cndmask_b32 v33, v31, v20
	v_cmp_eq_u32_e32 vcc_lo, 10, v35
	ds_load_b64 v[30:31], v94 offset:8
	v_dual_cndmask_b32 v32, v32, v23 :: v_dual_cndmask_b32 v33, v33, v22
	v_cmp_eq_u32_e32 vcc_lo, 11, v35
	s_delay_alu instid0(VALU_DEP_2) | instskip(NEXT) | instid1(VALU_DEP_3)
	v_cndmask_b32_e32 v32, v32, v25, vcc_lo
	v_cndmask_b32_e32 v36, v33, v24, vcc_lo
	v_cmp_eq_u32_e32 vcc_lo, 12, v35
	s_delay_alu instid0(VALU_DEP_3) | instskip(NEXT) | instid1(VALU_DEP_3)
	v_cndmask_b32_e32 v33, v32, v27, vcc_lo
	v_cndmask_b32_e32 v32, v36, v26, vcc_lo
	s_waitcnt lgkmcnt(0)
	s_delay_alu instid0(VALU_DEP_1)
	v_fma_f64 v[28:29], v[32:33], v[30:31], v[28:29]
	s_and_saveexec_b32 s6, s3
	s_cbranch_execz .LBB12_274
; %bb.261:
	v_add_nc_u32_e32 v32, 2, v0
	s_mov_b32 s3, exec_lo
	s_delay_alu instid0(VALU_DEP_1) | instskip(SKIP_2) | instid1(VALU_DEP_2)
	v_cmp_eq_u32_e32 vcc_lo, 1, v32
	v_dual_cndmask_b32 v30, v3, v5 :: v_dual_cndmask_b32 v31, v2, v4
	v_cmp_eq_u32_e32 vcc_lo, 2, v32
	v_dual_cndmask_b32 v31, v31, v6 :: v_dual_cndmask_b32 v30, v30, v7
	v_cmp_eq_u32_e32 vcc_lo, 3, v32
	s_delay_alu instid0(VALU_DEP_2) | instskip(SKIP_1) | instid1(VALU_DEP_2)
	v_dual_cndmask_b32 v31, v31, v8 :: v_dual_cndmask_b32 v30, v30, v9
	v_cmp_eq_u32_e32 vcc_lo, 4, v32
	v_dual_cndmask_b32 v31, v31, v10 :: v_dual_cndmask_b32 v30, v30, v11
	v_cmp_eq_u32_e32 vcc_lo, 5, v32
	s_delay_alu instid0(VALU_DEP_2) | instskip(SKIP_1) | instid1(VALU_DEP_2)
	;; [unrolled: 5-line block ×3, first 2 shown]
	v_dual_cndmask_b32 v31, v31, v16 :: v_dual_cndmask_b32 v30, v30, v17
	v_cmp_eq_u32_e32 vcc_lo, 8, v32
	v_dual_cndmask_b32 v31, v31, v18 :: v_dual_cndmask_b32 v30, v30, v19
	v_cmp_eq_u32_e32 vcc_lo, 9, v32
	s_delay_alu instid0(VALU_DEP_2) | instskip(NEXT) | instid1(VALU_DEP_3)
	v_cndmask_b32_e32 v35, v31, v20, vcc_lo
	v_cndmask_b32_e32 v33, v30, v21, vcc_lo
	v_cmp_eq_u32_e32 vcc_lo, 10, v32
	ds_load_b64 v[30:31], v94 offset:16
	v_cndmask_b32_e32 v33, v33, v23, vcc_lo
	v_cndmask_b32_e32 v35, v35, v22, vcc_lo
	v_cmp_eq_u32_e32 vcc_lo, 11, v32
	s_delay_alu instid0(VALU_DEP_3) | instskip(NEXT) | instid1(VALU_DEP_3)
	v_cndmask_b32_e32 v33, v33, v25, vcc_lo
	v_cndmask_b32_e32 v35, v35, v24, vcc_lo
	v_cmp_eq_u32_e32 vcc_lo, 12, v32
	s_delay_alu instid0(VALU_DEP_2) | instskip(SKIP_1) | instid1(VALU_DEP_1)
	v_dual_cndmask_b32 v32, v35, v26 :: v_dual_cndmask_b32 v33, v33, v27
	s_waitcnt lgkmcnt(0)
	v_fma_f64 v[28:29], v[32:33], v[30:31], v[28:29]
	v_cmpx_ne_u32_e32 6, v0
	s_cbranch_execz .LBB12_273
; %bb.262:
	v_add_nc_u32_e32 v32, 3, v0
	s_delay_alu instid0(VALU_DEP_1) | instskip(SKIP_2) | instid1(VALU_DEP_2)
	v_cmp_eq_u32_e32 vcc_lo, 1, v32
	v_dual_cndmask_b32 v30, v3, v5 :: v_dual_cndmask_b32 v31, v2, v4
	v_cmp_eq_u32_e32 vcc_lo, 2, v32
	v_dual_cndmask_b32 v31, v31, v6 :: v_dual_cndmask_b32 v30, v30, v7
	v_cmp_eq_u32_e32 vcc_lo, 3, v32
	s_delay_alu instid0(VALU_DEP_2) | instskip(SKIP_1) | instid1(VALU_DEP_2)
	v_dual_cndmask_b32 v31, v31, v8 :: v_dual_cndmask_b32 v30, v30, v9
	v_cmp_eq_u32_e32 vcc_lo, 4, v32
	v_dual_cndmask_b32 v31, v31, v10 :: v_dual_cndmask_b32 v30, v30, v11
	v_cmp_eq_u32_e32 vcc_lo, 5, v32
	s_delay_alu instid0(VALU_DEP_2) | instskip(SKIP_1) | instid1(VALU_DEP_2)
	;; [unrolled: 5-line block ×3, first 2 shown]
	v_dual_cndmask_b32 v31, v31, v16 :: v_dual_cndmask_b32 v30, v30, v17
	v_cmp_eq_u32_e32 vcc_lo, 8, v32
	v_dual_cndmask_b32 v31, v31, v18 :: v_dual_cndmask_b32 v30, v30, v19
	v_cmp_eq_u32_e32 vcc_lo, 9, v32
	s_delay_alu instid0(VALU_DEP_2) | instskip(NEXT) | instid1(VALU_DEP_3)
	v_cndmask_b32_e32 v35, v31, v20, vcc_lo
	v_cndmask_b32_e32 v33, v30, v21, vcc_lo
	v_cmp_eq_u32_e32 vcc_lo, 10, v32
	ds_load_b64 v[30:31], v94 offset:24
	v_cndmask_b32_e32 v33, v33, v23, vcc_lo
	v_cndmask_b32_e32 v35, v35, v22, vcc_lo
	v_cmp_eq_u32_e32 vcc_lo, 11, v32
	s_delay_alu instid0(VALU_DEP_3) | instskip(NEXT) | instid1(VALU_DEP_3)
	v_cndmask_b32_e32 v33, v33, v25, vcc_lo
	v_cndmask_b32_e32 v35, v35, v24, vcc_lo
	v_cmp_eq_u32_e32 vcc_lo, 12, v32
	s_delay_alu instid0(VALU_DEP_2) | instskip(SKIP_1) | instid1(VALU_DEP_1)
	v_dual_cndmask_b32 v32, v35, v26 :: v_dual_cndmask_b32 v33, v33, v27
	s_waitcnt lgkmcnt(0)
	v_fma_f64 v[28:29], v[32:33], v[30:31], v[28:29]
	s_and_saveexec_b32 s7, s2
	s_cbranch_execz .LBB12_272
; %bb.263:
	v_add_nc_u32_e32 v32, 4, v0
	s_mov_b32 s2, exec_lo
	s_delay_alu instid0(VALU_DEP_1) | instskip(SKIP_2) | instid1(VALU_DEP_2)
	v_cmp_eq_u32_e32 vcc_lo, 1, v32
	v_dual_cndmask_b32 v30, v3, v5 :: v_dual_cndmask_b32 v31, v2, v4
	v_cmp_eq_u32_e32 vcc_lo, 2, v32
	v_dual_cndmask_b32 v31, v31, v6 :: v_dual_cndmask_b32 v30, v30, v7
	v_cmp_eq_u32_e32 vcc_lo, 3, v32
	s_delay_alu instid0(VALU_DEP_2) | instskip(SKIP_1) | instid1(VALU_DEP_2)
	v_dual_cndmask_b32 v31, v31, v8 :: v_dual_cndmask_b32 v30, v30, v9
	v_cmp_eq_u32_e32 vcc_lo, 4, v32
	v_dual_cndmask_b32 v31, v31, v10 :: v_dual_cndmask_b32 v30, v30, v11
	v_cmp_eq_u32_e32 vcc_lo, 5, v32
	s_delay_alu instid0(VALU_DEP_2) | instskip(SKIP_1) | instid1(VALU_DEP_2)
	;; [unrolled: 5-line block ×3, first 2 shown]
	v_dual_cndmask_b32 v31, v31, v16 :: v_dual_cndmask_b32 v30, v30, v17
	v_cmp_eq_u32_e32 vcc_lo, 8, v32
	v_dual_cndmask_b32 v31, v31, v18 :: v_dual_cndmask_b32 v30, v30, v19
	v_cmp_eq_u32_e32 vcc_lo, 9, v32
	s_delay_alu instid0(VALU_DEP_2) | instskip(NEXT) | instid1(VALU_DEP_3)
	v_cndmask_b32_e32 v35, v31, v20, vcc_lo
	v_cndmask_b32_e32 v33, v30, v21, vcc_lo
	v_cmp_eq_u32_e32 vcc_lo, 10, v32
	ds_load_b64 v[30:31], v94 offset:32
	v_cndmask_b32_e32 v33, v33, v23, vcc_lo
	v_cndmask_b32_e32 v35, v35, v22, vcc_lo
	v_cmp_eq_u32_e32 vcc_lo, 11, v32
	s_delay_alu instid0(VALU_DEP_3) | instskip(NEXT) | instid1(VALU_DEP_3)
	v_cndmask_b32_e32 v33, v33, v25, vcc_lo
	v_cndmask_b32_e32 v35, v35, v24, vcc_lo
	v_cmp_eq_u32_e32 vcc_lo, 12, v32
	s_delay_alu instid0(VALU_DEP_2) | instskip(SKIP_1) | instid1(VALU_DEP_1)
	v_dual_cndmask_b32 v32, v35, v26 :: v_dual_cndmask_b32 v33, v33, v27
	s_waitcnt lgkmcnt(0)
	v_fma_f64 v[28:29], v[32:33], v[30:31], v[28:29]
	v_cmpx_ne_u32_e32 4, v0
	s_cbranch_execz .LBB12_271
; %bb.264:
	v_add_nc_u32_e32 v32, 5, v0
	s_delay_alu instid0(VALU_DEP_1) | instskip(SKIP_2) | instid1(VALU_DEP_2)
	v_cmp_eq_u32_e32 vcc_lo, 1, v32
	v_dual_cndmask_b32 v30, v3, v5 :: v_dual_cndmask_b32 v31, v2, v4
	v_cmp_eq_u32_e32 vcc_lo, 2, v32
	v_dual_cndmask_b32 v31, v31, v6 :: v_dual_cndmask_b32 v30, v30, v7
	v_cmp_eq_u32_e32 vcc_lo, 3, v32
	s_delay_alu instid0(VALU_DEP_2) | instskip(SKIP_1) | instid1(VALU_DEP_2)
	v_dual_cndmask_b32 v31, v31, v8 :: v_dual_cndmask_b32 v30, v30, v9
	v_cmp_eq_u32_e32 vcc_lo, 4, v32
	v_dual_cndmask_b32 v31, v31, v10 :: v_dual_cndmask_b32 v30, v30, v11
	v_cmp_eq_u32_e32 vcc_lo, 5, v32
	s_delay_alu instid0(VALU_DEP_2) | instskip(SKIP_1) | instid1(VALU_DEP_2)
	;; [unrolled: 5-line block ×3, first 2 shown]
	v_dual_cndmask_b32 v31, v31, v16 :: v_dual_cndmask_b32 v30, v30, v17
	v_cmp_eq_u32_e32 vcc_lo, 8, v32
	v_dual_cndmask_b32 v31, v31, v18 :: v_dual_cndmask_b32 v30, v30, v19
	v_cmp_eq_u32_e32 vcc_lo, 9, v32
	s_delay_alu instid0(VALU_DEP_2) | instskip(NEXT) | instid1(VALU_DEP_3)
	v_cndmask_b32_e32 v35, v31, v20, vcc_lo
	v_cndmask_b32_e32 v33, v30, v21, vcc_lo
	v_cmp_eq_u32_e32 vcc_lo, 10, v32
	ds_load_b64 v[30:31], v94 offset:40
	v_cndmask_b32_e32 v33, v33, v23, vcc_lo
	v_cndmask_b32_e32 v35, v35, v22, vcc_lo
	v_cmp_eq_u32_e32 vcc_lo, 11, v32
	s_delay_alu instid0(VALU_DEP_3) | instskip(NEXT) | instid1(VALU_DEP_3)
	v_cndmask_b32_e32 v33, v33, v25, vcc_lo
	v_cndmask_b32_e32 v35, v35, v24, vcc_lo
	v_cmp_eq_u32_e32 vcc_lo, 12, v32
	s_delay_alu instid0(VALU_DEP_2) | instskip(SKIP_1) | instid1(VALU_DEP_1)
	v_dual_cndmask_b32 v32, v35, v26 :: v_dual_cndmask_b32 v33, v33, v27
	s_waitcnt lgkmcnt(0)
	v_fma_f64 v[28:29], v[32:33], v[30:31], v[28:29]
	s_and_saveexec_b32 s8, s1
	s_cbranch_execz .LBB12_270
; %bb.265:
	v_add_nc_u32_e32 v32, 6, v0
	s_mov_b32 s1, exec_lo
	s_delay_alu instid0(VALU_DEP_1) | instskip(SKIP_2) | instid1(VALU_DEP_2)
	v_cmp_eq_u32_e32 vcc_lo, 1, v32
	v_dual_cndmask_b32 v30, v3, v5 :: v_dual_cndmask_b32 v31, v2, v4
	v_cmp_eq_u32_e32 vcc_lo, 2, v32
	v_dual_cndmask_b32 v31, v31, v6 :: v_dual_cndmask_b32 v30, v30, v7
	v_cmp_eq_u32_e32 vcc_lo, 3, v32
	s_delay_alu instid0(VALU_DEP_2) | instskip(SKIP_1) | instid1(VALU_DEP_2)
	v_dual_cndmask_b32 v31, v31, v8 :: v_dual_cndmask_b32 v30, v30, v9
	v_cmp_eq_u32_e32 vcc_lo, 4, v32
	v_dual_cndmask_b32 v31, v31, v10 :: v_dual_cndmask_b32 v30, v30, v11
	v_cmp_eq_u32_e32 vcc_lo, 5, v32
	s_delay_alu instid0(VALU_DEP_2) | instskip(SKIP_1) | instid1(VALU_DEP_2)
	;; [unrolled: 5-line block ×3, first 2 shown]
	v_dual_cndmask_b32 v31, v31, v16 :: v_dual_cndmask_b32 v30, v30, v17
	v_cmp_eq_u32_e32 vcc_lo, 8, v32
	v_dual_cndmask_b32 v31, v31, v18 :: v_dual_cndmask_b32 v30, v30, v19
	v_cmp_eq_u32_e32 vcc_lo, 9, v32
	s_delay_alu instid0(VALU_DEP_2) | instskip(NEXT) | instid1(VALU_DEP_3)
	v_cndmask_b32_e32 v35, v31, v20, vcc_lo
	v_cndmask_b32_e32 v33, v30, v21, vcc_lo
	v_cmp_eq_u32_e32 vcc_lo, 10, v32
	ds_load_b64 v[30:31], v94 offset:48
	v_cndmask_b32_e32 v33, v33, v23, vcc_lo
	v_cndmask_b32_e32 v35, v35, v22, vcc_lo
	v_cmp_eq_u32_e32 vcc_lo, 11, v32
	s_delay_alu instid0(VALU_DEP_3) | instskip(NEXT) | instid1(VALU_DEP_3)
	v_cndmask_b32_e32 v33, v33, v25, vcc_lo
	v_cndmask_b32_e32 v35, v35, v24, vcc_lo
	v_cmp_eq_u32_e32 vcc_lo, 12, v32
	s_delay_alu instid0(VALU_DEP_2) | instskip(SKIP_1) | instid1(VALU_DEP_1)
	v_dual_cndmask_b32 v32, v35, v26 :: v_dual_cndmask_b32 v33, v33, v27
	s_waitcnt lgkmcnt(0)
	v_fma_f64 v[28:29], v[32:33], v[30:31], v[28:29]
	v_cmpx_ne_u32_e32 2, v0
	s_cbranch_execz .LBB12_269
; %bb.266:
	v_add_nc_u32_e32 v30, 7, v0
	s_delay_alu instid0(VALU_DEP_1) | instskip(SKIP_2) | instid1(VALU_DEP_2)
	v_cmp_eq_u32_e32 vcc_lo, 1, v30
	v_dual_cndmask_b32 v31, v3, v5 :: v_dual_cndmask_b32 v32, v2, v4
	v_cmp_eq_u32_e32 vcc_lo, 2, v30
	v_dual_cndmask_b32 v31, v31, v7 :: v_dual_cndmask_b32 v32, v32, v6
	v_cmp_eq_u32_e32 vcc_lo, 3, v30
	s_delay_alu instid0(VALU_DEP_2) | instskip(SKIP_1) | instid1(VALU_DEP_2)
	v_dual_cndmask_b32 v31, v31, v9 :: v_dual_cndmask_b32 v32, v32, v8
	v_cmp_eq_u32_e32 vcc_lo, 4, v30
	v_dual_cndmask_b32 v31, v31, v11 :: v_dual_cndmask_b32 v32, v32, v10
	v_cmp_eq_u32_e32 vcc_lo, 5, v30
	s_delay_alu instid0(VALU_DEP_2) | instskip(SKIP_1) | instid1(VALU_DEP_2)
	;; [unrolled: 5-line block ×3, first 2 shown]
	v_dual_cndmask_b32 v31, v31, v17 :: v_dual_cndmask_b32 v32, v32, v16
	v_cmp_eq_u32_e32 vcc_lo, 8, v30
	v_dual_cndmask_b32 v31, v31, v19 :: v_dual_cndmask_b32 v32, v32, v18
	v_cmp_eq_u32_e32 vcc_lo, 9, v30
	s_delay_alu instid0(VALU_DEP_2) | instskip(SKIP_4) | instid1(VALU_DEP_2)
	v_dual_cndmask_b32 v31, v31, v21 :: v_dual_cndmask_b32 v32, v32, v20
	v_cmp_eq_u32_e32 vcc_lo, 10, v30
	ds_load_b64 v[20:21], v94 offset:56
	v_dual_cndmask_b32 v31, v31, v23 :: v_dual_cndmask_b32 v32, v32, v22
	v_cmp_eq_u32_e32 vcc_lo, 11, v30
	v_dual_cndmask_b32 v31, v31, v25 :: v_dual_cndmask_b32 v32, v32, v24
	v_cmp_eq_u32_e32 vcc_lo, 12, v30
	s_delay_alu instid0(VALU_DEP_2) | instskip(SKIP_1) | instid1(VALU_DEP_1)
	v_dual_cndmask_b32 v31, v31, v27 :: v_dual_cndmask_b32 v30, v32, v26
	s_waitcnt lgkmcnt(0)
	v_fma_f64 v[28:29], v[30:31], v[20:21], v[28:29]
	s_and_saveexec_b32 s9, s0
	s_cbranch_execz .LBB12_268
; %bb.267:
	ds_load_b64 v[20:21], v94 offset:64
	s_waitcnt lgkmcnt(0)
	v_fma_f64 v[28:29], v[18:19], v[20:21], v[28:29]
.LBB12_268:
	s_or_b32 exec_lo, exec_lo, s9
.LBB12_269:
	s_delay_alu instid0(SALU_CYCLE_1)
	s_or_b32 exec_lo, exec_lo, s1
.LBB12_270:
	s_delay_alu instid0(SALU_CYCLE_1)
	s_or_b32 exec_lo, exec_lo, s8
.LBB12_271:
	s_delay_alu instid0(SALU_CYCLE_1)
	s_or_b32 exec_lo, exec_lo, s2
.LBB12_272:
	s_delay_alu instid0(SALU_CYCLE_1)
	s_or_b32 exec_lo, exec_lo, s7
.LBB12_273:
	s_delay_alu instid0(SALU_CYCLE_1)
	s_or_b32 exec_lo, exec_lo, s3
.LBB12_274:
	s_delay_alu instid0(SALU_CYCLE_1)
	s_or_b32 exec_lo, exec_lo, s6
.LBB12_275:
	s_delay_alu instid0(SALU_CYCLE_1)
	s_or_b32 exec_lo, exec_lo, s5
	v_mov_b32_e32 v20, 0
	ds_load_b64 v[20:21], v20 offset:72
	s_waitcnt lgkmcnt(0)
	v_mul_f64 v[20:21], v[28:29], v[20:21]
.LBB12_276:
	s_or_b32 exec_lo, exec_lo, s4
	s_delay_alu instid0(SALU_CYCLE_1)
	s_mov_b32 s1, exec_lo
	ds_store_b64 v94, v[22:23]
	s_waitcnt lgkmcnt(0)
	s_barrier
	buffer_gl0_inv
	v_cmpx_gt_u32_e32 10, v0
	s_cbranch_execz .LBB12_286
; %bb.277:
	v_cmp_ne_u32_e32 vcc_lo, 1, v34
	s_cbranch_vccnz .LBB12_279
; %bb.278:
	v_cmp_eq_u32_e32 vcc_lo, 1, v0
	v_dual_cndmask_b32 v28, v3, v5 :: v_dual_cndmask_b32 v29, v2, v4
	v_cmp_eq_u32_e32 vcc_lo, 2, v0
	s_delay_alu instid0(VALU_DEP_2) | instskip(SKIP_1) | instid1(VALU_DEP_2)
	v_dual_cndmask_b32 v28, v28, v7 :: v_dual_cndmask_b32 v29, v29, v6
	v_cmp_eq_u32_e32 vcc_lo, 3, v0
	v_dual_cndmask_b32 v28, v28, v9 :: v_dual_cndmask_b32 v29, v29, v8
	v_cmp_eq_u32_e32 vcc_lo, 4, v0
	s_delay_alu instid0(VALU_DEP_2) | instskip(SKIP_1) | instid1(VALU_DEP_2)
	v_dual_cndmask_b32 v28, v28, v11 :: v_dual_cndmask_b32 v29, v29, v10
	;; [unrolled: 5-line block ×4, first 2 shown]
	v_cmp_eq_u32_e32 vcc_lo, 9, v0
	v_dual_cndmask_b32 v30, v28, v21 :: v_dual_cndmask_b32 v31, v29, v20
	v_cmp_eq_u32_e32 vcc_lo, 10, v0
	ds_load_b64 v[28:29], v94
	v_dual_cndmask_b32 v30, v30, v23 :: v_dual_cndmask_b32 v31, v31, v22
	v_cmp_eq_u32_e32 vcc_lo, 11, v0
	s_delay_alu instid0(VALU_DEP_2) | instskip(NEXT) | instid1(VALU_DEP_3)
	v_cndmask_b32_e32 v30, v30, v25, vcc_lo
	v_cndmask_b32_e32 v32, v31, v24, vcc_lo
	v_cmp_eq_u32_e32 vcc_lo, 12, v0
	s_delay_alu instid0(VALU_DEP_2) | instskip(SKIP_1) | instid1(VALU_DEP_1)
	v_dual_cndmask_b32 v31, v30, v27 :: v_dual_cndmask_b32 v30, v32, v26
	s_waitcnt lgkmcnt(0)
	v_mul_f64 v[28:29], v[30:31], v[28:29]
	s_cbranch_execz .LBB12_280
	s_branch .LBB12_281
.LBB12_279:
                                        ; implicit-def: $vgpr28_vgpr29
.LBB12_280:
	ds_load_b64 v[28:29], v94
.LBB12_281:
	s_mov_b32 s2, exec_lo
	v_cmpx_ne_u32_e32 9, v0
	s_cbranch_execz .LBB12_285
; %bb.282:
	v_lshl_add_u32 v32, v0, 3, 0x78
	v_dual_mov_b32 v31, v1 :: v_dual_mov_b32 v30, v0
	s_mov_b32 s3, 0
.LBB12_283:                             ; =>This Inner Loop Header: Depth=1
	s_delay_alu instid0(VALU_DEP_1) | instskip(NEXT) | instid1(VALU_DEP_2)
	v_add_co_u32 v30, vcc_lo, v30, 1
	v_add_co_ci_u32_e32 v31, vcc_lo, 0, v31, vcc_lo
	s_delay_alu instid0(VALU_DEP_2) | instskip(SKIP_4) | instid1(VALU_DEP_3)
	v_cmp_eq_u32_e32 vcc_lo, 1, v30
	v_cmp_eq_u32_e64 s0, 2, v30
	v_cndmask_b32_e32 v33, v3, v5, vcc_lo
	v_cndmask_b32_e32 v35, v2, v4, vcc_lo
	v_cmp_eq_u32_e32 vcc_lo, 3, v30
	v_cndmask_b32_e64 v33, v33, v7, s0
	s_delay_alu instid0(VALU_DEP_3) | instskip(SKIP_1) | instid1(VALU_DEP_3)
	v_cndmask_b32_e64 v35, v35, v6, s0
	v_cmp_eq_u32_e64 s0, 4, v30
	v_cndmask_b32_e32 v33, v33, v9, vcc_lo
	s_delay_alu instid0(VALU_DEP_3) | instskip(SKIP_1) | instid1(VALU_DEP_3)
	v_cndmask_b32_e32 v35, v35, v8, vcc_lo
	v_cmp_eq_u32_e32 vcc_lo, 5, v30
	v_cndmask_b32_e64 v33, v33, v11, s0
	s_delay_alu instid0(VALU_DEP_3) | instskip(SKIP_1) | instid1(VALU_DEP_3)
	v_cndmask_b32_e64 v35, v35, v10, s0
	v_cmp_eq_u32_e64 s0, 6, v30
	v_cndmask_b32_e32 v33, v33, v13, vcc_lo
	s_delay_alu instid0(VALU_DEP_3) | instskip(SKIP_1) | instid1(VALU_DEP_3)
	;; [unrolled: 8-line block ×3, first 2 shown]
	v_cndmask_b32_e32 v35, v35, v16, vcc_lo
	v_cmp_eq_u32_e32 vcc_lo, 9, v30
	v_cndmask_b32_e64 v33, v33, v19, s0
	s_delay_alu instid0(VALU_DEP_3)
	v_cndmask_b32_e64 v37, v35, v18, s0
	ds_load_b64 v[35:36], v32
	v_add_nc_u32_e32 v32, 8, v32
	v_cmp_eq_u32_e64 s0, 10, v30
	v_cndmask_b32_e32 v33, v33, v21, vcc_lo
	v_cndmask_b32_e32 v37, v37, v20, vcc_lo
	v_cmp_eq_u32_e32 vcc_lo, 11, v30
	s_delay_alu instid0(VALU_DEP_3) | instskip(NEXT) | instid1(VALU_DEP_3)
	v_cndmask_b32_e64 v33, v33, v23, s0
	v_cndmask_b32_e64 v37, v37, v22, s0
	v_cmp_eq_u32_e64 s0, 12, v30
	s_delay_alu instid0(VALU_DEP_3) | instskip(NEXT) | instid1(VALU_DEP_3)
	v_cndmask_b32_e32 v33, v33, v25, vcc_lo
	v_cndmask_b32_e32 v37, v37, v24, vcc_lo
	v_cmp_lt_u32_e32 vcc_lo, 8, v30
	s_delay_alu instid0(VALU_DEP_3) | instskip(NEXT) | instid1(VALU_DEP_3)
	v_cndmask_b32_e64 v38, v33, v27, s0
	v_cndmask_b32_e64 v37, v37, v26, s0
	s_or_b32 s3, vcc_lo, s3
	s_waitcnt lgkmcnt(0)
	s_delay_alu instid0(VALU_DEP_1)
	v_fma_f64 v[28:29], v[37:38], v[35:36], v[28:29]
	s_and_not1_b32 exec_lo, exec_lo, s3
	s_cbranch_execnz .LBB12_283
; %bb.284:
	s_or_b32 exec_lo, exec_lo, s3
.LBB12_285:
	s_delay_alu instid0(SALU_CYCLE_1)
	s_or_b32 exec_lo, exec_lo, s2
	v_mov_b32_e32 v22, 0
	ds_load_b64 v[22:23], v22 offset:80
	s_waitcnt lgkmcnt(0)
	v_mul_f64 v[22:23], v[28:29], v[22:23]
.LBB12_286:
	s_or_b32 exec_lo, exec_lo, s1
	v_cmp_gt_u32_e64 s0, 11, v0
	ds_store_b64 v94, v[24:25]
	s_waitcnt lgkmcnt(0)
	s_barrier
	buffer_gl0_inv
	s_and_saveexec_b32 s2, s0
	s_cbranch_execz .LBB12_296
; %bb.287:
	v_cmp_ne_u32_e32 vcc_lo, 1, v34
	s_cbranch_vccnz .LBB12_289
; %bb.288:
	v_cmp_eq_u32_e32 vcc_lo, 1, v0
	v_dual_cndmask_b32 v28, v3, v5 :: v_dual_cndmask_b32 v29, v2, v4
	v_cmp_eq_u32_e32 vcc_lo, 2, v0
	s_delay_alu instid0(VALU_DEP_2) | instskip(SKIP_1) | instid1(VALU_DEP_2)
	v_dual_cndmask_b32 v28, v28, v7 :: v_dual_cndmask_b32 v29, v29, v6
	v_cmp_eq_u32_e32 vcc_lo, 3, v0
	v_dual_cndmask_b32 v28, v28, v9 :: v_dual_cndmask_b32 v29, v29, v8
	v_cmp_eq_u32_e32 vcc_lo, 4, v0
	s_delay_alu instid0(VALU_DEP_2) | instskip(SKIP_1) | instid1(VALU_DEP_2)
	v_dual_cndmask_b32 v28, v28, v11 :: v_dual_cndmask_b32 v29, v29, v10
	;; [unrolled: 5-line block ×4, first 2 shown]
	v_cmp_eq_u32_e32 vcc_lo, 9, v0
	v_dual_cndmask_b32 v30, v28, v21 :: v_dual_cndmask_b32 v31, v29, v20
	v_cmp_eq_u32_e32 vcc_lo, 10, v0
	ds_load_b64 v[28:29], v94
	v_dual_cndmask_b32 v30, v30, v23 :: v_dual_cndmask_b32 v31, v31, v22
	v_cmp_eq_u32_e32 vcc_lo, 11, v0
	s_delay_alu instid0(VALU_DEP_2) | instskip(NEXT) | instid1(VALU_DEP_3)
	v_cndmask_b32_e32 v30, v30, v25, vcc_lo
	v_cndmask_b32_e32 v32, v31, v24, vcc_lo
	v_cmp_eq_u32_e32 vcc_lo, 12, v0
	s_delay_alu instid0(VALU_DEP_2) | instskip(SKIP_1) | instid1(VALU_DEP_1)
	v_dual_cndmask_b32 v31, v30, v27 :: v_dual_cndmask_b32 v30, v32, v26
	s_waitcnt lgkmcnt(0)
	v_mul_f64 v[28:29], v[30:31], v[28:29]
	s_cbranch_execz .LBB12_290
	s_branch .LBB12_291
.LBB12_289:
                                        ; implicit-def: $vgpr28_vgpr29
.LBB12_290:
	ds_load_b64 v[28:29], v94
.LBB12_291:
	s_mov_b32 s3, exec_lo
	v_cmpx_ne_u32_e32 10, v0
	s_cbranch_execz .LBB12_295
; %bb.292:
	v_lshl_add_u32 v32, v0, 3, 0x78
	v_dual_mov_b32 v31, v1 :: v_dual_mov_b32 v30, v0
	s_mov_b32 s4, 0
.LBB12_293:                             ; =>This Inner Loop Header: Depth=1
	s_delay_alu instid0(VALU_DEP_1) | instskip(NEXT) | instid1(VALU_DEP_2)
	v_add_co_u32 v30, vcc_lo, v30, 1
	v_add_co_ci_u32_e32 v31, vcc_lo, 0, v31, vcc_lo
	s_delay_alu instid0(VALU_DEP_2) | instskip(SKIP_4) | instid1(VALU_DEP_3)
	v_cmp_eq_u32_e32 vcc_lo, 1, v30
	v_cmp_eq_u32_e64 s1, 2, v30
	v_cndmask_b32_e32 v33, v3, v5, vcc_lo
	v_cndmask_b32_e32 v35, v2, v4, vcc_lo
	v_cmp_eq_u32_e32 vcc_lo, 3, v30
	v_cndmask_b32_e64 v33, v33, v7, s1
	s_delay_alu instid0(VALU_DEP_3) | instskip(SKIP_1) | instid1(VALU_DEP_3)
	v_cndmask_b32_e64 v35, v35, v6, s1
	v_cmp_eq_u32_e64 s1, 4, v30
	v_cndmask_b32_e32 v33, v33, v9, vcc_lo
	s_delay_alu instid0(VALU_DEP_3) | instskip(SKIP_1) | instid1(VALU_DEP_3)
	v_cndmask_b32_e32 v35, v35, v8, vcc_lo
	v_cmp_eq_u32_e32 vcc_lo, 5, v30
	v_cndmask_b32_e64 v33, v33, v11, s1
	s_delay_alu instid0(VALU_DEP_3) | instskip(SKIP_1) | instid1(VALU_DEP_3)
	v_cndmask_b32_e64 v35, v35, v10, s1
	v_cmp_eq_u32_e64 s1, 6, v30
	v_cndmask_b32_e32 v33, v33, v13, vcc_lo
	s_delay_alu instid0(VALU_DEP_3) | instskip(SKIP_1) | instid1(VALU_DEP_3)
	;; [unrolled: 8-line block ×3, first 2 shown]
	v_cndmask_b32_e32 v35, v35, v16, vcc_lo
	v_cmp_eq_u32_e32 vcc_lo, 9, v30
	v_cndmask_b32_e64 v33, v33, v19, s1
	s_delay_alu instid0(VALU_DEP_3)
	v_cndmask_b32_e64 v37, v35, v18, s1
	ds_load_b64 v[35:36], v32
	v_add_nc_u32_e32 v32, 8, v32
	v_cmp_eq_u32_e64 s1, 10, v30
	v_cndmask_b32_e32 v33, v33, v21, vcc_lo
	v_cndmask_b32_e32 v37, v37, v20, vcc_lo
	v_cmp_eq_u32_e32 vcc_lo, 11, v30
	s_delay_alu instid0(VALU_DEP_3) | instskip(NEXT) | instid1(VALU_DEP_3)
	v_cndmask_b32_e64 v33, v33, v23, s1
	v_cndmask_b32_e64 v37, v37, v22, s1
	v_cmp_eq_u32_e64 s1, 12, v30
	s_delay_alu instid0(VALU_DEP_3) | instskip(NEXT) | instid1(VALU_DEP_3)
	v_cndmask_b32_e32 v33, v33, v25, vcc_lo
	v_cndmask_b32_e32 v37, v37, v24, vcc_lo
	v_cmp_lt_u32_e32 vcc_lo, 9, v30
	s_delay_alu instid0(VALU_DEP_3) | instskip(NEXT) | instid1(VALU_DEP_3)
	v_cndmask_b32_e64 v38, v33, v27, s1
	v_cndmask_b32_e64 v37, v37, v26, s1
	s_or_b32 s4, vcc_lo, s4
	s_waitcnt lgkmcnt(0)
	s_delay_alu instid0(VALU_DEP_1)
	v_fma_f64 v[28:29], v[37:38], v[35:36], v[28:29]
	s_and_not1_b32 exec_lo, exec_lo, s4
	s_cbranch_execnz .LBB12_293
; %bb.294:
	s_or_b32 exec_lo, exec_lo, s4
.LBB12_295:
	s_delay_alu instid0(SALU_CYCLE_1)
	s_or_b32 exec_lo, exec_lo, s3
	v_mov_b32_e32 v24, 0
	ds_load_b64 v[24:25], v24 offset:88
	s_waitcnt lgkmcnt(0)
	v_mul_f64 v[24:25], v[28:29], v[24:25]
.LBB12_296:
	s_or_b32 exec_lo, exec_lo, s2
	s_delay_alu instid0(SALU_CYCLE_1)
	s_mov_b32 s1, exec_lo
	ds_store_b64 v94, v[26:27]
	s_waitcnt lgkmcnt(0)
	s_barrier
	buffer_gl0_inv
	v_cmpx_ne_u32_e32 12, v0
	s_cbranch_execz .LBB12_306
; %bb.297:
	v_cmp_ne_u32_e32 vcc_lo, 1, v34
	s_cbranch_vccnz .LBB12_299
; %bb.298:
	v_cmp_eq_u32_e32 vcc_lo, 1, v0
	v_dual_cndmask_b32 v28, v3, v5 :: v_dual_cndmask_b32 v29, v2, v4
	v_cmp_eq_u32_e32 vcc_lo, 2, v0
	s_delay_alu instid0(VALU_DEP_2) | instskip(SKIP_1) | instid1(VALU_DEP_2)
	v_dual_cndmask_b32 v28, v28, v7 :: v_dual_cndmask_b32 v29, v29, v6
	v_cmp_eq_u32_e32 vcc_lo, 3, v0
	v_dual_cndmask_b32 v28, v28, v9 :: v_dual_cndmask_b32 v29, v29, v8
	v_cmp_eq_u32_e32 vcc_lo, 4, v0
	s_delay_alu instid0(VALU_DEP_2) | instskip(SKIP_1) | instid1(VALU_DEP_2)
	v_dual_cndmask_b32 v28, v28, v11 :: v_dual_cndmask_b32 v29, v29, v10
	;; [unrolled: 5-line block ×4, first 2 shown]
	v_cmp_eq_u32_e32 vcc_lo, 9, v0
	v_dual_cndmask_b32 v30, v28, v21 :: v_dual_cndmask_b32 v31, v29, v20
	v_cmp_eq_u32_e32 vcc_lo, 10, v0
	ds_load_b64 v[28:29], v94
	v_dual_cndmask_b32 v30, v30, v23 :: v_dual_cndmask_b32 v31, v31, v22
	v_cmp_eq_u32_e32 vcc_lo, 11, v0
	s_delay_alu instid0(VALU_DEP_2) | instskip(NEXT) | instid1(VALU_DEP_3)
	v_cndmask_b32_e32 v30, v30, v25, vcc_lo
	v_cndmask_b32_e32 v32, v31, v24, vcc_lo
	v_cmp_eq_u32_e32 vcc_lo, 12, v0
	s_delay_alu instid0(VALU_DEP_2) | instskip(SKIP_1) | instid1(VALU_DEP_1)
	v_dual_cndmask_b32 v31, v30, v27 :: v_dual_cndmask_b32 v30, v32, v26
	s_waitcnt lgkmcnt(0)
	v_mul_f64 v[28:29], v[30:31], v[28:29]
	s_cbranch_execz .LBB12_300
	s_branch .LBB12_301
.LBB12_299:
                                        ; implicit-def: $vgpr28_vgpr29
.LBB12_300:
	ds_load_b64 v[28:29], v94
.LBB12_301:
	s_and_saveexec_b32 s2, s0
	s_cbranch_execz .LBB12_305
; %bb.302:
	v_lshl_add_u32 v30, v0, 3, 0x78
	s_mov_b32 s3, 0
.LBB12_303:                             ; =>This Inner Loop Header: Depth=1
	v_add_co_u32 v0, vcc_lo, v0, 1
	v_add_co_ci_u32_e32 v1, vcc_lo, 0, v1, vcc_lo
	s_delay_alu instid0(VALU_DEP_2) | instskip(SKIP_3) | instid1(VALU_DEP_2)
	v_cmp_eq_u32_e32 vcc_lo, 1, v0
	v_cmp_eq_u32_e64 s0, 2, v0
	v_dual_cndmask_b32 v31, v3, v5 :: v_dual_cndmask_b32 v32, v2, v4
	v_cmp_eq_u32_e32 vcc_lo, 3, v0
	v_cndmask_b32_e64 v31, v31, v7, s0
	s_delay_alu instid0(VALU_DEP_3) | instskip(SKIP_1) | instid1(VALU_DEP_2)
	v_cndmask_b32_e64 v32, v32, v6, s0
	v_cmp_eq_u32_e64 s0, 4, v0
	v_dual_cndmask_b32 v31, v31, v9 :: v_dual_cndmask_b32 v32, v32, v8
	v_cmp_eq_u32_e32 vcc_lo, 5, v0
	s_delay_alu instid0(VALU_DEP_2) | instskip(NEXT) | instid1(VALU_DEP_3)
	v_cndmask_b32_e64 v31, v31, v11, s0
	v_cndmask_b32_e64 v32, v32, v10, s0
	v_cmp_eq_u32_e64 s0, 6, v0
	s_delay_alu instid0(VALU_DEP_2) | instskip(SKIP_1) | instid1(VALU_DEP_2)
	v_dual_cndmask_b32 v31, v31, v13 :: v_dual_cndmask_b32 v32, v32, v12
	v_cmp_eq_u32_e32 vcc_lo, 7, v0
	v_cndmask_b32_e64 v31, v31, v15, s0
	s_delay_alu instid0(VALU_DEP_3) | instskip(SKIP_1) | instid1(VALU_DEP_2)
	v_cndmask_b32_e64 v32, v32, v14, s0
	v_cmp_eq_u32_e64 s0, 8, v0
	v_dual_cndmask_b32 v31, v31, v17 :: v_dual_cndmask_b32 v32, v32, v16
	v_cmp_eq_u32_e32 vcc_lo, 9, v0
	s_delay_alu instid0(VALU_DEP_2) | instskip(NEXT) | instid1(VALU_DEP_3)
	v_cndmask_b32_e64 v33, v31, v19, s0
	v_cndmask_b32_e64 v34, v32, v18, s0
	ds_load_b64 v[31:32], v30
	v_cmp_eq_u32_e64 s0, 10, v0
	v_dual_cndmask_b32 v33, v33, v21 :: v_dual_add_nc_u32 v30, 8, v30
	v_cndmask_b32_e32 v34, v34, v20, vcc_lo
	v_cmp_eq_u32_e32 vcc_lo, 11, v0
	s_delay_alu instid0(VALU_DEP_3) | instskip(NEXT) | instid1(VALU_DEP_3)
	v_cndmask_b32_e64 v33, v33, v23, s0
	v_cndmask_b32_e64 v34, v34, v22, s0
	v_cmp_eq_u32_e64 s0, 12, v0
	s_delay_alu instid0(VALU_DEP_3) | instskip(NEXT) | instid1(VALU_DEP_3)
	v_cndmask_b32_e32 v33, v33, v25, vcc_lo
	v_cndmask_b32_e32 v35, v34, v24, vcc_lo
	v_cmp_lt_u32_e32 vcc_lo, 10, v0
	s_delay_alu instid0(VALU_DEP_3) | instskip(NEXT) | instid1(VALU_DEP_3)
	v_cndmask_b32_e64 v34, v33, v27, s0
	v_cndmask_b32_e64 v33, v35, v26, s0
	s_or_b32 s3, vcc_lo, s3
	s_waitcnt lgkmcnt(0)
	s_delay_alu instid0(VALU_DEP_1)
	v_fma_f64 v[28:29], v[33:34], v[31:32], v[28:29]
	s_and_not1_b32 exec_lo, exec_lo, s3
	s_cbranch_execnz .LBB12_303
; %bb.304:
	s_or_b32 exec_lo, exec_lo, s3
.LBB12_305:
	s_delay_alu instid0(SALU_CYCLE_1)
	s_or_b32 exec_lo, exec_lo, s2
	v_mov_b32_e32 v0, 0
	ds_load_b64 v[0:1], v0 offset:96
	s_waitcnt lgkmcnt(0)
	v_mul_f64 v[26:27], v[28:29], v[0:1]
.LBB12_306:
	s_or_b32 exec_lo, exec_lo, s1
	v_dual_mov_b32 v65, v33 :: v_dual_mov_b32 v64, v32
	v_dual_mov_b32 v63, v31 :: v_dual_mov_b32 v62, v30
	;; [unrolled: 1-line block ×3, first 2 shown]
	s_delay_alu instid0(VALU_DEP_4)
	v_dual_mov_b32 v59, v27 :: v_dual_mov_b32 v58, v26
	v_dual_mov_b32 v57, v25 :: v_dual_mov_b32 v56, v24
	;; [unrolled: 1-line block ×13, first 2 shown]
.LBB12_307:
	s_clause 0xc
	global_store_b64 v[68:69], v[34:35], off
	global_store_b64 v[70:71], v[36:37], off
	;; [unrolled: 1-line block ×13, first 2 shown]
.LBB12_308:
	s_nop 0
	s_sendmsg sendmsg(MSG_DEALLOC_VGPRS)
	s_endpgm
	.section	.rodata,"a",@progbits
	.p2align	6, 0x0
	.amdhsa_kernel _ZN9rocsolver6v33100L18trti2_kernel_smallILi13EdPdEEv13rocblas_fill_17rocblas_diagonal_T1_iil
		.amdhsa_group_segment_fixed_size 216
		.amdhsa_private_segment_fixed_size 0
		.amdhsa_kernarg_size 32
		.amdhsa_user_sgpr_count 15
		.amdhsa_user_sgpr_dispatch_ptr 0
		.amdhsa_user_sgpr_queue_ptr 0
		.amdhsa_user_sgpr_kernarg_segment_ptr 1
		.amdhsa_user_sgpr_dispatch_id 0
		.amdhsa_user_sgpr_private_segment_size 0
		.amdhsa_wavefront_size32 1
		.amdhsa_uses_dynamic_stack 0
		.amdhsa_enable_private_segment 0
		.amdhsa_system_sgpr_workgroup_id_x 1
		.amdhsa_system_sgpr_workgroup_id_y 0
		.amdhsa_system_sgpr_workgroup_id_z 0
		.amdhsa_system_sgpr_workgroup_info 0
		.amdhsa_system_vgpr_workitem_id 0
		.amdhsa_next_free_vgpr 108
		.amdhsa_next_free_sgpr 24
		.amdhsa_reserve_vcc 1
		.amdhsa_float_round_mode_32 0
		.amdhsa_float_round_mode_16_64 0
		.amdhsa_float_denorm_mode_32 3
		.amdhsa_float_denorm_mode_16_64 3
		.amdhsa_dx10_clamp 1
		.amdhsa_ieee_mode 1
		.amdhsa_fp16_overflow 0
		.amdhsa_workgroup_processor_mode 1
		.amdhsa_memory_ordered 1
		.amdhsa_forward_progress 0
		.amdhsa_shared_vgpr_count 0
		.amdhsa_exception_fp_ieee_invalid_op 0
		.amdhsa_exception_fp_denorm_src 0
		.amdhsa_exception_fp_ieee_div_zero 0
		.amdhsa_exception_fp_ieee_overflow 0
		.amdhsa_exception_fp_ieee_underflow 0
		.amdhsa_exception_fp_ieee_inexact 0
		.amdhsa_exception_int_div_zero 0
	.end_amdhsa_kernel
	.section	.text._ZN9rocsolver6v33100L18trti2_kernel_smallILi13EdPdEEv13rocblas_fill_17rocblas_diagonal_T1_iil,"axG",@progbits,_ZN9rocsolver6v33100L18trti2_kernel_smallILi13EdPdEEv13rocblas_fill_17rocblas_diagonal_T1_iil,comdat
.Lfunc_end12:
	.size	_ZN9rocsolver6v33100L18trti2_kernel_smallILi13EdPdEEv13rocblas_fill_17rocblas_diagonal_T1_iil, .Lfunc_end12-_ZN9rocsolver6v33100L18trti2_kernel_smallILi13EdPdEEv13rocblas_fill_17rocblas_diagonal_T1_iil
                                        ; -- End function
	.section	.AMDGPU.csdata,"",@progbits
; Kernel info:
; codeLenInByte = 21036
; NumSgprs: 26
; NumVgprs: 108
; ScratchSize: 0
; MemoryBound: 0
; FloatMode: 240
; IeeeMode: 1
; LDSByteSize: 216 bytes/workgroup (compile time only)
; SGPRBlocks: 3
; VGPRBlocks: 13
; NumSGPRsForWavesPerEU: 26
; NumVGPRsForWavesPerEU: 108
; Occupancy: 12
; WaveLimiterHint : 0
; COMPUTE_PGM_RSRC2:SCRATCH_EN: 0
; COMPUTE_PGM_RSRC2:USER_SGPR: 15
; COMPUTE_PGM_RSRC2:TRAP_HANDLER: 0
; COMPUTE_PGM_RSRC2:TGID_X_EN: 1
; COMPUTE_PGM_RSRC2:TGID_Y_EN: 0
; COMPUTE_PGM_RSRC2:TGID_Z_EN: 0
; COMPUTE_PGM_RSRC2:TIDIG_COMP_CNT: 0
	.section	.text._ZN9rocsolver6v33100L18trti2_kernel_smallILi14EdPdEEv13rocblas_fill_17rocblas_diagonal_T1_iil,"axG",@progbits,_ZN9rocsolver6v33100L18trti2_kernel_smallILi14EdPdEEv13rocblas_fill_17rocblas_diagonal_T1_iil,comdat
	.globl	_ZN9rocsolver6v33100L18trti2_kernel_smallILi14EdPdEEv13rocblas_fill_17rocblas_diagonal_T1_iil ; -- Begin function _ZN9rocsolver6v33100L18trti2_kernel_smallILi14EdPdEEv13rocblas_fill_17rocblas_diagonal_T1_iil
	.p2align	8
	.type	_ZN9rocsolver6v33100L18trti2_kernel_smallILi14EdPdEEv13rocblas_fill_17rocblas_diagonal_T1_iil,@function
_ZN9rocsolver6v33100L18trti2_kernel_smallILi14EdPdEEv13rocblas_fill_17rocblas_diagonal_T1_iil: ; @_ZN9rocsolver6v33100L18trti2_kernel_smallILi14EdPdEEv13rocblas_fill_17rocblas_diagonal_T1_iil
; %bb.0:
	s_mov_b32 s2, exec_lo
	v_cmpx_gt_u32_e32 14, v0
	s_cbranch_execz .LBB13_334
; %bb.1:
	s_load_b256 s[16:23], s[0:1], 0x0
	s_ashr_i32 s2, s15, 31
	v_lshlrev_b32_e32 v36, 3, v0
	v_mov_b32_e32 v34, 0
	v_mov_b32_e32 v35, 0xbff00000
	s_waitcnt lgkmcnt(0)
	v_add3_u32 v1, s21, s21, v0
	s_mul_i32 s3, s15, s23
	s_mul_hi_u32 s4, s15, s22
	s_mul_i32 s5, s2, s22
	s_add_i32 s3, s4, s3
	v_add_nc_u32_e32 v3, s21, v1
	v_ashrrev_i32_e32 v2, 31, v1
	s_mul_i32 s2, s15, s22
	s_add_i32 s3, s3, s5
	s_ashr_i32 s1, s20, 31
	v_add_nc_u32_e32 v5, s21, v3
	s_lshl_b64 s[2:3], s[2:3], 3
	s_mov_b32 s0, s20
	v_lshlrev_b64 v[1:2], 3, v[1:2]
	s_add_u32 s2, s18, s2
	s_addc_u32 s3, s19, s3
	s_lshl_b64 s[0:1], s[0:1], 3
	v_ashrrev_i32_e32 v6, 31, v5
	v_ashrrev_i32_e32 v4, 31, v3
	s_add_u32 s0, s2, s0
	s_addc_u32 s1, s3, s1
	v_add_co_u32 v66, vcc_lo, s0, v1
	v_add_co_u32 v68, s2, s0, v36
	s_mov_b32 s4, s21
	s_ashr_i32 s5, s21, 31
	v_add_co_ci_u32_e32 v67, vcc_lo, s1, v2, vcc_lo
	v_lshlrev_b64 v[1:2], 3, v[5:6]
	v_add_nc_u32_e32 v5, s21, v5
	v_add_co_ci_u32_e64 v69, null, s1, 0, s2
	v_lshlrev_b64 v[3:4], 3, v[3:4]
	s_lshl_b64 s[2:3], s[4:5], 3
	s_delay_alu instid0(VALU_DEP_3) | instskip(SKIP_2) | instid1(VALU_DEP_4)
	v_add_nc_u32_e32 v12, s21, v5
	v_add_co_u32 v70, vcc_lo, v68, s2
	v_add_co_ci_u32_e32 v71, vcc_lo, s3, v69, vcc_lo
	v_add_co_u32 v72, vcc_lo, s0, v3
	v_ashrrev_i32_e32 v6, 31, v5
	v_add_co_ci_u32_e32 v73, vcc_lo, s1, v4, vcc_lo
	v_add_co_u32 v74, vcc_lo, s0, v1
	v_add_nc_u32_e32 v14, s21, v12
	v_add_co_ci_u32_e32 v75, vcc_lo, s1, v2, vcc_lo
	v_lshlrev_b64 v[1:2], 3, v[5:6]
	v_ashrrev_i32_e32 v13, 31, v12
	s_delay_alu instid0(VALU_DEP_4)
	v_ashrrev_i32_e32 v15, 31, v14
	v_add_nc_u32_e32 v16, s21, v14
	s_clause 0x3
	global_load_b64 v[4:5], v[70:71], off
	global_load_b64 v[6:7], v[66:67], off
	;; [unrolled: 1-line block ×4, first 2 shown]
	s_cmpk_lg_i32 s17, 0x84
	v_lshlrev_b64 v[12:13], 3, v[12:13]
	v_add_co_u32 v78, vcc_lo, s0, v1
	v_add_co_ci_u32_e32 v79, vcc_lo, s1, v2, vcc_lo
	v_lshlrev_b64 v[1:2], 3, v[14:15]
	v_add_nc_u32_e32 v14, s21, v16
	v_add_co_u32 v76, vcc_lo, s0, v12
	v_ashrrev_i32_e32 v17, 31, v16
	v_add_co_ci_u32_e32 v77, vcc_lo, s1, v13, vcc_lo
	v_add_co_u32 v80, vcc_lo, s0, v1
	v_add_nc_u32_e32 v1, s21, v14
	v_ashrrev_i32_e32 v15, 31, v14
	v_lshlrev_b64 v[12:13], 3, v[16:17]
	v_add_co_ci_u32_e32 v81, vcc_lo, s1, v2, vcc_lo
	s_delay_alu instid0(VALU_DEP_4) | instskip(NEXT) | instid1(VALU_DEP_4)
	v_add_nc_u32_e32 v22, s21, v1
	v_lshlrev_b64 v[20:21], 3, v[14:15]
	v_ashrrev_i32_e32 v2, 31, v1
	v_add_co_u32 v82, vcc_lo, s0, v12
	s_delay_alu instid0(VALU_DEP_4)
	v_ashrrev_i32_e32 v23, 31, v22
	v_add_nc_u32_e32 v24, s21, v22
	v_add_co_ci_u32_e32 v83, vcc_lo, s1, v13, vcc_lo
	v_add_co_u32 v84, vcc_lo, s0, v20
	v_lshlrev_b64 v[1:2], 3, v[1:2]
	v_add_co_ci_u32_e32 v85, vcc_lo, s1, v21, vcc_lo
	v_lshlrev_b64 v[20:21], 3, v[22:23]
	v_add_nc_u32_e32 v22, s21, v24
	v_ashrrev_i32_e32 v25, 31, v24
	v_add_co_u32 v92, vcc_lo, s0, v1
	v_add_co_ci_u32_e32 v93, vcc_lo, s1, v2, vcc_lo
	s_delay_alu instid0(VALU_DEP_4) | instskip(NEXT) | instid1(VALU_DEP_4)
	v_ashrrev_i32_e32 v23, 31, v22
	v_lshlrev_b64 v[1:2], 3, v[24:25]
	v_add_co_u32 v88, vcc_lo, s0, v20
	v_add_co_ci_u32_e32 v89, vcc_lo, s1, v21, vcc_lo
	s_delay_alu instid0(VALU_DEP_4) | instskip(NEXT) | instid1(VALU_DEP_4)
	v_lshlrev_b64 v[20:21], 3, v[22:23]
	v_add_co_u32 v90, vcc_lo, s0, v1
	v_add_co_ci_u32_e32 v91, vcc_lo, s1, v2, vcc_lo
	s_clause 0x3
	global_load_b64 v[12:13], v[78:79], off
	global_load_b64 v[14:15], v[76:77], off
	global_load_b64 v[16:17], v[80:81], off
	global_load_b64 v[18:19], v[82:83], off
	v_add_co_u32 v86, vcc_lo, s0, v20
	v_add_co_ci_u32_e32 v87, vcc_lo, s1, v21, vcc_lo
	v_mov_b32_e32 v1, 0
	s_clause 0x5
	global_load_b64 v[20:21], v[84:85], off
	global_load_b64 v[22:23], v[92:93], off
	;; [unrolled: 1-line block ×4, first 2 shown]
	global_load_b64 v[2:3], v36, s[0:1]
	global_load_b64 v[28:29], v[86:87], off
	v_cmp_eq_u32_e64 s0, 0, v0
	s_cselect_b32 s14, -1, 0
	s_cmpk_eq_i32 s17, 0x84
	s_cbranch_scc1 .LBB13_3
; %bb.2:
	v_cmp_eq_u32_e64 s1, 1, v0
	v_cmp_eq_u32_e64 s2, 2, v0
	;; [unrolled: 1-line block ×5, first 2 shown]
	s_waitcnt vmcnt(1)
	v_cndmask_b32_e64 v30, v3, v5, s1
	v_cndmask_b32_e64 v31, v2, v4, s1
	v_cmp_eq_u32_e64 s6, 6, v0
	v_cmp_eq_u32_e64 s7, 7, v0
	;; [unrolled: 1-line block ×3, first 2 shown]
	v_cndmask_b32_e64 v30, v30, v7, s2
	v_cndmask_b32_e64 v31, v31, v6, s2
	v_cmp_eq_u32_e64 s9, 9, v0
	v_cmp_eq_u32_e64 s10, 10, v0
	;; [unrolled: 1-line block ×3, first 2 shown]
	v_cndmask_b32_e64 v30, v30, v9, s3
	v_cndmask_b32_e64 v31, v31, v8, s3
	v_cmp_eq_u32_e64 s12, 12, v0
	v_cmp_eq_u32_e64 s13, 13, v0
	s_delay_alu instid0(VALU_DEP_4) | instskip(NEXT) | instid1(VALU_DEP_4)
	v_cndmask_b32_e64 v30, v30, v11, s4
	v_cndmask_b32_e64 v31, v31, v10, s4
	s_delay_alu instid0(VALU_DEP_2) | instskip(NEXT) | instid1(VALU_DEP_2)
	v_cndmask_b32_e64 v30, v30, v13, s5
	v_cndmask_b32_e64 v31, v31, v12, s5
	s_delay_alu instid0(VALU_DEP_2) | instskip(NEXT) | instid1(VALU_DEP_2)
	;; [unrolled: 3-line block ×8, first 2 shown]
	v_cndmask_b32_e64 v30, v30, v27, s12
	v_cndmask_b32_e64 v32, v31, v26, s12
	s_waitcnt vmcnt(0)
	s_delay_alu instid0(VALU_DEP_2) | instskip(NEXT) | instid1(VALU_DEP_2)
	v_cndmask_b32_e64 v31, v30, v29, s13
	v_cndmask_b32_e64 v30, v32, v28, s13
	s_delay_alu instid0(VALU_DEP_1) | instskip(SKIP_1) | instid1(VALU_DEP_2)
	v_div_scale_f64 v[32:33], null, v[30:31], v[30:31], 1.0
	v_div_scale_f64 v[39:40], vcc_lo, 1.0, v[30:31], 1.0
	v_rcp_f64_e32 v[34:35], v[32:33]
	s_waitcnt_depctr 0xfff
	v_fma_f64 v[37:38], -v[32:33], v[34:35], 1.0
	s_delay_alu instid0(VALU_DEP_1) | instskip(NEXT) | instid1(VALU_DEP_1)
	v_fma_f64 v[34:35], v[34:35], v[37:38], v[34:35]
	v_fma_f64 v[37:38], -v[32:33], v[34:35], 1.0
	s_delay_alu instid0(VALU_DEP_1) | instskip(NEXT) | instid1(VALU_DEP_1)
	v_fma_f64 v[34:35], v[34:35], v[37:38], v[34:35]
	v_mul_f64 v[37:38], v[39:40], v[34:35]
	s_delay_alu instid0(VALU_DEP_1) | instskip(NEXT) | instid1(VALU_DEP_1)
	v_fma_f64 v[32:33], -v[32:33], v[37:38], v[39:40]
	v_div_fmas_f64 v[32:33], v[32:33], v[34:35], v[37:38]
	s_delay_alu instid0(VALU_DEP_1) | instskip(NEXT) | instid1(VALU_DEP_1)
	v_div_fixup_f64 v[34:35], v[32:33], v[30:31], 1.0
	v_cndmask_b32_e64 v29, v29, v35, s13
	s_delay_alu instid0(VALU_DEP_2)
	v_cndmask_b32_e64 v28, v28, v34, s13
	v_cndmask_b32_e64 v27, v27, v35, s12
	;; [unrolled: 1-line block ×27, first 2 shown]
	v_xor_b32_e32 v35, 0x80000000, v35
.LBB13_3:
	v_add_nc_u32_e32 v96, 0x70, v36
	s_cmpk_eq_i32 s16, 0x79
	ds_store_b64 v36, v[34:35]
	s_cbranch_scc1 .LBB13_7
; %bb.4:
	s_waitcnt vmcnt(0)
	v_dual_mov_b32 v65, v33 :: v_dual_mov_b32 v64, v32
	v_dual_mov_b32 v63, v31 :: v_dual_mov_b32 v62, v30
	;; [unrolled: 1-line block ×16, first 2 shown]
	v_cmp_eq_u32_e64 s0, 13, v0
	ds_store_b64 v96, v[26:27]
	s_waitcnt lgkmcnt(0)
	s_barrier
	buffer_gl0_inv
	s_and_saveexec_b32 s1, s0
	s_cbranch_execz .LBB13_11
; %bb.5:
	s_and_b32 vcc_lo, exec_lo, s14
	s_cbranch_vccz .LBB13_8
; %bb.6:
	v_cmp_eq_u32_e32 vcc_lo, 1, v0
	v_dual_cndmask_b32 v34, v3, v5 :: v_dual_cndmask_b32 v35, v2, v4
	v_cmp_eq_u32_e32 vcc_lo, 2, v0
	s_delay_alu instid0(VALU_DEP_2) | instskip(SKIP_1) | instid1(VALU_DEP_2)
	v_dual_cndmask_b32 v34, v34, v7 :: v_dual_cndmask_b32 v35, v35, v6
	v_cmp_eq_u32_e32 vcc_lo, 3, v0
	v_dual_cndmask_b32 v34, v34, v9 :: v_dual_cndmask_b32 v35, v35, v8
	v_cmp_eq_u32_e32 vcc_lo, 4, v0
	s_delay_alu instid0(VALU_DEP_2) | instskip(SKIP_1) | instid1(VALU_DEP_2)
	v_dual_cndmask_b32 v34, v34, v11 :: v_dual_cndmask_b32 v35, v35, v10
	;; [unrolled: 5-line block ×4, first 2 shown]
	v_cmp_eq_u32_e32 vcc_lo, 9, v0
	v_dual_cndmask_b32 v34, v34, v21 :: v_dual_cndmask_b32 v35, v35, v20
	v_cmp_eq_u32_e32 vcc_lo, 10, v0
	s_delay_alu instid0(VALU_DEP_2) | instskip(SKIP_4) | instid1(VALU_DEP_2)
	v_dual_cndmask_b32 v36, v34, v23 :: v_dual_cndmask_b32 v37, v35, v22
	v_cmp_eq_u32_e32 vcc_lo, 11, v0
	ds_load_b64 v[34:35], v96
	v_dual_cndmask_b32 v36, v36, v25 :: v_dual_cndmask_b32 v37, v37, v24
	v_cmp_eq_u32_e32 vcc_lo, 12, v0
	v_cndmask_b32_e32 v36, v36, v27, vcc_lo
	s_delay_alu instid0(VALU_DEP_3) | instskip(SKIP_1) | instid1(VALU_DEP_2)
	v_cndmask_b32_e32 v38, v37, v26, vcc_lo
	v_cmp_eq_u32_e32 vcc_lo, 13, v0
	v_dual_cndmask_b32 v37, v36, v29 :: v_dual_cndmask_b32 v36, v38, v28
	s_waitcnt lgkmcnt(0)
	s_delay_alu instid0(VALU_DEP_1)
	v_mul_f64 v[34:35], v[36:37], v[34:35]
	s_cbranch_execz .LBB13_9
	s_branch .LBB13_10
.LBB13_7:
                                        ; implicit-def: $vgpr34_vgpr35_vgpr36_vgpr37_vgpr38_vgpr39_vgpr40_vgpr41_vgpr42_vgpr43_vgpr44_vgpr45_vgpr46_vgpr47_vgpr48_vgpr49_vgpr50_vgpr51_vgpr52_vgpr53_vgpr54_vgpr55_vgpr56_vgpr57_vgpr58_vgpr59_vgpr60_vgpr61_vgpr62_vgpr63_vgpr64_vgpr65
	s_cbranch_execnz .LBB13_196
	s_branch .LBB13_333
.LBB13_8:
                                        ; implicit-def: $vgpr34_vgpr35
.LBB13_9:
	ds_load_b64 v[34:35], v96
.LBB13_10:
	v_mov_b32_e32 v36, 0
	v_dual_mov_b32 v38, v6 :: v_dual_mov_b32 v41, v9
	v_dual_mov_b32 v40, v8 :: v_dual_mov_b32 v43, v11
	ds_load_b64 v[36:37], v36 offset:96
	v_dual_mov_b32 v42, v10 :: v_dual_mov_b32 v45, v13
	v_dual_mov_b32 v44, v12 :: v_dual_mov_b32 v47, v15
	;; [unrolled: 1-line block ×9, first 2 shown]
	s_waitcnt lgkmcnt(0)
	v_mul_f64 v[58:59], v[34:35], v[36:37]
	v_dual_mov_b32 v34, v2 :: v_dual_mov_b32 v37, v5
	v_dual_mov_b32 v35, v3 :: v_dual_mov_b32 v36, v4
.LBB13_11:
	s_or_b32 exec_lo, exec_lo, s1
	v_cmp_lt_u32_e64 s1, 11, v0
	ds_store_b64 v96, v[56:57]
	s_waitcnt lgkmcnt(0)
	s_barrier
	buffer_gl0_inv
	s_and_saveexec_b32 s2, s1
	s_cbranch_execz .LBB13_19
; %bb.12:
	s_and_not1_b32 vcc_lo, exec_lo, s14
	s_cbranch_vccnz .LBB13_14
; %bb.13:
	v_cmp_eq_u32_e32 vcc_lo, 1, v0
	v_dual_cndmask_b32 v62, v35, v37 :: v_dual_cndmask_b32 v63, v34, v36
	v_cmp_eq_u32_e32 vcc_lo, 2, v0
	s_delay_alu instid0(VALU_DEP_2) | instskip(SKIP_1) | instid1(VALU_DEP_2)
	v_dual_cndmask_b32 v62, v62, v39 :: v_dual_cndmask_b32 v63, v63, v38
	v_cmp_eq_u32_e32 vcc_lo, 3, v0
	v_dual_cndmask_b32 v62, v62, v41 :: v_dual_cndmask_b32 v63, v63, v40
	v_cmp_eq_u32_e32 vcc_lo, 4, v0
	s_delay_alu instid0(VALU_DEP_2) | instskip(SKIP_1) | instid1(VALU_DEP_2)
	v_dual_cndmask_b32 v62, v62, v43 :: v_dual_cndmask_b32 v63, v63, v42
	;; [unrolled: 5-line block ×4, first 2 shown]
	v_cmp_eq_u32_e32 vcc_lo, 9, v0
	v_dual_cndmask_b32 v62, v62, v53 :: v_dual_cndmask_b32 v63, v63, v52
	v_cmp_eq_u32_e32 vcc_lo, 10, v0
	s_delay_alu instid0(VALU_DEP_2) | instskip(SKIP_4) | instid1(VALU_DEP_2)
	v_dual_cndmask_b32 v64, v62, v55 :: v_dual_cndmask_b32 v65, v63, v54
	v_cmp_eq_u32_e32 vcc_lo, 11, v0
	ds_load_b64 v[62:63], v96
	v_dual_cndmask_b32 v57, v64, v57 :: v_dual_cndmask_b32 v56, v65, v56
	v_cmp_eq_u32_e32 vcc_lo, 12, v0
	v_dual_cndmask_b32 v57, v57, v59 :: v_dual_cndmask_b32 v56, v56, v58
	v_cmp_eq_u32_e32 vcc_lo, 13, v0
	s_delay_alu instid0(VALU_DEP_2) | instskip(SKIP_1) | instid1(VALU_DEP_1)
	v_dual_cndmask_b32 v57, v57, v61 :: v_dual_cndmask_b32 v56, v56, v60
	s_waitcnt lgkmcnt(0)
	v_mul_f64 v[56:57], v[56:57], v[62:63]
	s_cbranch_execz .LBB13_15
	s_branch .LBB13_16
.LBB13_14:
                                        ; implicit-def: $vgpr56_vgpr57
.LBB13_15:
	ds_load_b64 v[56:57], v96
.LBB13_16:
	s_and_saveexec_b32 s3, s0
	s_cbranch_execz .LBB13_18
; %bb.17:
	v_mov_b32_e32 v62, 0
	ds_load_b64 v[62:63], v62 offset:208
	s_waitcnt lgkmcnt(0)
	v_fma_f64 v[56:57], v[58:59], v[62:63], v[56:57]
.LBB13_18:
	s_or_b32 exec_lo, exec_lo, s3
	v_mov_b32_e32 v62, 0
	ds_load_b64 v[62:63], v62 offset:88
	s_waitcnt lgkmcnt(0)
	v_mul_f64 v[56:57], v[56:57], v[62:63]
.LBB13_19:
	s_or_b32 exec_lo, exec_lo, s2
	v_cmp_lt_u32_e64 s0, 10, v0
	ds_store_b64 v96, v[54:55]
	s_waitcnt lgkmcnt(0)
	s_barrier
	buffer_gl0_inv
	s_and_saveexec_b32 s4, s0
	s_cbranch_execz .LBB13_35
; %bb.20:
	s_and_not1_b32 vcc_lo, exec_lo, s14
	s_cbranch_vccnz .LBB13_22
; %bb.21:
	v_cmp_eq_u32_e32 vcc_lo, 1, v0
	v_dual_cndmask_b32 v94, v35, v37 :: v_dual_cndmask_b32 v95, v34, v36
	v_cmp_eq_u32_e32 vcc_lo, 2, v0
	s_delay_alu instid0(VALU_DEP_2) | instskip(SKIP_1) | instid1(VALU_DEP_2)
	v_dual_cndmask_b32 v94, v94, v39 :: v_dual_cndmask_b32 v95, v95, v38
	v_cmp_eq_u32_e32 vcc_lo, 3, v0
	v_dual_cndmask_b32 v94, v94, v41 :: v_dual_cndmask_b32 v95, v95, v40
	v_cmp_eq_u32_e32 vcc_lo, 4, v0
	s_delay_alu instid0(VALU_DEP_2) | instskip(SKIP_1) | instid1(VALU_DEP_2)
	v_dual_cndmask_b32 v94, v94, v43 :: v_dual_cndmask_b32 v95, v95, v42
	;; [unrolled: 5-line block ×4, first 2 shown]
	v_cmp_eq_u32_e32 vcc_lo, 9, v0
	v_dual_cndmask_b32 v94, v94, v53 :: v_dual_cndmask_b32 v95, v95, v52
	v_cmp_eq_u32_e32 vcc_lo, 10, v0
	s_delay_alu instid0(VALU_DEP_2) | instskip(SKIP_4) | instid1(VALU_DEP_2)
	v_dual_cndmask_b32 v97, v94, v55 :: v_dual_cndmask_b32 v98, v95, v54
	v_cmp_eq_u32_e32 vcc_lo, 11, v0
	ds_load_b64 v[94:95], v96
	v_dual_cndmask_b32 v97, v97, v57 :: v_dual_cndmask_b32 v98, v98, v56
	v_cmp_eq_u32_e32 vcc_lo, 12, v0
	v_cndmask_b32_e32 v97, v97, v59, vcc_lo
	s_delay_alu instid0(VALU_DEP_3) | instskip(SKIP_1) | instid1(VALU_DEP_2)
	v_cndmask_b32_e32 v99, v98, v58, vcc_lo
	v_cmp_eq_u32_e32 vcc_lo, 13, v0
	v_dual_cndmask_b32 v98, v97, v61 :: v_dual_cndmask_b32 v97, v99, v60
	s_waitcnt lgkmcnt(0)
	s_delay_alu instid0(VALU_DEP_1)
	v_mul_f64 v[94:95], v[97:98], v[94:95]
	s_cbranch_execz .LBB13_23
	s_branch .LBB13_24
.LBB13_22:
                                        ; implicit-def: $vgpr94_vgpr95
.LBB13_23:
	ds_load_b64 v[94:95], v96
.LBB13_24:
	s_and_saveexec_b32 s5, s1
	s_cbranch_execz .LBB13_34
; %bb.25:
	v_dual_mov_b32 v99, 11 :: v_dual_add_nc_u32 v98, -12, v0
	v_add_nc_u32_e32 v97, -11, v0
	s_mov_b32 s1, exec_lo
	s_delay_alu instid0(VALU_DEP_2)
	v_cmpx_lt_u32_e32 6, v98
	s_cbranch_execz .LBB13_29
; %bb.26:
	s_delay_alu instid0(VALU_DEP_2) | instskip(SKIP_3) | instid1(VALU_DEP_1)
	v_and_b32_e32 v98, -8, v97
	s_mov_b32 s6, 0
	s_mov_b64 s[2:3], 18
	s_movk_i32 s7, 0xc8
	v_sub_nc_u32_e32 v98, 0, v98
.LBB13_27:                              ; =>This Inner Loop Header: Depth=1
	v_mov_b32_e32 v109, s7
	s_lshl_b32 s8, s2, 1
	s_delay_alu instid0(SALU_CYCLE_1)
	s_add_i32 m0, s8, -13
	v_movrels_b32_e32 v108, v34
	ds_load_2addr_b64 v[99:102], v109 offset1:1
	ds_load_2addr_b64 v[103:106], v109 offset0:2 offset1:3
	s_add_i32 m0, s8, -14
	v_movrels_b32_e32 v107, v34
	s_add_i32 m0, s8, -11
	s_waitcnt lgkmcnt(1)
	s_delay_alu instid0(VALU_DEP_1) | instskip(SKIP_4) | instid1(VALU_DEP_1)
	v_fma_f64 v[94:95], v[107:108], v[99:100], v[94:95]
	v_movrels_b32_e32 v100, v34
	s_add_i32 m0, s8, -12
	v_movrels_b32_e32 v99, v34
	s_add_i32 m0, s8, -9
	v_fma_f64 v[94:95], v[99:100], v[101:102], v[94:95]
	v_movrels_b32_e32 v100, v34
	s_add_i32 m0, s8, -10
	v_movrels_b32_e32 v99, v34
	s_add_i32 m0, s8, -7
	s_waitcnt lgkmcnt(0)
	s_delay_alu instid0(VALU_DEP_1)
	v_fma_f64 v[94:95], v[99:100], v[103:104], v[94:95]
	v_movrels_b32_e32 v100, v34
	s_add_i32 m0, s8, -8
	v_movrels_b32_e32 v99, v34
	s_add_i32 m0, s8, -5
	;; [unrolled: 2-line block ×4, first 2 shown]
	v_fma_f64 v[94:95], v[99:100], v[105:106], v[94:95]
	ds_load_2addr_b64 v[99:102], v109 offset0:4 offset1:5
	ds_load_2addr_b64 v[103:106], v109 offset0:6 offset1:7
	s_waitcnt lgkmcnt(1)
	v_fma_f64 v[94:95], v[107:108], v[99:100], v[94:95]
	v_movrels_b32_e32 v100, v34
	s_add_i32 m0, s8, -4
	v_movrels_b32_e32 v99, v34
	s_add_i32 m0, s8, -1
	s_delay_alu instid0(VALU_DEP_1)
	v_fma_f64 v[94:95], v[99:100], v[101:102], v[94:95]
	v_movrels_b32_e32 v100, v34
	s_add_i32 m0, s8, -2
	s_add_u32 s2, s2, 8
	v_movrels_b32_e32 v99, v34
	s_mov_b32 m0, s8
	s_addc_u32 s3, s3, 0
	s_add_i32 s8, s2, -7
	s_add_i32 s7, s7, 64
	s_waitcnt lgkmcnt(0)
	s_delay_alu instid0(VALU_DEP_3) | instskip(SKIP_2) | instid1(VALU_DEP_1)
	v_fma_f64 v[94:95], v[99:100], v[103:104], v[94:95]
	v_movrels_b32_e32 v100, v35
	v_movrels_b32_e32 v99, v34
	v_fma_f64 v[94:95], v[99:100], v[105:106], v[94:95]
	v_add_nc_u32_e32 v99, s2, v98
	s_delay_alu instid0(VALU_DEP_1) | instskip(SKIP_2) | instid1(SALU_CYCLE_1)
	v_cmp_eq_u32_e32 vcc_lo, 18, v99
	v_mov_b32_e32 v99, s8
	s_or_b32 s6, vcc_lo, s6
	s_and_not1_b32 exec_lo, exec_lo, s6
	s_cbranch_execnz .LBB13_27
; %bb.28:
	s_or_b32 exec_lo, exec_lo, s6
.LBB13_29:
	s_delay_alu instid0(SALU_CYCLE_1) | instskip(SKIP_3) | instid1(VALU_DEP_1)
	s_or_b32 exec_lo, exec_lo, s1
	v_and_b32_e32 v62, 7, v97
	s_mov_b32 s3, 0
	s_mov_b32 s2, exec_lo
	v_cmpx_ne_u32_e32 0, v62
	s_cbranch_execz .LBB13_33
; %bb.30:
	v_lshl_add_u32 v63, v99, 3, 0x70
	v_mov_b32_e32 v64, 0
.LBB13_31:                              ; =>This Inner Loop Header: Depth=1
	v_cmp_eq_u32_e32 vcc_lo, 1, v99
	v_cmp_eq_u32_e64 s1, 2, v99
	v_dual_cndmask_b32 v65, v35, v37 :: v_dual_add_nc_u32 v62, -1, v62
	v_cndmask_b32_e32 v97, v34, v36, vcc_lo
	v_cmp_eq_u32_e32 vcc_lo, 3, v99
	s_delay_alu instid0(VALU_DEP_3) | instskip(NEXT) | instid1(VALU_DEP_3)
	v_cndmask_b32_e64 v65, v65, v39, s1
	v_cndmask_b32_e64 v97, v97, v38, s1
	v_cmp_eq_u32_e64 s1, 4, v99
	s_delay_alu instid0(VALU_DEP_3) | instskip(NEXT) | instid1(VALU_DEP_3)
	v_cndmask_b32_e32 v65, v65, v41, vcc_lo
	v_cndmask_b32_e32 v97, v97, v40, vcc_lo
	v_cmp_eq_u32_e32 vcc_lo, 5, v99
	s_delay_alu instid0(VALU_DEP_3) | instskip(NEXT) | instid1(VALU_DEP_3)
	v_cndmask_b32_e64 v65, v65, v43, s1
	v_cndmask_b32_e64 v97, v97, v42, s1
	v_cmp_eq_u32_e64 s1, 6, v99
	s_delay_alu instid0(VALU_DEP_3) | instskip(NEXT) | instid1(VALU_DEP_3)
	v_cndmask_b32_e32 v65, v65, v45, vcc_lo
	;; [unrolled: 8-line block ×4, first 2 shown]
	v_cndmask_b32_e32 v100, v97, v52, vcc_lo
	ds_load_b64 v[97:98], v63
	v_cmp_eq_u32_e32 vcc_lo, 11, v99
	v_add_nc_u32_e32 v63, 8, v63
	v_cndmask_b32_e64 v65, v65, v55, s1
	v_cndmask_b32_e64 v100, v100, v54, s1
	v_cmp_eq_u32_e64 s1, 12, v99
	s_delay_alu instid0(VALU_DEP_2) | instskip(SKIP_1) | instid1(VALU_DEP_2)
	v_dual_cndmask_b32 v65, v65, v57 :: v_dual_cndmask_b32 v100, v100, v56
	v_cmp_eq_u32_e32 vcc_lo, 13, v99
	v_cndmask_b32_e64 v65, v65, v59, s1
	s_delay_alu instid0(VALU_DEP_3) | instskip(SKIP_1) | instid1(VALU_DEP_1)
	v_cndmask_b32_e64 v100, v100, v58, s1
	v_add_co_u32 v99, s1, v99, 1
	v_add_co_ci_u32_e64 v64, s1, 0, v64, s1
	s_delay_alu instid0(VALU_DEP_3) | instskip(SKIP_2) | instid1(VALU_DEP_2)
	v_dual_cndmask_b32 v100, v100, v60 :: v_dual_cndmask_b32 v101, v65, v61
	v_cmp_eq_u32_e32 vcc_lo, 0, v62
	s_waitcnt lgkmcnt(0)
	v_fma_f64 v[94:95], v[100:101], v[97:98], v[94:95]
	s_or_b32 s3, vcc_lo, s3
	s_delay_alu instid0(SALU_CYCLE_1)
	s_and_not1_b32 exec_lo, exec_lo, s3
	s_cbranch_execnz .LBB13_31
; %bb.32:
	s_or_b32 exec_lo, exec_lo, s3
.LBB13_33:
	s_delay_alu instid0(SALU_CYCLE_1)
	s_or_b32 exec_lo, exec_lo, s2
.LBB13_34:
	s_delay_alu instid0(SALU_CYCLE_1)
	s_or_b32 exec_lo, exec_lo, s5
	v_mov_b32_e32 v54, 0
	ds_load_b64 v[54:55], v54 offset:80
	s_waitcnt lgkmcnt(0)
	v_mul_f64 v[54:55], v[94:95], v[54:55]
.LBB13_35:
	s_or_b32 exec_lo, exec_lo, s4
	v_cmp_lt_u32_e64 s1, 9, v0
	ds_store_b64 v96, v[52:53]
	s_waitcnt lgkmcnt(0)
	s_barrier
	buffer_gl0_inv
	s_and_saveexec_b32 s4, s1
	s_cbranch_execz .LBB13_51
; %bb.36:
	s_and_not1_b32 vcc_lo, exec_lo, s14
	s_cbranch_vccnz .LBB13_38
; %bb.37:
	v_cmp_eq_u32_e32 vcc_lo, 1, v0
	v_dual_cndmask_b32 v94, v35, v37 :: v_dual_cndmask_b32 v95, v34, v36
	v_cmp_eq_u32_e32 vcc_lo, 2, v0
	s_delay_alu instid0(VALU_DEP_2) | instskip(SKIP_1) | instid1(VALU_DEP_2)
	v_dual_cndmask_b32 v94, v94, v39 :: v_dual_cndmask_b32 v95, v95, v38
	v_cmp_eq_u32_e32 vcc_lo, 3, v0
	v_dual_cndmask_b32 v94, v94, v41 :: v_dual_cndmask_b32 v95, v95, v40
	v_cmp_eq_u32_e32 vcc_lo, 4, v0
	s_delay_alu instid0(VALU_DEP_2) | instskip(SKIP_1) | instid1(VALU_DEP_2)
	v_dual_cndmask_b32 v94, v94, v43 :: v_dual_cndmask_b32 v95, v95, v42
	;; [unrolled: 5-line block ×4, first 2 shown]
	v_cmp_eq_u32_e32 vcc_lo, 9, v0
	v_dual_cndmask_b32 v94, v94, v53 :: v_dual_cndmask_b32 v95, v95, v52
	v_cmp_eq_u32_e32 vcc_lo, 10, v0
	s_delay_alu instid0(VALU_DEP_2) | instskip(SKIP_4) | instid1(VALU_DEP_2)
	v_dual_cndmask_b32 v97, v94, v55 :: v_dual_cndmask_b32 v98, v95, v54
	v_cmp_eq_u32_e32 vcc_lo, 11, v0
	ds_load_b64 v[94:95], v96
	v_dual_cndmask_b32 v97, v97, v57 :: v_dual_cndmask_b32 v98, v98, v56
	v_cmp_eq_u32_e32 vcc_lo, 12, v0
	v_cndmask_b32_e32 v97, v97, v59, vcc_lo
	s_delay_alu instid0(VALU_DEP_3) | instskip(SKIP_1) | instid1(VALU_DEP_2)
	v_cndmask_b32_e32 v99, v98, v58, vcc_lo
	v_cmp_eq_u32_e32 vcc_lo, 13, v0
	v_dual_cndmask_b32 v98, v97, v61 :: v_dual_cndmask_b32 v97, v99, v60
	s_waitcnt lgkmcnt(0)
	s_delay_alu instid0(VALU_DEP_1)
	v_mul_f64 v[94:95], v[97:98], v[94:95]
	s_cbranch_execz .LBB13_39
	s_branch .LBB13_40
.LBB13_38:
                                        ; implicit-def: $vgpr94_vgpr95
.LBB13_39:
	ds_load_b64 v[94:95], v96
.LBB13_40:
	s_and_saveexec_b32 s5, s0
	s_cbranch_execz .LBB13_50
; %bb.41:
	v_add_nc_u32_e32 v98, -11, v0
	v_add_nc_u32_e32 v97, -10, v0
	s_delay_alu instid0(VALU_DEP_2)
	v_cmp_lt_u32_e32 vcc_lo, 6, v98
	v_mov_b32_e32 v98, 10
	s_and_saveexec_b32 s0, vcc_lo
	s_cbranch_execz .LBB13_45
; %bb.42:
	v_and_b32_e32 v98, -8, v97
	s_mov_b32 s6, 0
	s_mov_b64 s[2:3], 17
	s_movk_i32 s7, 0xc0
	s_delay_alu instid0(VALU_DEP_1)
	v_sub_nc_u32_e32 v99, 0, v98
.LBB13_43:                              ; =>This Inner Loop Header: Depth=1
	v_mov_b32_e32 v98, s7
	s_lshl_b32 s8, s2, 1
	s_delay_alu instid0(SALU_CYCLE_1)
	s_add_i32 m0, s8, -13
	v_movrels_b32_e32 v109, v34
	ds_load_b128 v[100:103], v98
	ds_load_b128 v[104:107], v98 offset:16
	s_add_i32 m0, s8, -14
	v_movrels_b32_e32 v108, v34
	s_add_i32 m0, s8, -11
	s_waitcnt lgkmcnt(1)
	s_delay_alu instid0(VALU_DEP_1) | instskip(SKIP_4) | instid1(VALU_DEP_1)
	v_fma_f64 v[94:95], v[108:109], v[100:101], v[94:95]
	v_movrels_b32_e32 v101, v34
	s_add_i32 m0, s8, -12
	v_movrels_b32_e32 v100, v34
	s_add_i32 m0, s8, -9
	v_fma_f64 v[94:95], v[100:101], v[102:103], v[94:95]
	v_movrels_b32_e32 v101, v34
	s_add_i32 m0, s8, -10
	v_movrels_b32_e32 v100, v34
	s_add_i32 m0, s8, -7
	s_waitcnt lgkmcnt(0)
	s_delay_alu instid0(VALU_DEP_1)
	v_fma_f64 v[94:95], v[100:101], v[104:105], v[94:95]
	v_movrels_b32_e32 v101, v34
	s_add_i32 m0, s8, -8
	v_movrels_b32_e32 v100, v34
	s_add_i32 m0, s8, -5
	;; [unrolled: 2-line block ×4, first 2 shown]
	v_fma_f64 v[94:95], v[100:101], v[106:107], v[94:95]
	ds_load_b128 v[100:103], v98 offset:32
	ds_load_b128 v[104:107], v98 offset:48
	s_waitcnt lgkmcnt(1)
	v_fma_f64 v[94:95], v[108:109], v[100:101], v[94:95]
	v_movrels_b32_e32 v101, v34
	s_add_i32 m0, s8, -4
	v_movrels_b32_e32 v100, v34
	s_add_i32 m0, s8, -1
	s_delay_alu instid0(VALU_DEP_1)
	v_fma_f64 v[94:95], v[100:101], v[102:103], v[94:95]
	v_movrels_b32_e32 v101, v34
	s_add_i32 m0, s8, -2
	s_add_u32 s2, s2, 8
	v_movrels_b32_e32 v100, v34
	s_mov_b32 m0, s8
	v_add_nc_u32_e32 v98, s2, v99
	s_addc_u32 s3, s3, 0
	s_add_i32 s8, s2, -7
	s_add_i32 s7, s7, 64
	s_delay_alu instid0(VALU_DEP_1)
	v_cmp_eq_u32_e32 vcc_lo, 17, v98
	v_mov_b32_e32 v98, s8
	s_or_b32 s6, vcc_lo, s6
	s_waitcnt lgkmcnt(0)
	v_fma_f64 v[94:95], v[100:101], v[104:105], v[94:95]
	v_movrels_b32_e32 v101, v35
	v_movrels_b32_e32 v100, v34
	s_delay_alu instid0(VALU_DEP_1)
	v_fma_f64 v[94:95], v[100:101], v[106:107], v[94:95]
	s_and_not1_b32 exec_lo, exec_lo, s6
	s_cbranch_execnz .LBB13_43
; %bb.44:
	s_or_b32 exec_lo, exec_lo, s6
.LBB13_45:
	s_delay_alu instid0(SALU_CYCLE_1) | instskip(SKIP_3) | instid1(VALU_DEP_1)
	s_or_b32 exec_lo, exec_lo, s0
	v_and_b32_e32 v62, 7, v97
	s_mov_b32 s3, 0
	s_mov_b32 s2, exec_lo
	v_cmpx_ne_u32_e32 0, v62
	s_cbranch_execz .LBB13_49
; %bb.46:
	v_lshl_add_u32 v63, v98, 3, 0x70
	v_mov_b32_e32 v64, 0
.LBB13_47:                              ; =>This Inner Loop Header: Depth=1
	v_cmp_eq_u32_e32 vcc_lo, 1, v98
	v_cmp_eq_u32_e64 s0, 2, v98
	ds_load_b64 v[99:100], v63
	v_add_nc_u32_e32 v63, 8, v63
	v_dual_cndmask_b32 v65, v35, v37 :: v_dual_add_nc_u32 v62, -1, v62
	v_cndmask_b32_e32 v97, v34, v36, vcc_lo
	v_cmp_eq_u32_e32 vcc_lo, 3, v98
	s_delay_alu instid0(VALU_DEP_3) | instskip(NEXT) | instid1(VALU_DEP_3)
	v_cndmask_b32_e64 v65, v65, v39, s0
	v_cndmask_b32_e64 v97, v97, v38, s0
	v_cmp_eq_u32_e64 s0, 4, v98
	s_delay_alu instid0(VALU_DEP_3) | instskip(NEXT) | instid1(VALU_DEP_3)
	v_cndmask_b32_e32 v65, v65, v41, vcc_lo
	v_cndmask_b32_e32 v97, v97, v40, vcc_lo
	v_cmp_eq_u32_e32 vcc_lo, 5, v98
	s_delay_alu instid0(VALU_DEP_3) | instskip(NEXT) | instid1(VALU_DEP_3)
	v_cndmask_b32_e64 v65, v65, v43, s0
	v_cndmask_b32_e64 v97, v97, v42, s0
	v_cmp_eq_u32_e64 s0, 6, v98
	s_delay_alu instid0(VALU_DEP_3) | instskip(NEXT) | instid1(VALU_DEP_3)
	v_cndmask_b32_e32 v65, v65, v45, vcc_lo
	;; [unrolled: 8-line block ×5, first 2 shown]
	v_cndmask_b32_e32 v97, v97, v56, vcc_lo
	v_cmp_eq_u32_e32 vcc_lo, 13, v98
	s_delay_alu instid0(VALU_DEP_3) | instskip(NEXT) | instid1(VALU_DEP_3)
	v_cndmask_b32_e64 v65, v65, v59, s0
	v_cndmask_b32_e64 v97, v97, v58, s0
	v_add_co_u32 v98, s0, v98, 1
	s_delay_alu instid0(VALU_DEP_1) | instskip(NEXT) | instid1(VALU_DEP_4)
	v_add_co_ci_u32_e64 v64, s0, 0, v64, s0
	v_cndmask_b32_e32 v102, v65, v61, vcc_lo
	s_delay_alu instid0(VALU_DEP_4) | instskip(SKIP_2) | instid1(VALU_DEP_2)
	v_cndmask_b32_e32 v101, v97, v60, vcc_lo
	v_cmp_eq_u32_e32 vcc_lo, 0, v62
	s_waitcnt lgkmcnt(0)
	v_fma_f64 v[94:95], v[101:102], v[99:100], v[94:95]
	s_or_b32 s3, vcc_lo, s3
	s_delay_alu instid0(SALU_CYCLE_1)
	s_and_not1_b32 exec_lo, exec_lo, s3
	s_cbranch_execnz .LBB13_47
; %bb.48:
	s_or_b32 exec_lo, exec_lo, s3
.LBB13_49:
	s_delay_alu instid0(SALU_CYCLE_1)
	s_or_b32 exec_lo, exec_lo, s2
.LBB13_50:
	s_delay_alu instid0(SALU_CYCLE_1)
	s_or_b32 exec_lo, exec_lo, s5
	v_mov_b32_e32 v52, 0
	ds_load_b64 v[52:53], v52 offset:72
	s_waitcnt lgkmcnt(0)
	v_mul_f64 v[52:53], v[94:95], v[52:53]
.LBB13_51:
	s_or_b32 exec_lo, exec_lo, s4
	v_cmp_lt_u32_e64 s0, 8, v0
	ds_store_b64 v96, v[50:51]
	s_waitcnt lgkmcnt(0)
	s_barrier
	buffer_gl0_inv
	s_and_saveexec_b32 s4, s0
	s_cbranch_execz .LBB13_67
; %bb.52:
	s_and_not1_b32 vcc_lo, exec_lo, s14
	s_cbranch_vccnz .LBB13_54
; %bb.53:
	v_cmp_eq_u32_e32 vcc_lo, 1, v0
	v_dual_cndmask_b32 v94, v35, v37 :: v_dual_cndmask_b32 v95, v34, v36
	v_cmp_eq_u32_e32 vcc_lo, 2, v0
	s_delay_alu instid0(VALU_DEP_2) | instskip(SKIP_1) | instid1(VALU_DEP_2)
	v_dual_cndmask_b32 v94, v94, v39 :: v_dual_cndmask_b32 v95, v95, v38
	v_cmp_eq_u32_e32 vcc_lo, 3, v0
	v_dual_cndmask_b32 v94, v94, v41 :: v_dual_cndmask_b32 v95, v95, v40
	v_cmp_eq_u32_e32 vcc_lo, 4, v0
	s_delay_alu instid0(VALU_DEP_2) | instskip(SKIP_1) | instid1(VALU_DEP_2)
	v_dual_cndmask_b32 v94, v94, v43 :: v_dual_cndmask_b32 v95, v95, v42
	;; [unrolled: 5-line block ×4, first 2 shown]
	v_cmp_eq_u32_e32 vcc_lo, 9, v0
	v_dual_cndmask_b32 v94, v94, v53 :: v_dual_cndmask_b32 v95, v95, v52
	v_cmp_eq_u32_e32 vcc_lo, 10, v0
	s_delay_alu instid0(VALU_DEP_2) | instskip(SKIP_4) | instid1(VALU_DEP_2)
	v_dual_cndmask_b32 v97, v94, v55 :: v_dual_cndmask_b32 v98, v95, v54
	v_cmp_eq_u32_e32 vcc_lo, 11, v0
	ds_load_b64 v[94:95], v96
	v_dual_cndmask_b32 v97, v97, v57 :: v_dual_cndmask_b32 v98, v98, v56
	v_cmp_eq_u32_e32 vcc_lo, 12, v0
	v_cndmask_b32_e32 v97, v97, v59, vcc_lo
	s_delay_alu instid0(VALU_DEP_3) | instskip(SKIP_1) | instid1(VALU_DEP_2)
	v_cndmask_b32_e32 v99, v98, v58, vcc_lo
	v_cmp_eq_u32_e32 vcc_lo, 13, v0
	v_dual_cndmask_b32 v98, v97, v61 :: v_dual_cndmask_b32 v97, v99, v60
	s_waitcnt lgkmcnt(0)
	s_delay_alu instid0(VALU_DEP_1)
	v_mul_f64 v[94:95], v[97:98], v[94:95]
	s_cbranch_execz .LBB13_55
	s_branch .LBB13_56
.LBB13_54:
                                        ; implicit-def: $vgpr94_vgpr95
.LBB13_55:
	ds_load_b64 v[94:95], v96
.LBB13_56:
	s_and_saveexec_b32 s5, s1
	s_cbranch_execz .LBB13_66
; %bb.57:
	v_dual_mov_b32 v99, 9 :: v_dual_add_nc_u32 v98, -10, v0
	v_add_nc_u32_e32 v97, -9, v0
	s_mov_b32 s1, exec_lo
	s_delay_alu instid0(VALU_DEP_2)
	v_cmpx_lt_u32_e32 6, v98
	s_cbranch_execz .LBB13_61
; %bb.58:
	s_delay_alu instid0(VALU_DEP_2) | instskip(SKIP_3) | instid1(VALU_DEP_1)
	v_and_b32_e32 v98, -8, v97
	s_mov_b32 s6, 0
	s_mov_b64 s[2:3], 16
	s_movk_i32 s7, 0xb8
	v_sub_nc_u32_e32 v98, 0, v98
.LBB13_59:                              ; =>This Inner Loop Header: Depth=1
	v_mov_b32_e32 v109, s7
	s_lshl_b32 s8, s2, 1
	s_delay_alu instid0(SALU_CYCLE_1)
	s_add_i32 m0, s8, -13
	v_movrels_b32_e32 v108, v34
	ds_load_2addr_b64 v[99:102], v109 offset1:1
	ds_load_2addr_b64 v[103:106], v109 offset0:2 offset1:3
	s_add_i32 m0, s8, -14
	v_movrels_b32_e32 v107, v34
	s_add_i32 m0, s8, -11
	s_waitcnt lgkmcnt(1)
	s_delay_alu instid0(VALU_DEP_1) | instskip(SKIP_4) | instid1(VALU_DEP_1)
	v_fma_f64 v[94:95], v[107:108], v[99:100], v[94:95]
	v_movrels_b32_e32 v100, v34
	s_add_i32 m0, s8, -12
	v_movrels_b32_e32 v99, v34
	s_add_i32 m0, s8, -9
	v_fma_f64 v[94:95], v[99:100], v[101:102], v[94:95]
	v_movrels_b32_e32 v100, v34
	s_add_i32 m0, s8, -10
	v_movrels_b32_e32 v99, v34
	s_add_i32 m0, s8, -7
	s_waitcnt lgkmcnt(0)
	s_delay_alu instid0(VALU_DEP_1)
	v_fma_f64 v[94:95], v[99:100], v[103:104], v[94:95]
	v_movrels_b32_e32 v100, v34
	s_add_i32 m0, s8, -8
	v_movrels_b32_e32 v99, v34
	s_add_i32 m0, s8, -5
	;; [unrolled: 2-line block ×4, first 2 shown]
	v_fma_f64 v[94:95], v[99:100], v[105:106], v[94:95]
	ds_load_2addr_b64 v[99:102], v109 offset0:4 offset1:5
	ds_load_2addr_b64 v[103:106], v109 offset0:6 offset1:7
	s_waitcnt lgkmcnt(1)
	v_fma_f64 v[94:95], v[107:108], v[99:100], v[94:95]
	v_movrels_b32_e32 v100, v34
	s_add_i32 m0, s8, -4
	v_movrels_b32_e32 v99, v34
	s_add_i32 m0, s8, -1
	s_delay_alu instid0(VALU_DEP_1)
	v_fma_f64 v[94:95], v[99:100], v[101:102], v[94:95]
	v_movrels_b32_e32 v100, v34
	s_add_i32 m0, s8, -2
	s_add_u32 s2, s2, 8
	v_movrels_b32_e32 v99, v34
	s_mov_b32 m0, s8
	s_addc_u32 s3, s3, 0
	s_add_i32 s8, s2, -7
	s_add_i32 s7, s7, 64
	s_waitcnt lgkmcnt(0)
	s_delay_alu instid0(VALU_DEP_3) | instskip(SKIP_2) | instid1(VALU_DEP_1)
	v_fma_f64 v[94:95], v[99:100], v[103:104], v[94:95]
	v_movrels_b32_e32 v100, v35
	v_movrels_b32_e32 v99, v34
	v_fma_f64 v[94:95], v[99:100], v[105:106], v[94:95]
	v_add_nc_u32_e32 v99, s2, v98
	s_delay_alu instid0(VALU_DEP_1) | instskip(SKIP_2) | instid1(SALU_CYCLE_1)
	v_cmp_eq_u32_e32 vcc_lo, 16, v99
	v_mov_b32_e32 v99, s8
	s_or_b32 s6, vcc_lo, s6
	s_and_not1_b32 exec_lo, exec_lo, s6
	s_cbranch_execnz .LBB13_59
; %bb.60:
	s_or_b32 exec_lo, exec_lo, s6
.LBB13_61:
	s_delay_alu instid0(SALU_CYCLE_1) | instskip(SKIP_3) | instid1(VALU_DEP_1)
	s_or_b32 exec_lo, exec_lo, s1
	v_and_b32_e32 v62, 7, v97
	s_mov_b32 s3, 0
	s_mov_b32 s2, exec_lo
	v_cmpx_ne_u32_e32 0, v62
	s_cbranch_execz .LBB13_65
; %bb.62:
	v_lshl_add_u32 v63, v99, 3, 0x70
	v_mov_b32_e32 v64, 0
.LBB13_63:                              ; =>This Inner Loop Header: Depth=1
	v_cmp_eq_u32_e32 vcc_lo, 1, v99
	v_cmp_eq_u32_e64 s1, 2, v99
	v_dual_cndmask_b32 v65, v35, v37 :: v_dual_add_nc_u32 v62, -1, v62
	v_cndmask_b32_e32 v97, v34, v36, vcc_lo
	v_cmp_eq_u32_e32 vcc_lo, 3, v99
	s_delay_alu instid0(VALU_DEP_3) | instskip(NEXT) | instid1(VALU_DEP_3)
	v_cndmask_b32_e64 v65, v65, v39, s1
	v_cndmask_b32_e64 v97, v97, v38, s1
	v_cmp_eq_u32_e64 s1, 4, v99
	s_delay_alu instid0(VALU_DEP_3) | instskip(NEXT) | instid1(VALU_DEP_3)
	v_cndmask_b32_e32 v65, v65, v41, vcc_lo
	v_cndmask_b32_e32 v97, v97, v40, vcc_lo
	v_cmp_eq_u32_e32 vcc_lo, 5, v99
	s_delay_alu instid0(VALU_DEP_3) | instskip(NEXT) | instid1(VALU_DEP_3)
	v_cndmask_b32_e64 v65, v65, v43, s1
	v_cndmask_b32_e64 v97, v97, v42, s1
	v_cmp_eq_u32_e64 s1, 6, v99
	s_delay_alu instid0(VALU_DEP_3) | instskip(NEXT) | instid1(VALU_DEP_3)
	v_cndmask_b32_e32 v65, v65, v45, vcc_lo
	;; [unrolled: 8-line block ×4, first 2 shown]
	v_cndmask_b32_e32 v100, v97, v52, vcc_lo
	ds_load_b64 v[97:98], v63
	v_cmp_eq_u32_e32 vcc_lo, 11, v99
	v_add_nc_u32_e32 v63, 8, v63
	v_cndmask_b32_e64 v65, v65, v55, s1
	v_cndmask_b32_e64 v100, v100, v54, s1
	v_cmp_eq_u32_e64 s1, 12, v99
	s_delay_alu instid0(VALU_DEP_2) | instskip(SKIP_1) | instid1(VALU_DEP_2)
	v_dual_cndmask_b32 v65, v65, v57 :: v_dual_cndmask_b32 v100, v100, v56
	v_cmp_eq_u32_e32 vcc_lo, 13, v99
	v_cndmask_b32_e64 v65, v65, v59, s1
	s_delay_alu instid0(VALU_DEP_3) | instskip(SKIP_1) | instid1(VALU_DEP_1)
	v_cndmask_b32_e64 v100, v100, v58, s1
	v_add_co_u32 v99, s1, v99, 1
	v_add_co_ci_u32_e64 v64, s1, 0, v64, s1
	s_delay_alu instid0(VALU_DEP_3) | instskip(SKIP_2) | instid1(VALU_DEP_2)
	v_dual_cndmask_b32 v100, v100, v60 :: v_dual_cndmask_b32 v101, v65, v61
	v_cmp_eq_u32_e32 vcc_lo, 0, v62
	s_waitcnt lgkmcnt(0)
	v_fma_f64 v[94:95], v[100:101], v[97:98], v[94:95]
	s_or_b32 s3, vcc_lo, s3
	s_delay_alu instid0(SALU_CYCLE_1)
	s_and_not1_b32 exec_lo, exec_lo, s3
	s_cbranch_execnz .LBB13_63
; %bb.64:
	s_or_b32 exec_lo, exec_lo, s3
.LBB13_65:
	s_delay_alu instid0(SALU_CYCLE_1)
	s_or_b32 exec_lo, exec_lo, s2
.LBB13_66:
	s_delay_alu instid0(SALU_CYCLE_1)
	s_or_b32 exec_lo, exec_lo, s5
	v_mov_b32_e32 v50, 0
	ds_load_b64 v[50:51], v50 offset:64
	s_waitcnt lgkmcnt(0)
	v_mul_f64 v[50:51], v[94:95], v[50:51]
.LBB13_67:
	s_or_b32 exec_lo, exec_lo, s4
	v_cmp_lt_u32_e64 s1, 7, v0
	ds_store_b64 v96, v[48:49]
	s_waitcnt lgkmcnt(0)
	s_barrier
	buffer_gl0_inv
	s_and_saveexec_b32 s4, s1
	s_cbranch_execz .LBB13_83
; %bb.68:
	s_and_not1_b32 vcc_lo, exec_lo, s14
	s_cbranch_vccnz .LBB13_70
; %bb.69:
	v_cmp_eq_u32_e32 vcc_lo, 1, v0
	v_dual_cndmask_b32 v94, v35, v37 :: v_dual_cndmask_b32 v95, v34, v36
	v_cmp_eq_u32_e32 vcc_lo, 2, v0
	s_delay_alu instid0(VALU_DEP_2) | instskip(SKIP_1) | instid1(VALU_DEP_2)
	v_dual_cndmask_b32 v94, v94, v39 :: v_dual_cndmask_b32 v95, v95, v38
	v_cmp_eq_u32_e32 vcc_lo, 3, v0
	v_dual_cndmask_b32 v94, v94, v41 :: v_dual_cndmask_b32 v95, v95, v40
	v_cmp_eq_u32_e32 vcc_lo, 4, v0
	s_delay_alu instid0(VALU_DEP_2) | instskip(SKIP_1) | instid1(VALU_DEP_2)
	v_dual_cndmask_b32 v94, v94, v43 :: v_dual_cndmask_b32 v95, v95, v42
	;; [unrolled: 5-line block ×4, first 2 shown]
	v_cmp_eq_u32_e32 vcc_lo, 9, v0
	v_dual_cndmask_b32 v94, v94, v53 :: v_dual_cndmask_b32 v95, v95, v52
	v_cmp_eq_u32_e32 vcc_lo, 10, v0
	s_delay_alu instid0(VALU_DEP_2) | instskip(SKIP_4) | instid1(VALU_DEP_2)
	v_dual_cndmask_b32 v97, v94, v55 :: v_dual_cndmask_b32 v98, v95, v54
	v_cmp_eq_u32_e32 vcc_lo, 11, v0
	ds_load_b64 v[94:95], v96
	v_dual_cndmask_b32 v97, v97, v57 :: v_dual_cndmask_b32 v98, v98, v56
	v_cmp_eq_u32_e32 vcc_lo, 12, v0
	v_cndmask_b32_e32 v97, v97, v59, vcc_lo
	s_delay_alu instid0(VALU_DEP_3) | instskip(SKIP_1) | instid1(VALU_DEP_2)
	v_cndmask_b32_e32 v99, v98, v58, vcc_lo
	v_cmp_eq_u32_e32 vcc_lo, 13, v0
	v_dual_cndmask_b32 v98, v97, v61 :: v_dual_cndmask_b32 v97, v99, v60
	s_waitcnt lgkmcnt(0)
	s_delay_alu instid0(VALU_DEP_1)
	v_mul_f64 v[94:95], v[97:98], v[94:95]
	s_cbranch_execz .LBB13_71
	s_branch .LBB13_72
.LBB13_70:
                                        ; implicit-def: $vgpr94_vgpr95
.LBB13_71:
	ds_load_b64 v[94:95], v96
.LBB13_72:
	s_and_saveexec_b32 s5, s0
	s_cbranch_execz .LBB13_82
; %bb.73:
	v_add_nc_u32_e32 v97, -9, v0
	s_delay_alu instid0(VALU_DEP_1)
	v_cmp_lt_u32_e32 vcc_lo, 6, v97
	v_mov_b32_e32 v97, 8
	s_and_saveexec_b32 s0, vcc_lo
	s_cbranch_execz .LBB13_77
; %bb.74:
	v_and_b32_e32 v97, 8, v0
	s_mov_b32 s6, 0
	s_mov_b64 s[2:3], 15
	s_movk_i32 s7, 0xb0
	s_delay_alu instid0(VALU_DEP_1)
	v_sub_nc_u32_e32 v98, 0, v97
.LBB13_75:                              ; =>This Inner Loop Header: Depth=1
	v_mov_b32_e32 v97, s7
	s_lshl_b32 s8, s2, 1
	s_delay_alu instid0(SALU_CYCLE_1)
	s_add_i32 m0, s8, -13
	v_movrels_b32_e32 v108, v34
	ds_load_b128 v[99:102], v97
	ds_load_b128 v[103:106], v97 offset:16
	s_add_i32 m0, s8, -14
	v_movrels_b32_e32 v107, v34
	s_add_i32 m0, s8, -11
	s_waitcnt lgkmcnt(1)
	s_delay_alu instid0(VALU_DEP_1) | instskip(SKIP_4) | instid1(VALU_DEP_1)
	v_fma_f64 v[94:95], v[107:108], v[99:100], v[94:95]
	v_movrels_b32_e32 v100, v34
	s_add_i32 m0, s8, -12
	v_movrels_b32_e32 v99, v34
	s_add_i32 m0, s8, -9
	v_fma_f64 v[94:95], v[99:100], v[101:102], v[94:95]
	v_movrels_b32_e32 v100, v34
	s_add_i32 m0, s8, -10
	v_movrels_b32_e32 v99, v34
	s_add_i32 m0, s8, -7
	s_waitcnt lgkmcnt(0)
	s_delay_alu instid0(VALU_DEP_1)
	v_fma_f64 v[94:95], v[99:100], v[103:104], v[94:95]
	v_movrels_b32_e32 v100, v34
	s_add_i32 m0, s8, -8
	v_movrels_b32_e32 v99, v34
	s_add_i32 m0, s8, -5
	;; [unrolled: 2-line block ×4, first 2 shown]
	v_fma_f64 v[94:95], v[99:100], v[105:106], v[94:95]
	ds_load_b128 v[99:102], v97 offset:32
	ds_load_b128 v[103:106], v97 offset:48
	s_waitcnt lgkmcnt(1)
	v_fma_f64 v[94:95], v[107:108], v[99:100], v[94:95]
	v_movrels_b32_e32 v100, v34
	s_add_i32 m0, s8, -4
	v_movrels_b32_e32 v99, v34
	s_add_i32 m0, s8, -1
	s_delay_alu instid0(VALU_DEP_1)
	v_fma_f64 v[94:95], v[99:100], v[101:102], v[94:95]
	v_movrels_b32_e32 v100, v34
	s_add_i32 m0, s8, -2
	s_add_u32 s2, s2, 8
	v_movrels_b32_e32 v99, v34
	s_mov_b32 m0, s8
	v_add_nc_u32_e32 v97, s2, v98
	s_addc_u32 s3, s3, 0
	s_add_i32 s8, s2, -7
	s_add_i32 s7, s7, 64
	s_delay_alu instid0(VALU_DEP_1)
	v_cmp_eq_u32_e32 vcc_lo, 7, v97
	v_mov_b32_e32 v97, s8
	s_or_b32 s6, vcc_lo, s6
	s_waitcnt lgkmcnt(0)
	v_fma_f64 v[94:95], v[99:100], v[103:104], v[94:95]
	v_movrels_b32_e32 v100, v35
	v_movrels_b32_e32 v99, v34
	s_delay_alu instid0(VALU_DEP_1)
	v_fma_f64 v[94:95], v[99:100], v[105:106], v[94:95]
	s_and_not1_b32 exec_lo, exec_lo, s6
	s_cbranch_execnz .LBB13_75
; %bb.76:
	s_or_b32 exec_lo, exec_lo, s6
.LBB13_77:
	s_delay_alu instid0(SALU_CYCLE_1) | instskip(SKIP_3) | instid1(VALU_DEP_1)
	s_or_b32 exec_lo, exec_lo, s0
	v_and_b32_e32 v62, 7, v0
	s_mov_b32 s3, 0
	s_mov_b32 s2, exec_lo
	v_cmpx_ne_u32_e32 0, v62
	s_cbranch_execz .LBB13_81
; %bb.78:
	v_lshl_add_u32 v63, v97, 3, 0x70
	v_mov_b32_e32 v64, 0
.LBB13_79:                              ; =>This Inner Loop Header: Depth=1
	v_cmp_eq_u32_e32 vcc_lo, 1, v97
	v_cmp_eq_u32_e64 s0, 2, v97
	v_dual_cndmask_b32 v65, v35, v37 :: v_dual_add_nc_u32 v62, -1, v62
	v_cndmask_b32_e32 v98, v34, v36, vcc_lo
	v_cmp_eq_u32_e32 vcc_lo, 3, v97
	s_delay_alu instid0(VALU_DEP_3) | instskip(NEXT) | instid1(VALU_DEP_3)
	v_cndmask_b32_e64 v65, v65, v39, s0
	v_cndmask_b32_e64 v98, v98, v38, s0
	v_cmp_eq_u32_e64 s0, 4, v97
	s_delay_alu instid0(VALU_DEP_2) | instskip(SKIP_1) | instid1(VALU_DEP_2)
	v_dual_cndmask_b32 v65, v65, v41 :: v_dual_cndmask_b32 v98, v98, v40
	v_cmp_eq_u32_e32 vcc_lo, 5, v97
	v_cndmask_b32_e64 v65, v65, v43, s0
	s_delay_alu instid0(VALU_DEP_3) | instskip(SKIP_1) | instid1(VALU_DEP_2)
	v_cndmask_b32_e64 v98, v98, v42, s0
	v_cmp_eq_u32_e64 s0, 6, v97
	v_dual_cndmask_b32 v65, v65, v45 :: v_dual_cndmask_b32 v98, v98, v44
	v_cmp_eq_u32_e32 vcc_lo, 7, v97
	s_delay_alu instid0(VALU_DEP_2) | instskip(NEXT) | instid1(VALU_DEP_3)
	v_cndmask_b32_e64 v65, v65, v47, s0
	v_cndmask_b32_e64 v98, v98, v46, s0
	v_cmp_eq_u32_e64 s0, 8, v97
	s_delay_alu instid0(VALU_DEP_2) | instskip(SKIP_1) | instid1(VALU_DEP_2)
	v_dual_cndmask_b32 v65, v65, v49 :: v_dual_cndmask_b32 v98, v98, v48
	v_cmp_eq_u32_e32 vcc_lo, 9, v97
	v_cndmask_b32_e64 v65, v65, v51, s0
	s_delay_alu instid0(VALU_DEP_3) | instskip(SKIP_1) | instid1(VALU_DEP_2)
	v_cndmask_b32_e64 v98, v98, v50, s0
	v_cmp_eq_u32_e64 s0, 10, v97
	v_dual_cndmask_b32 v65, v65, v53 :: v_dual_cndmask_b32 v100, v98, v52
	ds_load_b64 v[98:99], v63
	v_cmp_eq_u32_e32 vcc_lo, 11, v97
	v_add_nc_u32_e32 v63, 8, v63
	v_cndmask_b32_e64 v65, v65, v55, s0
	v_cndmask_b32_e64 v100, v100, v54, s0
	v_cmp_eq_u32_e64 s0, 12, v97
	s_delay_alu instid0(VALU_DEP_2) | instskip(SKIP_1) | instid1(VALU_DEP_2)
	v_dual_cndmask_b32 v65, v65, v57 :: v_dual_cndmask_b32 v100, v100, v56
	v_cmp_eq_u32_e32 vcc_lo, 13, v97
	v_cndmask_b32_e64 v65, v65, v59, s0
	s_delay_alu instid0(VALU_DEP_3) | instskip(SKIP_1) | instid1(VALU_DEP_1)
	v_cndmask_b32_e64 v100, v100, v58, s0
	v_add_co_u32 v97, s0, v97, 1
	v_add_co_ci_u32_e64 v64, s0, 0, v64, s0
	s_delay_alu instid0(VALU_DEP_3) | instskip(SKIP_2) | instid1(VALU_DEP_2)
	v_dual_cndmask_b32 v101, v65, v61 :: v_dual_cndmask_b32 v100, v100, v60
	v_cmp_eq_u32_e32 vcc_lo, 0, v62
	s_waitcnt lgkmcnt(0)
	v_fma_f64 v[94:95], v[100:101], v[98:99], v[94:95]
	s_or_b32 s3, vcc_lo, s3
	s_delay_alu instid0(SALU_CYCLE_1)
	s_and_not1_b32 exec_lo, exec_lo, s3
	s_cbranch_execnz .LBB13_79
; %bb.80:
	s_or_b32 exec_lo, exec_lo, s3
.LBB13_81:
	s_delay_alu instid0(SALU_CYCLE_1)
	s_or_b32 exec_lo, exec_lo, s2
.LBB13_82:
	s_delay_alu instid0(SALU_CYCLE_1)
	s_or_b32 exec_lo, exec_lo, s5
	v_mov_b32_e32 v48, 0
	ds_load_b64 v[48:49], v48 offset:56
	s_waitcnt lgkmcnt(0)
	v_mul_f64 v[48:49], v[94:95], v[48:49]
.LBB13_83:
	s_or_b32 exec_lo, exec_lo, s4
	v_cmp_lt_u32_e64 s0, 6, v0
	ds_store_b64 v96, v[46:47]
	s_waitcnt lgkmcnt(0)
	s_barrier
	buffer_gl0_inv
	s_and_saveexec_b32 s4, s0
	s_cbranch_execz .LBB13_99
; %bb.84:
	s_and_not1_b32 vcc_lo, exec_lo, s14
	s_cbranch_vccnz .LBB13_86
; %bb.85:
	v_cmp_eq_u32_e32 vcc_lo, 1, v0
	v_dual_cndmask_b32 v94, v35, v37 :: v_dual_cndmask_b32 v95, v34, v36
	v_cmp_eq_u32_e32 vcc_lo, 2, v0
	s_delay_alu instid0(VALU_DEP_2) | instskip(SKIP_1) | instid1(VALU_DEP_2)
	v_dual_cndmask_b32 v94, v94, v39 :: v_dual_cndmask_b32 v95, v95, v38
	v_cmp_eq_u32_e32 vcc_lo, 3, v0
	v_dual_cndmask_b32 v94, v94, v41 :: v_dual_cndmask_b32 v95, v95, v40
	v_cmp_eq_u32_e32 vcc_lo, 4, v0
	s_delay_alu instid0(VALU_DEP_2) | instskip(SKIP_1) | instid1(VALU_DEP_2)
	v_dual_cndmask_b32 v94, v94, v43 :: v_dual_cndmask_b32 v95, v95, v42
	v_cmp_eq_u32_e32 vcc_lo, 5, v0
	v_dual_cndmask_b32 v94, v94, v45 :: v_dual_cndmask_b32 v95, v95, v44
	v_cmp_eq_u32_e32 vcc_lo, 6, v0
	s_delay_alu instid0(VALU_DEP_2) | instskip(SKIP_1) | instid1(VALU_DEP_2)
	v_dual_cndmask_b32 v94, v94, v47 :: v_dual_cndmask_b32 v95, v95, v46
	v_cmp_eq_u32_e32 vcc_lo, 7, v0
	v_dual_cndmask_b32 v94, v94, v49 :: v_dual_cndmask_b32 v95, v95, v48
	v_cmp_eq_u32_e32 vcc_lo, 8, v0
	s_delay_alu instid0(VALU_DEP_2) | instskip(SKIP_1) | instid1(VALU_DEP_2)
	v_dual_cndmask_b32 v94, v94, v51 :: v_dual_cndmask_b32 v95, v95, v50
	v_cmp_eq_u32_e32 vcc_lo, 9, v0
	v_dual_cndmask_b32 v94, v94, v53 :: v_dual_cndmask_b32 v95, v95, v52
	v_cmp_eq_u32_e32 vcc_lo, 10, v0
	s_delay_alu instid0(VALU_DEP_2) | instskip(SKIP_4) | instid1(VALU_DEP_2)
	v_dual_cndmask_b32 v97, v94, v55 :: v_dual_cndmask_b32 v98, v95, v54
	v_cmp_eq_u32_e32 vcc_lo, 11, v0
	ds_load_b64 v[94:95], v96
	v_dual_cndmask_b32 v97, v97, v57 :: v_dual_cndmask_b32 v98, v98, v56
	v_cmp_eq_u32_e32 vcc_lo, 12, v0
	v_cndmask_b32_e32 v97, v97, v59, vcc_lo
	s_delay_alu instid0(VALU_DEP_3) | instskip(SKIP_1) | instid1(VALU_DEP_2)
	v_cndmask_b32_e32 v99, v98, v58, vcc_lo
	v_cmp_eq_u32_e32 vcc_lo, 13, v0
	v_dual_cndmask_b32 v98, v97, v61 :: v_dual_cndmask_b32 v97, v99, v60
	s_waitcnt lgkmcnt(0)
	s_delay_alu instid0(VALU_DEP_1)
	v_mul_f64 v[94:95], v[97:98], v[94:95]
	s_cbranch_execz .LBB13_87
	s_branch .LBB13_88
.LBB13_86:
                                        ; implicit-def: $vgpr94_vgpr95
.LBB13_87:
	ds_load_b64 v[94:95], v96
.LBB13_88:
	s_and_saveexec_b32 s5, s1
	s_cbranch_execz .LBB13_98
; %bb.89:
	v_dual_mov_b32 v99, 7 :: v_dual_add_nc_u32 v98, -8, v0
	v_add_nc_u32_e32 v97, -7, v0
	s_mov_b32 s1, exec_lo
	s_delay_alu instid0(VALU_DEP_2)
	v_cmpx_lt_u32_e32 6, v98
	s_cbranch_execz .LBB13_93
; %bb.90:
	s_delay_alu instid0(VALU_DEP_2) | instskip(SKIP_3) | instid1(VALU_DEP_1)
	v_and_b32_e32 v98, -8, v97
	s_mov_b32 s6, 0
	s_mov_b64 s[2:3], 14
	s_movk_i32 s7, 0xa8
	v_sub_nc_u32_e32 v98, 0, v98
.LBB13_91:                              ; =>This Inner Loop Header: Depth=1
	v_mov_b32_e32 v109, s7
	s_lshl_b32 s8, s2, 1
	s_delay_alu instid0(SALU_CYCLE_1)
	s_add_i32 m0, s8, -13
	v_movrels_b32_e32 v108, v34
	ds_load_2addr_b64 v[99:102], v109 offset1:1
	ds_load_2addr_b64 v[103:106], v109 offset0:2 offset1:3
	s_add_i32 m0, s8, -14
	v_movrels_b32_e32 v107, v34
	s_add_i32 m0, s8, -11
	s_waitcnt lgkmcnt(1)
	s_delay_alu instid0(VALU_DEP_1) | instskip(SKIP_4) | instid1(VALU_DEP_1)
	v_fma_f64 v[94:95], v[107:108], v[99:100], v[94:95]
	v_movrels_b32_e32 v100, v34
	s_add_i32 m0, s8, -12
	v_movrels_b32_e32 v99, v34
	s_add_i32 m0, s8, -9
	v_fma_f64 v[94:95], v[99:100], v[101:102], v[94:95]
	v_movrels_b32_e32 v100, v34
	s_add_i32 m0, s8, -10
	v_movrels_b32_e32 v99, v34
	s_add_i32 m0, s8, -7
	s_waitcnt lgkmcnt(0)
	s_delay_alu instid0(VALU_DEP_1)
	v_fma_f64 v[94:95], v[99:100], v[103:104], v[94:95]
	v_movrels_b32_e32 v100, v34
	s_add_i32 m0, s8, -8
	v_movrels_b32_e32 v99, v34
	s_add_i32 m0, s8, -5
	;; [unrolled: 2-line block ×4, first 2 shown]
	v_fma_f64 v[94:95], v[99:100], v[105:106], v[94:95]
	ds_load_2addr_b64 v[99:102], v109 offset0:4 offset1:5
	ds_load_2addr_b64 v[103:106], v109 offset0:6 offset1:7
	s_waitcnt lgkmcnt(1)
	v_fma_f64 v[94:95], v[107:108], v[99:100], v[94:95]
	v_movrels_b32_e32 v100, v34
	s_add_i32 m0, s8, -4
	v_movrels_b32_e32 v99, v34
	s_add_i32 m0, s8, -1
	s_delay_alu instid0(VALU_DEP_1)
	v_fma_f64 v[94:95], v[99:100], v[101:102], v[94:95]
	v_movrels_b32_e32 v100, v34
	s_add_i32 m0, s8, -2
	s_add_u32 s2, s2, 8
	v_movrels_b32_e32 v99, v34
	s_mov_b32 m0, s8
	s_addc_u32 s3, s3, 0
	s_add_i32 s8, s2, -7
	s_add_i32 s7, s7, 64
	s_waitcnt lgkmcnt(0)
	s_delay_alu instid0(VALU_DEP_3) | instskip(SKIP_2) | instid1(VALU_DEP_1)
	v_fma_f64 v[94:95], v[99:100], v[103:104], v[94:95]
	v_movrels_b32_e32 v100, v35
	v_movrels_b32_e32 v99, v34
	v_fma_f64 v[94:95], v[99:100], v[105:106], v[94:95]
	v_add_nc_u32_e32 v99, s2, v98
	s_delay_alu instid0(VALU_DEP_1) | instskip(SKIP_2) | instid1(SALU_CYCLE_1)
	v_cmp_eq_u32_e32 vcc_lo, 14, v99
	v_mov_b32_e32 v99, s8
	s_or_b32 s6, vcc_lo, s6
	s_and_not1_b32 exec_lo, exec_lo, s6
	s_cbranch_execnz .LBB13_91
; %bb.92:
	s_or_b32 exec_lo, exec_lo, s6
.LBB13_93:
	s_delay_alu instid0(SALU_CYCLE_1) | instskip(SKIP_3) | instid1(VALU_DEP_1)
	s_or_b32 exec_lo, exec_lo, s1
	v_and_b32_e32 v62, 7, v97
	s_mov_b32 s3, 0
	s_mov_b32 s2, exec_lo
	v_cmpx_ne_u32_e32 0, v62
	s_cbranch_execz .LBB13_97
; %bb.94:
	v_lshl_add_u32 v63, v99, 3, 0x70
	v_mov_b32_e32 v64, 0
.LBB13_95:                              ; =>This Inner Loop Header: Depth=1
	v_cmp_eq_u32_e32 vcc_lo, 1, v99
	v_cmp_eq_u32_e64 s1, 2, v99
	v_dual_cndmask_b32 v65, v35, v37 :: v_dual_add_nc_u32 v62, -1, v62
	v_cndmask_b32_e32 v97, v34, v36, vcc_lo
	v_cmp_eq_u32_e32 vcc_lo, 3, v99
	s_delay_alu instid0(VALU_DEP_3) | instskip(NEXT) | instid1(VALU_DEP_3)
	v_cndmask_b32_e64 v65, v65, v39, s1
	v_cndmask_b32_e64 v97, v97, v38, s1
	v_cmp_eq_u32_e64 s1, 4, v99
	s_delay_alu instid0(VALU_DEP_3) | instskip(NEXT) | instid1(VALU_DEP_3)
	v_cndmask_b32_e32 v65, v65, v41, vcc_lo
	v_cndmask_b32_e32 v97, v97, v40, vcc_lo
	v_cmp_eq_u32_e32 vcc_lo, 5, v99
	s_delay_alu instid0(VALU_DEP_3) | instskip(NEXT) | instid1(VALU_DEP_3)
	v_cndmask_b32_e64 v65, v65, v43, s1
	v_cndmask_b32_e64 v97, v97, v42, s1
	v_cmp_eq_u32_e64 s1, 6, v99
	s_delay_alu instid0(VALU_DEP_3) | instskip(NEXT) | instid1(VALU_DEP_3)
	v_cndmask_b32_e32 v65, v65, v45, vcc_lo
	;; [unrolled: 8-line block ×4, first 2 shown]
	v_cndmask_b32_e32 v100, v97, v52, vcc_lo
	ds_load_b64 v[97:98], v63
	v_cmp_eq_u32_e32 vcc_lo, 11, v99
	v_add_nc_u32_e32 v63, 8, v63
	v_cndmask_b32_e64 v65, v65, v55, s1
	v_cndmask_b32_e64 v100, v100, v54, s1
	v_cmp_eq_u32_e64 s1, 12, v99
	s_delay_alu instid0(VALU_DEP_2) | instskip(SKIP_1) | instid1(VALU_DEP_2)
	v_dual_cndmask_b32 v65, v65, v57 :: v_dual_cndmask_b32 v100, v100, v56
	v_cmp_eq_u32_e32 vcc_lo, 13, v99
	v_cndmask_b32_e64 v65, v65, v59, s1
	s_delay_alu instid0(VALU_DEP_3) | instskip(SKIP_1) | instid1(VALU_DEP_1)
	v_cndmask_b32_e64 v100, v100, v58, s1
	v_add_co_u32 v99, s1, v99, 1
	v_add_co_ci_u32_e64 v64, s1, 0, v64, s1
	s_delay_alu instid0(VALU_DEP_3) | instskip(SKIP_2) | instid1(VALU_DEP_2)
	v_dual_cndmask_b32 v100, v100, v60 :: v_dual_cndmask_b32 v101, v65, v61
	v_cmp_eq_u32_e32 vcc_lo, 0, v62
	s_waitcnt lgkmcnt(0)
	v_fma_f64 v[94:95], v[100:101], v[97:98], v[94:95]
	s_or_b32 s3, vcc_lo, s3
	s_delay_alu instid0(SALU_CYCLE_1)
	s_and_not1_b32 exec_lo, exec_lo, s3
	s_cbranch_execnz .LBB13_95
; %bb.96:
	s_or_b32 exec_lo, exec_lo, s3
.LBB13_97:
	s_delay_alu instid0(SALU_CYCLE_1)
	s_or_b32 exec_lo, exec_lo, s2
.LBB13_98:
	s_delay_alu instid0(SALU_CYCLE_1)
	s_or_b32 exec_lo, exec_lo, s5
	v_mov_b32_e32 v46, 0
	ds_load_b64 v[46:47], v46 offset:48
	s_waitcnt lgkmcnt(0)
	v_mul_f64 v[46:47], v[94:95], v[46:47]
.LBB13_99:
	s_or_b32 exec_lo, exec_lo, s4
	v_cmp_lt_u32_e64 s2, 5, v0
	ds_store_b64 v96, v[44:45]
	s_waitcnt lgkmcnt(0)
	s_barrier
	buffer_gl0_inv
	s_and_saveexec_b32 s3, s2
	s_cbranch_execz .LBB13_115
; %bb.100:
	s_and_not1_b32 vcc_lo, exec_lo, s14
	s_cbranch_vccnz .LBB13_102
; %bb.101:
	v_cmp_eq_u32_e32 vcc_lo, 1, v0
	v_dual_cndmask_b32 v94, v35, v37 :: v_dual_cndmask_b32 v95, v34, v36
	v_cmp_eq_u32_e32 vcc_lo, 2, v0
	s_delay_alu instid0(VALU_DEP_2) | instskip(SKIP_1) | instid1(VALU_DEP_2)
	v_dual_cndmask_b32 v94, v94, v39 :: v_dual_cndmask_b32 v95, v95, v38
	v_cmp_eq_u32_e32 vcc_lo, 3, v0
	v_dual_cndmask_b32 v94, v94, v41 :: v_dual_cndmask_b32 v95, v95, v40
	v_cmp_eq_u32_e32 vcc_lo, 4, v0
	s_delay_alu instid0(VALU_DEP_2) | instskip(SKIP_1) | instid1(VALU_DEP_2)
	v_dual_cndmask_b32 v94, v94, v43 :: v_dual_cndmask_b32 v95, v95, v42
	;; [unrolled: 5-line block ×4, first 2 shown]
	v_cmp_eq_u32_e32 vcc_lo, 9, v0
	v_dual_cndmask_b32 v94, v94, v53 :: v_dual_cndmask_b32 v95, v95, v52
	v_cmp_eq_u32_e32 vcc_lo, 10, v0
	s_delay_alu instid0(VALU_DEP_2) | instskip(SKIP_4) | instid1(VALU_DEP_2)
	v_dual_cndmask_b32 v97, v94, v55 :: v_dual_cndmask_b32 v98, v95, v54
	v_cmp_eq_u32_e32 vcc_lo, 11, v0
	ds_load_b64 v[94:95], v96
	v_dual_cndmask_b32 v97, v97, v57 :: v_dual_cndmask_b32 v98, v98, v56
	v_cmp_eq_u32_e32 vcc_lo, 12, v0
	v_cndmask_b32_e32 v97, v97, v59, vcc_lo
	s_delay_alu instid0(VALU_DEP_3) | instskip(SKIP_1) | instid1(VALU_DEP_2)
	v_cndmask_b32_e32 v99, v98, v58, vcc_lo
	v_cmp_eq_u32_e32 vcc_lo, 13, v0
	v_dual_cndmask_b32 v98, v97, v61 :: v_dual_cndmask_b32 v97, v99, v60
	s_waitcnt lgkmcnt(0)
	s_delay_alu instid0(VALU_DEP_1)
	v_mul_f64 v[94:95], v[97:98], v[94:95]
	s_cbranch_execz .LBB13_103
	s_branch .LBB13_104
.LBB13_102:
                                        ; implicit-def: $vgpr94_vgpr95
.LBB13_103:
	ds_load_b64 v[94:95], v96
.LBB13_104:
	s_and_saveexec_b32 s4, s0
	s_cbranch_execz .LBB13_114
; %bb.105:
	v_add_nc_u32_e32 v98, -7, v0
	v_add_nc_u32_e32 v97, -6, v0
	s_delay_alu instid0(VALU_DEP_2)
	v_cmp_lt_u32_e32 vcc_lo, 6, v98
	v_mov_b32_e32 v98, 6
	s_and_saveexec_b32 s5, vcc_lo
	s_cbranch_execz .LBB13_109
; %bb.106:
	v_and_b32_e32 v98, -8, v97
	s_mov_b32 s6, 0
	s_mov_b64 s[0:1], 13
	s_movk_i32 s7, 0xa0
	s_delay_alu instid0(VALU_DEP_1)
	v_sub_nc_u32_e32 v99, 0, v98
.LBB13_107:                             ; =>This Inner Loop Header: Depth=1
	v_mov_b32_e32 v98, s7
	s_lshl_b32 s8, s0, 1
	s_delay_alu instid0(SALU_CYCLE_1)
	s_add_i32 m0, s8, -13
	v_movrels_b32_e32 v109, v34
	ds_load_b128 v[100:103], v98
	ds_load_b128 v[104:107], v98 offset:16
	s_add_i32 m0, s8, -14
	v_movrels_b32_e32 v108, v34
	s_add_i32 m0, s8, -11
	s_waitcnt lgkmcnt(1)
	s_delay_alu instid0(VALU_DEP_1) | instskip(SKIP_4) | instid1(VALU_DEP_1)
	v_fma_f64 v[94:95], v[108:109], v[100:101], v[94:95]
	v_movrels_b32_e32 v101, v34
	s_add_i32 m0, s8, -12
	v_movrels_b32_e32 v100, v34
	s_add_i32 m0, s8, -9
	v_fma_f64 v[94:95], v[100:101], v[102:103], v[94:95]
	v_movrels_b32_e32 v101, v34
	s_add_i32 m0, s8, -10
	v_movrels_b32_e32 v100, v34
	s_add_i32 m0, s8, -7
	s_waitcnt lgkmcnt(0)
	s_delay_alu instid0(VALU_DEP_1)
	v_fma_f64 v[94:95], v[100:101], v[104:105], v[94:95]
	v_movrels_b32_e32 v101, v34
	s_add_i32 m0, s8, -8
	v_movrels_b32_e32 v100, v34
	s_add_i32 m0, s8, -5
	;; [unrolled: 2-line block ×4, first 2 shown]
	v_fma_f64 v[94:95], v[100:101], v[106:107], v[94:95]
	ds_load_b128 v[100:103], v98 offset:32
	ds_load_b128 v[104:107], v98 offset:48
	s_waitcnt lgkmcnt(1)
	v_fma_f64 v[94:95], v[108:109], v[100:101], v[94:95]
	v_movrels_b32_e32 v101, v34
	s_add_i32 m0, s8, -4
	v_movrels_b32_e32 v100, v34
	s_add_i32 m0, s8, -1
	s_delay_alu instid0(VALU_DEP_1)
	v_fma_f64 v[94:95], v[100:101], v[102:103], v[94:95]
	v_movrels_b32_e32 v101, v34
	s_add_i32 m0, s8, -2
	s_add_u32 s0, s0, 8
	v_movrels_b32_e32 v100, v34
	s_mov_b32 m0, s8
	v_add_nc_u32_e32 v98, s0, v99
	s_addc_u32 s1, s1, 0
	s_add_i32 s8, s0, -7
	s_add_i32 s7, s7, 64
	s_delay_alu instid0(VALU_DEP_1)
	v_cmp_eq_u32_e32 vcc_lo, 13, v98
	v_mov_b32_e32 v98, s8
	s_or_b32 s6, vcc_lo, s6
	s_waitcnt lgkmcnt(0)
	v_fma_f64 v[94:95], v[100:101], v[104:105], v[94:95]
	v_movrels_b32_e32 v101, v35
	v_movrels_b32_e32 v100, v34
	s_delay_alu instid0(VALU_DEP_1)
	v_fma_f64 v[94:95], v[100:101], v[106:107], v[94:95]
	s_and_not1_b32 exec_lo, exec_lo, s6
	s_cbranch_execnz .LBB13_107
; %bb.108:
	s_or_b32 exec_lo, exec_lo, s6
.LBB13_109:
	s_delay_alu instid0(SALU_CYCLE_1) | instskip(SKIP_3) | instid1(VALU_DEP_1)
	s_or_b32 exec_lo, exec_lo, s5
	v_and_b32_e32 v62, 7, v97
	s_mov_b32 s5, 0
	s_mov_b32 s1, exec_lo
	v_cmpx_ne_u32_e32 0, v62
	s_cbranch_execz .LBB13_113
; %bb.110:
	v_lshl_add_u32 v63, v98, 3, 0x70
	v_mov_b32_e32 v64, 0
.LBB13_111:                             ; =>This Inner Loop Header: Depth=1
	v_cmp_eq_u32_e32 vcc_lo, 1, v98
	v_cmp_eq_u32_e64 s0, 2, v98
	ds_load_b64 v[99:100], v63
	v_add_nc_u32_e32 v63, 8, v63
	v_dual_cndmask_b32 v65, v35, v37 :: v_dual_add_nc_u32 v62, -1, v62
	v_cndmask_b32_e32 v97, v34, v36, vcc_lo
	v_cmp_eq_u32_e32 vcc_lo, 3, v98
	s_delay_alu instid0(VALU_DEP_3) | instskip(NEXT) | instid1(VALU_DEP_3)
	v_cndmask_b32_e64 v65, v65, v39, s0
	v_cndmask_b32_e64 v97, v97, v38, s0
	v_cmp_eq_u32_e64 s0, 4, v98
	s_delay_alu instid0(VALU_DEP_3) | instskip(NEXT) | instid1(VALU_DEP_3)
	v_cndmask_b32_e32 v65, v65, v41, vcc_lo
	v_cndmask_b32_e32 v97, v97, v40, vcc_lo
	v_cmp_eq_u32_e32 vcc_lo, 5, v98
	s_delay_alu instid0(VALU_DEP_3) | instskip(NEXT) | instid1(VALU_DEP_3)
	v_cndmask_b32_e64 v65, v65, v43, s0
	v_cndmask_b32_e64 v97, v97, v42, s0
	v_cmp_eq_u32_e64 s0, 6, v98
	s_delay_alu instid0(VALU_DEP_3) | instskip(NEXT) | instid1(VALU_DEP_3)
	v_cndmask_b32_e32 v65, v65, v45, vcc_lo
	v_cndmask_b32_e32 v97, v97, v44, vcc_lo
	v_cmp_eq_u32_e32 vcc_lo, 7, v98
	s_delay_alu instid0(VALU_DEP_3) | instskip(NEXT) | instid1(VALU_DEP_3)
	v_cndmask_b32_e64 v65, v65, v47, s0
	v_cndmask_b32_e64 v97, v97, v46, s0
	v_cmp_eq_u32_e64 s0, 8, v98
	s_delay_alu instid0(VALU_DEP_3) | instskip(NEXT) | instid1(VALU_DEP_3)
	v_cndmask_b32_e32 v65, v65, v49, vcc_lo
	v_cndmask_b32_e32 v97, v97, v48, vcc_lo
	v_cmp_eq_u32_e32 vcc_lo, 9, v98
	s_delay_alu instid0(VALU_DEP_3) | instskip(NEXT) | instid1(VALU_DEP_3)
	v_cndmask_b32_e64 v65, v65, v51, s0
	v_cndmask_b32_e64 v97, v97, v50, s0
	v_cmp_eq_u32_e64 s0, 10, v98
	s_delay_alu instid0(VALU_DEP_3) | instskip(NEXT) | instid1(VALU_DEP_3)
	v_cndmask_b32_e32 v65, v65, v53, vcc_lo
	v_cndmask_b32_e32 v97, v97, v52, vcc_lo
	v_cmp_eq_u32_e32 vcc_lo, 11, v98
	s_delay_alu instid0(VALU_DEP_3) | instskip(NEXT) | instid1(VALU_DEP_3)
	v_cndmask_b32_e64 v65, v65, v55, s0
	v_cndmask_b32_e64 v97, v97, v54, s0
	v_cmp_eq_u32_e64 s0, 12, v98
	s_delay_alu instid0(VALU_DEP_3) | instskip(NEXT) | instid1(VALU_DEP_3)
	v_cndmask_b32_e32 v65, v65, v57, vcc_lo
	v_cndmask_b32_e32 v97, v97, v56, vcc_lo
	v_cmp_eq_u32_e32 vcc_lo, 13, v98
	s_delay_alu instid0(VALU_DEP_3) | instskip(NEXT) | instid1(VALU_DEP_3)
	v_cndmask_b32_e64 v65, v65, v59, s0
	v_cndmask_b32_e64 v97, v97, v58, s0
	v_add_co_u32 v98, s0, v98, 1
	s_delay_alu instid0(VALU_DEP_1) | instskip(NEXT) | instid1(VALU_DEP_4)
	v_add_co_ci_u32_e64 v64, s0, 0, v64, s0
	v_cndmask_b32_e32 v102, v65, v61, vcc_lo
	s_delay_alu instid0(VALU_DEP_4) | instskip(SKIP_2) | instid1(VALU_DEP_2)
	v_cndmask_b32_e32 v101, v97, v60, vcc_lo
	v_cmp_eq_u32_e32 vcc_lo, 0, v62
	s_waitcnt lgkmcnt(0)
	v_fma_f64 v[94:95], v[101:102], v[99:100], v[94:95]
	s_or_b32 s5, vcc_lo, s5
	s_delay_alu instid0(SALU_CYCLE_1)
	s_and_not1_b32 exec_lo, exec_lo, s5
	s_cbranch_execnz .LBB13_111
; %bb.112:
	s_or_b32 exec_lo, exec_lo, s5
.LBB13_113:
	s_delay_alu instid0(SALU_CYCLE_1)
	s_or_b32 exec_lo, exec_lo, s1
.LBB13_114:
	s_delay_alu instid0(SALU_CYCLE_1)
	s_or_b32 exec_lo, exec_lo, s4
	v_mov_b32_e32 v44, 0
	ds_load_b64 v[44:45], v44 offset:40
	s_waitcnt lgkmcnt(0)
	v_mul_f64 v[44:45], v[94:95], v[44:45]
.LBB13_115:
	s_or_b32 exec_lo, exec_lo, s3
	v_cmp_lt_u32_e64 s1, 4, v0
	ds_store_b64 v96, v[42:43]
	s_waitcnt lgkmcnt(0)
	s_barrier
	buffer_gl0_inv
	s_and_saveexec_b32 s4, s1
	s_cbranch_execz .LBB13_131
; %bb.116:
	s_and_not1_b32 vcc_lo, exec_lo, s14
	s_cbranch_vccnz .LBB13_118
; %bb.117:
	v_cmp_eq_u32_e32 vcc_lo, 1, v0
	v_dual_cndmask_b32 v94, v35, v37 :: v_dual_cndmask_b32 v95, v34, v36
	v_cmp_eq_u32_e32 vcc_lo, 2, v0
	s_delay_alu instid0(VALU_DEP_2) | instskip(SKIP_1) | instid1(VALU_DEP_2)
	v_dual_cndmask_b32 v94, v94, v39 :: v_dual_cndmask_b32 v95, v95, v38
	v_cmp_eq_u32_e32 vcc_lo, 3, v0
	v_dual_cndmask_b32 v94, v94, v41 :: v_dual_cndmask_b32 v95, v95, v40
	v_cmp_eq_u32_e32 vcc_lo, 4, v0
	s_delay_alu instid0(VALU_DEP_2) | instskip(SKIP_1) | instid1(VALU_DEP_2)
	v_dual_cndmask_b32 v94, v94, v43 :: v_dual_cndmask_b32 v95, v95, v42
	;; [unrolled: 5-line block ×4, first 2 shown]
	v_cmp_eq_u32_e32 vcc_lo, 9, v0
	v_dual_cndmask_b32 v94, v94, v53 :: v_dual_cndmask_b32 v95, v95, v52
	v_cmp_eq_u32_e32 vcc_lo, 10, v0
	s_delay_alu instid0(VALU_DEP_2) | instskip(SKIP_4) | instid1(VALU_DEP_2)
	v_dual_cndmask_b32 v97, v94, v55 :: v_dual_cndmask_b32 v98, v95, v54
	v_cmp_eq_u32_e32 vcc_lo, 11, v0
	ds_load_b64 v[94:95], v96
	v_dual_cndmask_b32 v97, v97, v57 :: v_dual_cndmask_b32 v98, v98, v56
	v_cmp_eq_u32_e32 vcc_lo, 12, v0
	v_cndmask_b32_e32 v97, v97, v59, vcc_lo
	s_delay_alu instid0(VALU_DEP_3) | instskip(SKIP_1) | instid1(VALU_DEP_2)
	v_cndmask_b32_e32 v99, v98, v58, vcc_lo
	v_cmp_eq_u32_e32 vcc_lo, 13, v0
	v_dual_cndmask_b32 v98, v97, v61 :: v_dual_cndmask_b32 v97, v99, v60
	s_waitcnt lgkmcnt(0)
	s_delay_alu instid0(VALU_DEP_1)
	v_mul_f64 v[94:95], v[97:98], v[94:95]
	s_cbranch_execz .LBB13_119
	s_branch .LBB13_120
.LBB13_118:
                                        ; implicit-def: $vgpr94_vgpr95
.LBB13_119:
	ds_load_b64 v[94:95], v96
.LBB13_120:
	s_and_saveexec_b32 s5, s2
	s_cbranch_execz .LBB13_130
; %bb.121:
	v_dual_mov_b32 v99, 5 :: v_dual_add_nc_u32 v98, -6, v0
	v_add_nc_u32_e32 v97, -5, v0
	s_mov_b32 s0, exec_lo
	s_delay_alu instid0(VALU_DEP_2)
	v_cmpx_lt_u32_e32 6, v98
	s_cbranch_execz .LBB13_125
; %bb.122:
	s_delay_alu instid0(VALU_DEP_2) | instskip(SKIP_3) | instid1(VALU_DEP_1)
	v_and_b32_e32 v98, -8, v97
	s_mov_b32 s6, 0
	s_mov_b64 s[2:3], 12
	s_movk_i32 s7, 0x98
	v_sub_nc_u32_e32 v98, 0, v98
.LBB13_123:                             ; =>This Inner Loop Header: Depth=1
	v_mov_b32_e32 v109, s7
	s_lshl_b32 s8, s2, 1
	s_delay_alu instid0(SALU_CYCLE_1)
	s_add_i32 m0, s8, -13
	v_movrels_b32_e32 v108, v34
	ds_load_2addr_b64 v[99:102], v109 offset1:1
	ds_load_2addr_b64 v[103:106], v109 offset0:2 offset1:3
	s_add_i32 m0, s8, -14
	v_movrels_b32_e32 v107, v34
	s_add_i32 m0, s8, -11
	s_waitcnt lgkmcnt(1)
	s_delay_alu instid0(VALU_DEP_1) | instskip(SKIP_4) | instid1(VALU_DEP_1)
	v_fma_f64 v[94:95], v[107:108], v[99:100], v[94:95]
	v_movrels_b32_e32 v100, v34
	s_add_i32 m0, s8, -12
	v_movrels_b32_e32 v99, v34
	s_add_i32 m0, s8, -9
	v_fma_f64 v[94:95], v[99:100], v[101:102], v[94:95]
	v_movrels_b32_e32 v100, v34
	s_add_i32 m0, s8, -10
	v_movrels_b32_e32 v99, v34
	s_add_i32 m0, s8, -7
	s_waitcnt lgkmcnt(0)
	s_delay_alu instid0(VALU_DEP_1)
	v_fma_f64 v[94:95], v[99:100], v[103:104], v[94:95]
	v_movrels_b32_e32 v100, v34
	s_add_i32 m0, s8, -8
	v_movrels_b32_e32 v99, v34
	s_add_i32 m0, s8, -5
	;; [unrolled: 2-line block ×4, first 2 shown]
	v_fma_f64 v[94:95], v[99:100], v[105:106], v[94:95]
	ds_load_2addr_b64 v[99:102], v109 offset0:4 offset1:5
	ds_load_2addr_b64 v[103:106], v109 offset0:6 offset1:7
	s_waitcnt lgkmcnt(1)
	v_fma_f64 v[94:95], v[107:108], v[99:100], v[94:95]
	v_movrels_b32_e32 v100, v34
	s_add_i32 m0, s8, -4
	v_movrels_b32_e32 v99, v34
	s_add_i32 m0, s8, -1
	s_delay_alu instid0(VALU_DEP_1)
	v_fma_f64 v[94:95], v[99:100], v[101:102], v[94:95]
	v_movrels_b32_e32 v100, v34
	s_add_i32 m0, s8, -2
	s_add_u32 s2, s2, 8
	v_movrels_b32_e32 v99, v34
	s_mov_b32 m0, s8
	s_addc_u32 s3, s3, 0
	s_add_i32 s8, s2, -7
	s_add_i32 s7, s7, 64
	s_waitcnt lgkmcnt(0)
	s_delay_alu instid0(VALU_DEP_3) | instskip(SKIP_2) | instid1(VALU_DEP_1)
	v_fma_f64 v[94:95], v[99:100], v[103:104], v[94:95]
	v_movrels_b32_e32 v100, v35
	v_movrels_b32_e32 v99, v34
	v_fma_f64 v[94:95], v[99:100], v[105:106], v[94:95]
	v_add_nc_u32_e32 v99, s2, v98
	s_delay_alu instid0(VALU_DEP_1) | instskip(SKIP_2) | instid1(SALU_CYCLE_1)
	v_cmp_eq_u32_e32 vcc_lo, 12, v99
	v_mov_b32_e32 v99, s8
	s_or_b32 s6, vcc_lo, s6
	s_and_not1_b32 exec_lo, exec_lo, s6
	s_cbranch_execnz .LBB13_123
; %bb.124:
	s_or_b32 exec_lo, exec_lo, s6
.LBB13_125:
	s_delay_alu instid0(SALU_CYCLE_1) | instskip(SKIP_3) | instid1(VALU_DEP_1)
	s_or_b32 exec_lo, exec_lo, s0
	v_and_b32_e32 v62, 7, v97
	s_mov_b32 s3, 0
	s_mov_b32 s2, exec_lo
	v_cmpx_ne_u32_e32 0, v62
	s_cbranch_execz .LBB13_129
; %bb.126:
	v_lshl_add_u32 v63, v99, 3, 0x70
	v_mov_b32_e32 v64, 0
.LBB13_127:                             ; =>This Inner Loop Header: Depth=1
	v_cmp_eq_u32_e32 vcc_lo, 1, v99
	v_cmp_eq_u32_e64 s0, 2, v99
	v_dual_cndmask_b32 v65, v35, v37 :: v_dual_add_nc_u32 v62, -1, v62
	v_cndmask_b32_e32 v97, v34, v36, vcc_lo
	v_cmp_eq_u32_e32 vcc_lo, 3, v99
	s_delay_alu instid0(VALU_DEP_3) | instskip(NEXT) | instid1(VALU_DEP_3)
	v_cndmask_b32_e64 v65, v65, v39, s0
	v_cndmask_b32_e64 v97, v97, v38, s0
	v_cmp_eq_u32_e64 s0, 4, v99
	s_delay_alu instid0(VALU_DEP_3) | instskip(NEXT) | instid1(VALU_DEP_3)
	v_cndmask_b32_e32 v65, v65, v41, vcc_lo
	v_cndmask_b32_e32 v97, v97, v40, vcc_lo
	v_cmp_eq_u32_e32 vcc_lo, 5, v99
	s_delay_alu instid0(VALU_DEP_3) | instskip(NEXT) | instid1(VALU_DEP_3)
	v_cndmask_b32_e64 v65, v65, v43, s0
	v_cndmask_b32_e64 v97, v97, v42, s0
	v_cmp_eq_u32_e64 s0, 6, v99
	s_delay_alu instid0(VALU_DEP_3) | instskip(NEXT) | instid1(VALU_DEP_3)
	v_cndmask_b32_e32 v65, v65, v45, vcc_lo
	;; [unrolled: 8-line block ×4, first 2 shown]
	v_cndmask_b32_e32 v100, v97, v52, vcc_lo
	ds_load_b64 v[97:98], v63
	v_cmp_eq_u32_e32 vcc_lo, 11, v99
	v_add_nc_u32_e32 v63, 8, v63
	v_cndmask_b32_e64 v65, v65, v55, s0
	v_cndmask_b32_e64 v100, v100, v54, s0
	v_cmp_eq_u32_e64 s0, 12, v99
	s_delay_alu instid0(VALU_DEP_2) | instskip(SKIP_1) | instid1(VALU_DEP_2)
	v_dual_cndmask_b32 v65, v65, v57 :: v_dual_cndmask_b32 v100, v100, v56
	v_cmp_eq_u32_e32 vcc_lo, 13, v99
	v_cndmask_b32_e64 v65, v65, v59, s0
	s_delay_alu instid0(VALU_DEP_3) | instskip(SKIP_1) | instid1(VALU_DEP_1)
	v_cndmask_b32_e64 v100, v100, v58, s0
	v_add_co_u32 v99, s0, v99, 1
	v_add_co_ci_u32_e64 v64, s0, 0, v64, s0
	s_delay_alu instid0(VALU_DEP_3) | instskip(SKIP_2) | instid1(VALU_DEP_2)
	v_dual_cndmask_b32 v100, v100, v60 :: v_dual_cndmask_b32 v101, v65, v61
	v_cmp_eq_u32_e32 vcc_lo, 0, v62
	s_waitcnt lgkmcnt(0)
	v_fma_f64 v[94:95], v[100:101], v[97:98], v[94:95]
	s_or_b32 s3, vcc_lo, s3
	s_delay_alu instid0(SALU_CYCLE_1)
	s_and_not1_b32 exec_lo, exec_lo, s3
	s_cbranch_execnz .LBB13_127
; %bb.128:
	s_or_b32 exec_lo, exec_lo, s3
.LBB13_129:
	s_delay_alu instid0(SALU_CYCLE_1)
	s_or_b32 exec_lo, exec_lo, s2
.LBB13_130:
	s_delay_alu instid0(SALU_CYCLE_1)
	s_or_b32 exec_lo, exec_lo, s5
	v_mov_b32_e32 v42, 0
	ds_load_b64 v[42:43], v42 offset:32
	s_waitcnt lgkmcnt(0)
	v_mul_f64 v[42:43], v[94:95], v[42:43]
.LBB13_131:
	s_or_b32 exec_lo, exec_lo, s4
	v_cmp_lt_u32_e64 s0, 3, v0
	ds_store_b64 v96, v[40:41]
	s_waitcnt lgkmcnt(0)
	s_barrier
	buffer_gl0_inv
	s_and_saveexec_b32 s4, s0
	s_cbranch_execz .LBB13_147
; %bb.132:
	s_and_not1_b32 vcc_lo, exec_lo, s14
	s_cbranch_vccnz .LBB13_134
; %bb.133:
	v_cmp_eq_u32_e32 vcc_lo, 1, v0
	v_dual_cndmask_b32 v94, v35, v37 :: v_dual_cndmask_b32 v95, v34, v36
	v_cmp_eq_u32_e32 vcc_lo, 2, v0
	s_delay_alu instid0(VALU_DEP_2) | instskip(SKIP_1) | instid1(VALU_DEP_2)
	v_dual_cndmask_b32 v94, v94, v39 :: v_dual_cndmask_b32 v95, v95, v38
	v_cmp_eq_u32_e32 vcc_lo, 3, v0
	v_dual_cndmask_b32 v94, v94, v41 :: v_dual_cndmask_b32 v95, v95, v40
	v_cmp_eq_u32_e32 vcc_lo, 4, v0
	s_delay_alu instid0(VALU_DEP_2) | instskip(SKIP_1) | instid1(VALU_DEP_2)
	v_dual_cndmask_b32 v94, v94, v43 :: v_dual_cndmask_b32 v95, v95, v42
	v_cmp_eq_u32_e32 vcc_lo, 5, v0
	v_dual_cndmask_b32 v94, v94, v45 :: v_dual_cndmask_b32 v95, v95, v44
	v_cmp_eq_u32_e32 vcc_lo, 6, v0
	s_delay_alu instid0(VALU_DEP_2) | instskip(SKIP_1) | instid1(VALU_DEP_2)
	v_dual_cndmask_b32 v94, v94, v47 :: v_dual_cndmask_b32 v95, v95, v46
	v_cmp_eq_u32_e32 vcc_lo, 7, v0
	v_dual_cndmask_b32 v94, v94, v49 :: v_dual_cndmask_b32 v95, v95, v48
	v_cmp_eq_u32_e32 vcc_lo, 8, v0
	s_delay_alu instid0(VALU_DEP_2) | instskip(SKIP_1) | instid1(VALU_DEP_2)
	v_dual_cndmask_b32 v94, v94, v51 :: v_dual_cndmask_b32 v95, v95, v50
	v_cmp_eq_u32_e32 vcc_lo, 9, v0
	v_dual_cndmask_b32 v94, v94, v53 :: v_dual_cndmask_b32 v95, v95, v52
	v_cmp_eq_u32_e32 vcc_lo, 10, v0
	s_delay_alu instid0(VALU_DEP_2) | instskip(SKIP_4) | instid1(VALU_DEP_2)
	v_dual_cndmask_b32 v97, v94, v55 :: v_dual_cndmask_b32 v98, v95, v54
	v_cmp_eq_u32_e32 vcc_lo, 11, v0
	ds_load_b64 v[94:95], v96
	v_dual_cndmask_b32 v97, v97, v57 :: v_dual_cndmask_b32 v98, v98, v56
	v_cmp_eq_u32_e32 vcc_lo, 12, v0
	v_cndmask_b32_e32 v97, v97, v59, vcc_lo
	s_delay_alu instid0(VALU_DEP_3) | instskip(SKIP_1) | instid1(VALU_DEP_2)
	v_cndmask_b32_e32 v99, v98, v58, vcc_lo
	v_cmp_eq_u32_e32 vcc_lo, 13, v0
	v_dual_cndmask_b32 v98, v97, v61 :: v_dual_cndmask_b32 v97, v99, v60
	s_waitcnt lgkmcnt(0)
	s_delay_alu instid0(VALU_DEP_1)
	v_mul_f64 v[94:95], v[97:98], v[94:95]
	s_cbranch_execz .LBB13_135
	s_branch .LBB13_136
.LBB13_134:
                                        ; implicit-def: $vgpr94_vgpr95
.LBB13_135:
	ds_load_b64 v[94:95], v96
.LBB13_136:
	s_and_saveexec_b32 s5, s1
	s_cbranch_execz .LBB13_146
; %bb.137:
	v_dual_mov_b32 v99, 4 :: v_dual_add_nc_u32 v98, -5, v0
	v_add_nc_u32_e32 v97, -4, v0
	s_mov_b32 s1, exec_lo
	s_delay_alu instid0(VALU_DEP_2)
	v_cmpx_lt_u32_e32 6, v98
	s_cbranch_execz .LBB13_141
; %bb.138:
	s_delay_alu instid0(VALU_DEP_2) | instskip(SKIP_3) | instid1(VALU_DEP_1)
	v_and_b32_e32 v98, -8, v97
	s_mov_b32 s6, 0
	s_mov_b64 s[2:3], 5
	s_movk_i32 s7, 0x90
	v_sub_nc_u32_e32 v98, 0, v98
.LBB13_139:                             ; =>This Inner Loop Header: Depth=1
	v_mov_b32_e32 v109, s7
	s_lshl_b32 s8, s2, 1
	s_delay_alu instid0(SALU_CYCLE_1)
	s_add_i32 m0, s8, -1
	s_add_i32 s9, s8, 3
	ds_load_b128 v[99:102], v109
	ds_load_b128 v[103:106], v109 offset:16
	v_movrels_b32_e32 v108, v34
	s_add_i32 m0, s8, -2
	s_add_i32 s10, s8, 2
	v_movrels_b32_e32 v107, v34
	s_mov_b32 m0, s8
	s_waitcnt lgkmcnt(1)
	s_delay_alu instid0(VALU_DEP_1) | instskip(SKIP_4) | instid1(VALU_DEP_1)
	v_fma_f64 v[94:95], v[107:108], v[99:100], v[94:95]
	v_movrels_b32_e32 v100, v35
	v_movrels_b32_e32 v99, v34
	s_mov_b32 m0, s9
	s_add_i32 s9, s8, 5
	v_fma_f64 v[94:95], v[99:100], v[101:102], v[94:95]
	v_movrels_b32_e32 v100, v34
	s_mov_b32 m0, s10
	s_add_i32 s10, s8, 4
	v_movrels_b32_e32 v99, v34
	s_mov_b32 m0, s9
	s_add_i32 s9, s8, 7
	s_waitcnt lgkmcnt(0)
	s_delay_alu instid0(VALU_DEP_1)
	v_fma_f64 v[94:95], v[99:100], v[103:104], v[94:95]
	v_movrels_b32_e32 v100, v34
	s_mov_b32 m0, s10
	s_add_i32 s10, s8, 6
	v_movrels_b32_e32 v99, v34
	s_mov_b32 m0, s9
	s_add_i32 s9, s8, 9
	;; [unrolled: 3-line block ×4, first 2 shown]
	v_fma_f64 v[94:95], v[99:100], v[105:106], v[94:95]
	ds_load_b128 v[99:102], v109 offset:32
	ds_load_b128 v[103:106], v109 offset:48
	s_waitcnt lgkmcnt(1)
	v_fma_f64 v[94:95], v[107:108], v[99:100], v[94:95]
	v_movrels_b32_e32 v100, v34
	s_mov_b32 m0, s10
	s_add_i32 s10, s8, 10
	v_movrels_b32_e32 v99, v34
	s_mov_b32 m0, s9
	s_add_i32 s9, s8, 13
	s_add_i32 s8, s8, 12
	s_add_u32 s2, s2, 8
	s_addc_u32 s3, s3, 0
	s_add_i32 s7, s7, 64
	s_delay_alu instid0(VALU_DEP_3)
	v_fma_f64 v[94:95], v[99:100], v[101:102], v[94:95]
	v_movrels_b32_e32 v100, v34
	s_mov_b32 m0, s10
	v_movrels_b32_e32 v99, v34
	s_mov_b32 m0, s9
	s_waitcnt lgkmcnt(0)
	s_delay_alu instid0(VALU_DEP_1) | instskip(SKIP_4) | instid1(VALU_DEP_1)
	v_fma_f64 v[94:95], v[99:100], v[103:104], v[94:95]
	v_movrels_b32_e32 v100, v34
	s_mov_b32 m0, s8
	s_add_i32 s8, s2, -1
	v_movrels_b32_e32 v99, v34
	v_fma_f64 v[94:95], v[99:100], v[105:106], v[94:95]
	v_add_nc_u32_e32 v99, s2, v98
	s_delay_alu instid0(VALU_DEP_1) | instskip(SKIP_2) | instid1(SALU_CYCLE_1)
	v_cmp_eq_u32_e32 vcc_lo, 5, v99
	v_mov_b32_e32 v99, s8
	s_or_b32 s6, vcc_lo, s6
	s_and_not1_b32 exec_lo, exec_lo, s6
	s_cbranch_execnz .LBB13_139
; %bb.140:
	s_or_b32 exec_lo, exec_lo, s6
.LBB13_141:
	s_delay_alu instid0(SALU_CYCLE_1) | instskip(SKIP_3) | instid1(VALU_DEP_1)
	s_or_b32 exec_lo, exec_lo, s1
	v_and_b32_e32 v62, 7, v97
	s_mov_b32 s3, 0
	s_mov_b32 s2, exec_lo
	v_cmpx_ne_u32_e32 0, v62
	s_cbranch_execz .LBB13_145
; %bb.142:
	v_lshl_add_u32 v63, v99, 3, 0x70
	v_mov_b32_e32 v64, 0
.LBB13_143:                             ; =>This Inner Loop Header: Depth=1
	v_cmp_eq_u32_e32 vcc_lo, 1, v99
	v_cmp_eq_u32_e64 s1, 2, v99
	v_dual_cndmask_b32 v65, v35, v37 :: v_dual_add_nc_u32 v62, -1, v62
	v_cndmask_b32_e32 v97, v34, v36, vcc_lo
	v_cmp_eq_u32_e32 vcc_lo, 3, v99
	s_delay_alu instid0(VALU_DEP_3) | instskip(NEXT) | instid1(VALU_DEP_3)
	v_cndmask_b32_e64 v65, v65, v39, s1
	v_cndmask_b32_e64 v97, v97, v38, s1
	v_cmp_eq_u32_e64 s1, 4, v99
	s_delay_alu instid0(VALU_DEP_3) | instskip(NEXT) | instid1(VALU_DEP_3)
	v_cndmask_b32_e32 v65, v65, v41, vcc_lo
	v_cndmask_b32_e32 v97, v97, v40, vcc_lo
	v_cmp_eq_u32_e32 vcc_lo, 5, v99
	s_delay_alu instid0(VALU_DEP_3) | instskip(NEXT) | instid1(VALU_DEP_3)
	v_cndmask_b32_e64 v65, v65, v43, s1
	v_cndmask_b32_e64 v97, v97, v42, s1
	v_cmp_eq_u32_e64 s1, 6, v99
	s_delay_alu instid0(VALU_DEP_3) | instskip(NEXT) | instid1(VALU_DEP_3)
	v_cndmask_b32_e32 v65, v65, v45, vcc_lo
	;; [unrolled: 8-line block ×4, first 2 shown]
	v_cndmask_b32_e32 v100, v97, v52, vcc_lo
	ds_load_b64 v[97:98], v63
	v_cmp_eq_u32_e32 vcc_lo, 11, v99
	v_add_nc_u32_e32 v63, 8, v63
	v_cndmask_b32_e64 v65, v65, v55, s1
	v_cndmask_b32_e64 v100, v100, v54, s1
	v_cmp_eq_u32_e64 s1, 12, v99
	s_delay_alu instid0(VALU_DEP_2) | instskip(SKIP_1) | instid1(VALU_DEP_2)
	v_dual_cndmask_b32 v65, v65, v57 :: v_dual_cndmask_b32 v100, v100, v56
	v_cmp_eq_u32_e32 vcc_lo, 13, v99
	v_cndmask_b32_e64 v65, v65, v59, s1
	s_delay_alu instid0(VALU_DEP_3) | instskip(SKIP_1) | instid1(VALU_DEP_1)
	v_cndmask_b32_e64 v100, v100, v58, s1
	v_add_co_u32 v99, s1, v99, 1
	v_add_co_ci_u32_e64 v64, s1, 0, v64, s1
	s_delay_alu instid0(VALU_DEP_3) | instskip(SKIP_2) | instid1(VALU_DEP_2)
	v_dual_cndmask_b32 v100, v100, v60 :: v_dual_cndmask_b32 v101, v65, v61
	v_cmp_eq_u32_e32 vcc_lo, 0, v62
	s_waitcnt lgkmcnt(0)
	v_fma_f64 v[94:95], v[100:101], v[97:98], v[94:95]
	s_or_b32 s3, vcc_lo, s3
	s_delay_alu instid0(SALU_CYCLE_1)
	s_and_not1_b32 exec_lo, exec_lo, s3
	s_cbranch_execnz .LBB13_143
; %bb.144:
	s_or_b32 exec_lo, exec_lo, s3
.LBB13_145:
	s_delay_alu instid0(SALU_CYCLE_1)
	s_or_b32 exec_lo, exec_lo, s2
.LBB13_146:
	s_delay_alu instid0(SALU_CYCLE_1)
	s_or_b32 exec_lo, exec_lo, s5
	v_mov_b32_e32 v40, 0
	ds_load_b64 v[40:41], v40 offset:24
	s_waitcnt lgkmcnt(0)
	v_mul_f64 v[40:41], v[94:95], v[40:41]
.LBB13_147:
	s_or_b32 exec_lo, exec_lo, s4
	v_cmp_lt_u32_e64 s1, 2, v0
	ds_store_b64 v96, v[38:39]
	s_waitcnt lgkmcnt(0)
	s_barrier
	buffer_gl0_inv
	s_and_saveexec_b32 s4, s1
	s_cbranch_execz .LBB13_163
; %bb.148:
	s_and_not1_b32 vcc_lo, exec_lo, s14
	s_cbranch_vccnz .LBB13_150
; %bb.149:
	v_cmp_eq_u32_e32 vcc_lo, 1, v0
	v_dual_cndmask_b32 v94, v35, v37 :: v_dual_cndmask_b32 v95, v34, v36
	v_cmp_eq_u32_e32 vcc_lo, 2, v0
	s_delay_alu instid0(VALU_DEP_2) | instskip(SKIP_1) | instid1(VALU_DEP_2)
	v_dual_cndmask_b32 v94, v94, v39 :: v_dual_cndmask_b32 v95, v95, v38
	v_cmp_eq_u32_e32 vcc_lo, 3, v0
	v_dual_cndmask_b32 v94, v94, v41 :: v_dual_cndmask_b32 v95, v95, v40
	v_cmp_eq_u32_e32 vcc_lo, 4, v0
	s_delay_alu instid0(VALU_DEP_2) | instskip(SKIP_1) | instid1(VALU_DEP_2)
	v_dual_cndmask_b32 v94, v94, v43 :: v_dual_cndmask_b32 v95, v95, v42
	;; [unrolled: 5-line block ×4, first 2 shown]
	v_cmp_eq_u32_e32 vcc_lo, 9, v0
	v_dual_cndmask_b32 v94, v94, v53 :: v_dual_cndmask_b32 v95, v95, v52
	v_cmp_eq_u32_e32 vcc_lo, 10, v0
	s_delay_alu instid0(VALU_DEP_2) | instskip(SKIP_4) | instid1(VALU_DEP_2)
	v_dual_cndmask_b32 v97, v94, v55 :: v_dual_cndmask_b32 v98, v95, v54
	v_cmp_eq_u32_e32 vcc_lo, 11, v0
	ds_load_b64 v[94:95], v96
	v_dual_cndmask_b32 v97, v97, v57 :: v_dual_cndmask_b32 v98, v98, v56
	v_cmp_eq_u32_e32 vcc_lo, 12, v0
	v_cndmask_b32_e32 v97, v97, v59, vcc_lo
	s_delay_alu instid0(VALU_DEP_3) | instskip(SKIP_1) | instid1(VALU_DEP_2)
	v_cndmask_b32_e32 v99, v98, v58, vcc_lo
	v_cmp_eq_u32_e32 vcc_lo, 13, v0
	v_dual_cndmask_b32 v98, v97, v61 :: v_dual_cndmask_b32 v97, v99, v60
	s_waitcnt lgkmcnt(0)
	s_delay_alu instid0(VALU_DEP_1)
	v_mul_f64 v[94:95], v[97:98], v[94:95]
	s_cbranch_execz .LBB13_151
	s_branch .LBB13_152
.LBB13_150:
                                        ; implicit-def: $vgpr94_vgpr95
.LBB13_151:
	ds_load_b64 v[94:95], v96
.LBB13_152:
	s_and_saveexec_b32 s5, s0
	s_cbranch_execz .LBB13_162
; %bb.153:
	v_dual_mov_b32 v99, 3 :: v_dual_add_nc_u32 v98, -4, v0
	v_add_nc_u32_e32 v97, -3, v0
	s_mov_b32 s0, exec_lo
	s_delay_alu instid0(VALU_DEP_2)
	v_cmpx_lt_u32_e32 6, v98
	s_cbranch_execz .LBB13_157
; %bb.154:
	s_delay_alu instid0(VALU_DEP_2) | instskip(SKIP_3) | instid1(VALU_DEP_1)
	v_and_b32_e32 v98, -8, v97
	s_mov_b32 s6, 0
	s_mov_b64 s[2:3], 10
	s_movk_i32 s7, 0x88
	v_sub_nc_u32_e32 v98, 0, v98
.LBB13_155:                             ; =>This Inner Loop Header: Depth=1
	v_mov_b32_e32 v109, s7
	s_lshl_b32 s8, s2, 1
	s_delay_alu instid0(SALU_CYCLE_1)
	s_add_i32 m0, s8, -13
	v_movrels_b32_e32 v108, v34
	ds_load_2addr_b64 v[99:102], v109 offset1:1
	ds_load_2addr_b64 v[103:106], v109 offset0:2 offset1:3
	s_add_i32 m0, s8, -14
	v_movrels_b32_e32 v107, v34
	s_add_i32 m0, s8, -11
	s_waitcnt lgkmcnt(1)
	s_delay_alu instid0(VALU_DEP_1) | instskip(SKIP_4) | instid1(VALU_DEP_1)
	v_fma_f64 v[94:95], v[107:108], v[99:100], v[94:95]
	v_movrels_b32_e32 v100, v34
	s_add_i32 m0, s8, -12
	v_movrels_b32_e32 v99, v34
	s_add_i32 m0, s8, -9
	v_fma_f64 v[94:95], v[99:100], v[101:102], v[94:95]
	v_movrels_b32_e32 v100, v34
	s_add_i32 m0, s8, -10
	v_movrels_b32_e32 v99, v34
	s_add_i32 m0, s8, -7
	s_waitcnt lgkmcnt(0)
	s_delay_alu instid0(VALU_DEP_1)
	v_fma_f64 v[94:95], v[99:100], v[103:104], v[94:95]
	v_movrels_b32_e32 v100, v34
	s_add_i32 m0, s8, -8
	v_movrels_b32_e32 v99, v34
	s_add_i32 m0, s8, -5
	;; [unrolled: 2-line block ×4, first 2 shown]
	v_fma_f64 v[94:95], v[99:100], v[105:106], v[94:95]
	ds_load_2addr_b64 v[99:102], v109 offset0:4 offset1:5
	ds_load_2addr_b64 v[103:106], v109 offset0:6 offset1:7
	s_waitcnt lgkmcnt(1)
	v_fma_f64 v[94:95], v[107:108], v[99:100], v[94:95]
	v_movrels_b32_e32 v100, v34
	s_add_i32 m0, s8, -4
	v_movrels_b32_e32 v99, v34
	s_add_i32 m0, s8, -1
	s_delay_alu instid0(VALU_DEP_1)
	v_fma_f64 v[94:95], v[99:100], v[101:102], v[94:95]
	v_movrels_b32_e32 v100, v34
	s_add_i32 m0, s8, -2
	s_add_u32 s2, s2, 8
	v_movrels_b32_e32 v99, v34
	s_mov_b32 m0, s8
	s_addc_u32 s3, s3, 0
	s_add_i32 s8, s2, -7
	s_add_i32 s7, s7, 64
	s_waitcnt lgkmcnt(0)
	s_delay_alu instid0(VALU_DEP_3) | instskip(SKIP_2) | instid1(VALU_DEP_1)
	v_fma_f64 v[94:95], v[99:100], v[103:104], v[94:95]
	v_movrels_b32_e32 v100, v35
	v_movrels_b32_e32 v99, v34
	v_fma_f64 v[94:95], v[99:100], v[105:106], v[94:95]
	v_add_nc_u32_e32 v99, s2, v98
	s_delay_alu instid0(VALU_DEP_1) | instskip(SKIP_2) | instid1(SALU_CYCLE_1)
	v_cmp_eq_u32_e32 vcc_lo, 10, v99
	v_mov_b32_e32 v99, s8
	s_or_b32 s6, vcc_lo, s6
	s_and_not1_b32 exec_lo, exec_lo, s6
	s_cbranch_execnz .LBB13_155
; %bb.156:
	s_or_b32 exec_lo, exec_lo, s6
.LBB13_157:
	s_delay_alu instid0(SALU_CYCLE_1) | instskip(SKIP_3) | instid1(VALU_DEP_1)
	s_or_b32 exec_lo, exec_lo, s0
	v_and_b32_e32 v62, 7, v97
	s_mov_b32 s3, 0
	s_mov_b32 s2, exec_lo
	v_cmpx_ne_u32_e32 0, v62
	s_cbranch_execz .LBB13_161
; %bb.158:
	v_lshl_add_u32 v63, v99, 3, 0x70
	v_mov_b32_e32 v64, 0
.LBB13_159:                             ; =>This Inner Loop Header: Depth=1
	v_cmp_eq_u32_e32 vcc_lo, 1, v99
	v_cmp_eq_u32_e64 s0, 2, v99
	v_dual_cndmask_b32 v65, v35, v37 :: v_dual_add_nc_u32 v62, -1, v62
	v_cndmask_b32_e32 v97, v34, v36, vcc_lo
	v_cmp_eq_u32_e32 vcc_lo, 3, v99
	s_delay_alu instid0(VALU_DEP_3) | instskip(NEXT) | instid1(VALU_DEP_3)
	v_cndmask_b32_e64 v65, v65, v39, s0
	v_cndmask_b32_e64 v97, v97, v38, s0
	v_cmp_eq_u32_e64 s0, 4, v99
	s_delay_alu instid0(VALU_DEP_3) | instskip(NEXT) | instid1(VALU_DEP_3)
	v_cndmask_b32_e32 v65, v65, v41, vcc_lo
	v_cndmask_b32_e32 v97, v97, v40, vcc_lo
	v_cmp_eq_u32_e32 vcc_lo, 5, v99
	s_delay_alu instid0(VALU_DEP_3) | instskip(NEXT) | instid1(VALU_DEP_3)
	v_cndmask_b32_e64 v65, v65, v43, s0
	v_cndmask_b32_e64 v97, v97, v42, s0
	v_cmp_eq_u32_e64 s0, 6, v99
	s_delay_alu instid0(VALU_DEP_3) | instskip(NEXT) | instid1(VALU_DEP_3)
	v_cndmask_b32_e32 v65, v65, v45, vcc_lo
	;; [unrolled: 8-line block ×4, first 2 shown]
	v_cndmask_b32_e32 v100, v97, v52, vcc_lo
	ds_load_b64 v[97:98], v63
	v_cmp_eq_u32_e32 vcc_lo, 11, v99
	v_add_nc_u32_e32 v63, 8, v63
	v_cndmask_b32_e64 v65, v65, v55, s0
	v_cndmask_b32_e64 v100, v100, v54, s0
	v_cmp_eq_u32_e64 s0, 12, v99
	s_delay_alu instid0(VALU_DEP_2) | instskip(SKIP_1) | instid1(VALU_DEP_2)
	v_dual_cndmask_b32 v65, v65, v57 :: v_dual_cndmask_b32 v100, v100, v56
	v_cmp_eq_u32_e32 vcc_lo, 13, v99
	v_cndmask_b32_e64 v65, v65, v59, s0
	s_delay_alu instid0(VALU_DEP_3) | instskip(SKIP_1) | instid1(VALU_DEP_1)
	v_cndmask_b32_e64 v100, v100, v58, s0
	v_add_co_u32 v99, s0, v99, 1
	v_add_co_ci_u32_e64 v64, s0, 0, v64, s0
	s_delay_alu instid0(VALU_DEP_3) | instskip(SKIP_2) | instid1(VALU_DEP_2)
	v_dual_cndmask_b32 v100, v100, v60 :: v_dual_cndmask_b32 v101, v65, v61
	v_cmp_eq_u32_e32 vcc_lo, 0, v62
	s_waitcnt lgkmcnt(0)
	v_fma_f64 v[94:95], v[100:101], v[97:98], v[94:95]
	s_or_b32 s3, vcc_lo, s3
	s_delay_alu instid0(SALU_CYCLE_1)
	s_and_not1_b32 exec_lo, exec_lo, s3
	s_cbranch_execnz .LBB13_159
; %bb.160:
	s_or_b32 exec_lo, exec_lo, s3
.LBB13_161:
	s_delay_alu instid0(SALU_CYCLE_1)
	s_or_b32 exec_lo, exec_lo, s2
.LBB13_162:
	s_delay_alu instid0(SALU_CYCLE_1)
	s_or_b32 exec_lo, exec_lo, s5
	v_mov_b32_e32 v38, 0
	ds_load_b64 v[38:39], v38 offset:16
	s_waitcnt lgkmcnt(0)
	v_mul_f64 v[38:39], v[94:95], v[38:39]
.LBB13_163:
	s_or_b32 exec_lo, exec_lo, s4
	v_cmp_lt_u32_e64 s0, 1, v0
	ds_store_b64 v96, v[36:37]
	s_waitcnt lgkmcnt(0)
	s_barrier
	buffer_gl0_inv
	s_and_saveexec_b32 s4, s0
	s_cbranch_execz .LBB13_179
; %bb.164:
	s_and_not1_b32 vcc_lo, exec_lo, s14
	s_cbranch_vccnz .LBB13_166
; %bb.165:
	v_cmp_eq_u32_e32 vcc_lo, 1, v0
	v_dual_cndmask_b32 v94, v35, v37 :: v_dual_cndmask_b32 v95, v34, v36
	v_cmp_eq_u32_e32 vcc_lo, 2, v0
	s_delay_alu instid0(VALU_DEP_2) | instskip(SKIP_1) | instid1(VALU_DEP_2)
	v_dual_cndmask_b32 v94, v94, v39 :: v_dual_cndmask_b32 v95, v95, v38
	v_cmp_eq_u32_e32 vcc_lo, 3, v0
	v_dual_cndmask_b32 v94, v94, v41 :: v_dual_cndmask_b32 v95, v95, v40
	v_cmp_eq_u32_e32 vcc_lo, 4, v0
	s_delay_alu instid0(VALU_DEP_2) | instskip(SKIP_1) | instid1(VALU_DEP_2)
	v_dual_cndmask_b32 v94, v94, v43 :: v_dual_cndmask_b32 v95, v95, v42
	;; [unrolled: 5-line block ×4, first 2 shown]
	v_cmp_eq_u32_e32 vcc_lo, 9, v0
	v_dual_cndmask_b32 v94, v94, v53 :: v_dual_cndmask_b32 v95, v95, v52
	v_cmp_eq_u32_e32 vcc_lo, 10, v0
	s_delay_alu instid0(VALU_DEP_2) | instskip(SKIP_4) | instid1(VALU_DEP_2)
	v_dual_cndmask_b32 v97, v94, v55 :: v_dual_cndmask_b32 v98, v95, v54
	v_cmp_eq_u32_e32 vcc_lo, 11, v0
	ds_load_b64 v[94:95], v96
	v_dual_cndmask_b32 v97, v97, v57 :: v_dual_cndmask_b32 v98, v98, v56
	v_cmp_eq_u32_e32 vcc_lo, 12, v0
	v_cndmask_b32_e32 v97, v97, v59, vcc_lo
	s_delay_alu instid0(VALU_DEP_3) | instskip(SKIP_1) | instid1(VALU_DEP_2)
	v_cndmask_b32_e32 v99, v98, v58, vcc_lo
	v_cmp_eq_u32_e32 vcc_lo, 13, v0
	v_dual_cndmask_b32 v98, v97, v61 :: v_dual_cndmask_b32 v97, v99, v60
	s_waitcnt lgkmcnt(0)
	s_delay_alu instid0(VALU_DEP_1)
	v_mul_f64 v[94:95], v[97:98], v[94:95]
	s_cbranch_execz .LBB13_167
	s_branch .LBB13_168
.LBB13_166:
                                        ; implicit-def: $vgpr94_vgpr95
.LBB13_167:
	ds_load_b64 v[94:95], v96
.LBB13_168:
	s_and_saveexec_b32 s5, s1
	s_cbranch_execz .LBB13_178
; %bb.169:
	v_add_nc_u32_e32 v98, -3, v0
	v_add_nc_u32_e32 v97, -2, v0
	s_delay_alu instid0(VALU_DEP_2)
	v_cmp_lt_u32_e32 vcc_lo, 6, v98
	v_mov_b32_e32 v98, 2
	s_and_saveexec_b32 s1, vcc_lo
	s_cbranch_execz .LBB13_173
; %bb.170:
	v_and_b32_e32 v98, -8, v97
	s_mov_b32 s6, 0
	s_mov_b64 s[2:3], 9
	s_movk_i32 s7, 0x80
	s_delay_alu instid0(VALU_DEP_1)
	v_sub_nc_u32_e32 v99, 0, v98
.LBB13_171:                             ; =>This Inner Loop Header: Depth=1
	v_mov_b32_e32 v98, s7
	s_lshl_b32 s8, s2, 1
	s_delay_alu instid0(SALU_CYCLE_1)
	s_add_i32 m0, s8, -13
	v_movrels_b32_e32 v109, v34
	ds_load_b128 v[100:103], v98
	ds_load_b128 v[104:107], v98 offset:16
	s_add_i32 m0, s8, -14
	v_movrels_b32_e32 v108, v34
	s_add_i32 m0, s8, -11
	s_waitcnt lgkmcnt(1)
	s_delay_alu instid0(VALU_DEP_1) | instskip(SKIP_4) | instid1(VALU_DEP_1)
	v_fma_f64 v[94:95], v[108:109], v[100:101], v[94:95]
	v_movrels_b32_e32 v101, v34
	s_add_i32 m0, s8, -12
	v_movrels_b32_e32 v100, v34
	s_add_i32 m0, s8, -9
	v_fma_f64 v[94:95], v[100:101], v[102:103], v[94:95]
	v_movrels_b32_e32 v101, v34
	s_add_i32 m0, s8, -10
	v_movrels_b32_e32 v100, v34
	s_add_i32 m0, s8, -7
	s_waitcnt lgkmcnt(0)
	s_delay_alu instid0(VALU_DEP_1)
	v_fma_f64 v[94:95], v[100:101], v[104:105], v[94:95]
	v_movrels_b32_e32 v101, v34
	s_add_i32 m0, s8, -8
	v_movrels_b32_e32 v100, v34
	s_add_i32 m0, s8, -5
	;; [unrolled: 2-line block ×4, first 2 shown]
	v_fma_f64 v[94:95], v[100:101], v[106:107], v[94:95]
	ds_load_b128 v[100:103], v98 offset:32
	ds_load_b128 v[104:107], v98 offset:48
	s_waitcnt lgkmcnt(1)
	v_fma_f64 v[94:95], v[108:109], v[100:101], v[94:95]
	v_movrels_b32_e32 v101, v34
	s_add_i32 m0, s8, -4
	v_movrels_b32_e32 v100, v34
	s_add_i32 m0, s8, -1
	s_delay_alu instid0(VALU_DEP_1)
	v_fma_f64 v[94:95], v[100:101], v[102:103], v[94:95]
	v_movrels_b32_e32 v101, v34
	s_add_i32 m0, s8, -2
	s_add_u32 s2, s2, 8
	v_movrels_b32_e32 v100, v34
	s_mov_b32 m0, s8
	v_add_nc_u32_e32 v98, s2, v99
	s_addc_u32 s3, s3, 0
	s_add_i32 s8, s2, -7
	s_add_i32 s7, s7, 64
	s_delay_alu instid0(VALU_DEP_1)
	v_cmp_eq_u32_e32 vcc_lo, 9, v98
	v_mov_b32_e32 v98, s8
	s_or_b32 s6, vcc_lo, s6
	s_waitcnt lgkmcnt(0)
	v_fma_f64 v[94:95], v[100:101], v[104:105], v[94:95]
	v_movrels_b32_e32 v101, v35
	v_movrels_b32_e32 v100, v34
	s_delay_alu instid0(VALU_DEP_1)
	v_fma_f64 v[94:95], v[100:101], v[106:107], v[94:95]
	s_and_not1_b32 exec_lo, exec_lo, s6
	s_cbranch_execnz .LBB13_171
; %bb.172:
	s_or_b32 exec_lo, exec_lo, s6
.LBB13_173:
	s_delay_alu instid0(SALU_CYCLE_1) | instskip(SKIP_3) | instid1(VALU_DEP_1)
	s_or_b32 exec_lo, exec_lo, s1
	v_and_b32_e32 v62, 7, v97
	s_mov_b32 s3, 0
	s_mov_b32 s2, exec_lo
	v_cmpx_ne_u32_e32 0, v62
	s_cbranch_execz .LBB13_177
; %bb.174:
	v_lshl_add_u32 v63, v98, 3, 0x70
	v_mov_b32_e32 v64, 0
.LBB13_175:                             ; =>This Inner Loop Header: Depth=1
	v_cmp_eq_u32_e32 vcc_lo, 1, v98
	v_cmp_eq_u32_e64 s1, 2, v98
	ds_load_b64 v[99:100], v63
	v_add_nc_u32_e32 v63, 8, v63
	v_dual_cndmask_b32 v65, v35, v37 :: v_dual_add_nc_u32 v62, -1, v62
	v_cndmask_b32_e32 v97, v34, v36, vcc_lo
	v_cmp_eq_u32_e32 vcc_lo, 3, v98
	s_delay_alu instid0(VALU_DEP_3) | instskip(NEXT) | instid1(VALU_DEP_3)
	v_cndmask_b32_e64 v65, v65, v39, s1
	v_cndmask_b32_e64 v97, v97, v38, s1
	v_cmp_eq_u32_e64 s1, 4, v98
	s_delay_alu instid0(VALU_DEP_3) | instskip(NEXT) | instid1(VALU_DEP_3)
	v_cndmask_b32_e32 v65, v65, v41, vcc_lo
	v_cndmask_b32_e32 v97, v97, v40, vcc_lo
	v_cmp_eq_u32_e32 vcc_lo, 5, v98
	s_delay_alu instid0(VALU_DEP_3) | instskip(NEXT) | instid1(VALU_DEP_3)
	v_cndmask_b32_e64 v65, v65, v43, s1
	v_cndmask_b32_e64 v97, v97, v42, s1
	v_cmp_eq_u32_e64 s1, 6, v98
	s_delay_alu instid0(VALU_DEP_3) | instskip(NEXT) | instid1(VALU_DEP_3)
	v_cndmask_b32_e32 v65, v65, v45, vcc_lo
	v_cndmask_b32_e32 v97, v97, v44, vcc_lo
	v_cmp_eq_u32_e32 vcc_lo, 7, v98
	s_delay_alu instid0(VALU_DEP_3) | instskip(NEXT) | instid1(VALU_DEP_3)
	v_cndmask_b32_e64 v65, v65, v47, s1
	v_cndmask_b32_e64 v97, v97, v46, s1
	v_cmp_eq_u32_e64 s1, 8, v98
	s_delay_alu instid0(VALU_DEP_3) | instskip(NEXT) | instid1(VALU_DEP_3)
	v_cndmask_b32_e32 v65, v65, v49, vcc_lo
	v_cndmask_b32_e32 v97, v97, v48, vcc_lo
	v_cmp_eq_u32_e32 vcc_lo, 9, v98
	s_delay_alu instid0(VALU_DEP_3) | instskip(NEXT) | instid1(VALU_DEP_3)
	v_cndmask_b32_e64 v65, v65, v51, s1
	v_cndmask_b32_e64 v97, v97, v50, s1
	v_cmp_eq_u32_e64 s1, 10, v98
	s_delay_alu instid0(VALU_DEP_3) | instskip(NEXT) | instid1(VALU_DEP_3)
	v_cndmask_b32_e32 v65, v65, v53, vcc_lo
	v_cndmask_b32_e32 v97, v97, v52, vcc_lo
	v_cmp_eq_u32_e32 vcc_lo, 11, v98
	s_delay_alu instid0(VALU_DEP_3) | instskip(NEXT) | instid1(VALU_DEP_3)
	v_cndmask_b32_e64 v65, v65, v55, s1
	v_cndmask_b32_e64 v97, v97, v54, s1
	v_cmp_eq_u32_e64 s1, 12, v98
	s_delay_alu instid0(VALU_DEP_3) | instskip(NEXT) | instid1(VALU_DEP_3)
	v_cndmask_b32_e32 v65, v65, v57, vcc_lo
	v_cndmask_b32_e32 v97, v97, v56, vcc_lo
	v_cmp_eq_u32_e32 vcc_lo, 13, v98
	s_delay_alu instid0(VALU_DEP_3) | instskip(NEXT) | instid1(VALU_DEP_3)
	v_cndmask_b32_e64 v65, v65, v59, s1
	v_cndmask_b32_e64 v97, v97, v58, s1
	v_add_co_u32 v98, s1, v98, 1
	s_delay_alu instid0(VALU_DEP_1) | instskip(NEXT) | instid1(VALU_DEP_4)
	v_add_co_ci_u32_e64 v64, s1, 0, v64, s1
	v_cndmask_b32_e32 v102, v65, v61, vcc_lo
	s_delay_alu instid0(VALU_DEP_4) | instskip(SKIP_2) | instid1(VALU_DEP_2)
	v_cndmask_b32_e32 v101, v97, v60, vcc_lo
	v_cmp_eq_u32_e32 vcc_lo, 0, v62
	s_waitcnt lgkmcnt(0)
	v_fma_f64 v[94:95], v[101:102], v[99:100], v[94:95]
	s_or_b32 s3, vcc_lo, s3
	s_delay_alu instid0(SALU_CYCLE_1)
	s_and_not1_b32 exec_lo, exec_lo, s3
	s_cbranch_execnz .LBB13_175
; %bb.176:
	s_or_b32 exec_lo, exec_lo, s3
.LBB13_177:
	s_delay_alu instid0(SALU_CYCLE_1)
	s_or_b32 exec_lo, exec_lo, s2
.LBB13_178:
	s_delay_alu instid0(SALU_CYCLE_1)
	s_or_b32 exec_lo, exec_lo, s5
	v_mov_b32_e32 v36, 0
	ds_load_b64 v[36:37], v36 offset:8
	s_waitcnt lgkmcnt(0)
	v_mul_f64 v[36:37], v[94:95], v[36:37]
.LBB13_179:
	s_or_b32 exec_lo, exec_lo, s4
	s_mov_b32 s2, 0
	s_mov_b32 s3, exec_lo
	ds_store_b64 v96, v[34:35]
	s_waitcnt lgkmcnt(0)
	s_barrier
	buffer_gl0_inv
	v_cmpx_ne_u32_e32 0, v0
	s_cbranch_execz .LBB13_195
; %bb.180:
	s_and_not1_b32 vcc_lo, exec_lo, s14
	s_cbranch_vccnz .LBB13_182
; %bb.181:
	v_cmp_eq_u32_e32 vcc_lo, 1, v0
	v_dual_cndmask_b32 v94, v35, v37 :: v_dual_cndmask_b32 v95, v34, v36
	v_cmp_eq_u32_e32 vcc_lo, 2, v0
	s_delay_alu instid0(VALU_DEP_2) | instskip(SKIP_1) | instid1(VALU_DEP_2)
	v_dual_cndmask_b32 v94, v94, v39 :: v_dual_cndmask_b32 v95, v95, v38
	v_cmp_eq_u32_e32 vcc_lo, 3, v0
	v_dual_cndmask_b32 v94, v94, v41 :: v_dual_cndmask_b32 v95, v95, v40
	v_cmp_eq_u32_e32 vcc_lo, 4, v0
	s_delay_alu instid0(VALU_DEP_2) | instskip(SKIP_1) | instid1(VALU_DEP_2)
	v_dual_cndmask_b32 v94, v94, v43 :: v_dual_cndmask_b32 v95, v95, v42
	;; [unrolled: 5-line block ×4, first 2 shown]
	v_cmp_eq_u32_e32 vcc_lo, 9, v0
	v_dual_cndmask_b32 v94, v94, v53 :: v_dual_cndmask_b32 v95, v95, v52
	v_cmp_eq_u32_e32 vcc_lo, 10, v0
	s_delay_alu instid0(VALU_DEP_2) | instskip(SKIP_4) | instid1(VALU_DEP_2)
	v_dual_cndmask_b32 v97, v94, v55 :: v_dual_cndmask_b32 v98, v95, v54
	v_cmp_eq_u32_e32 vcc_lo, 11, v0
	ds_load_b64 v[94:95], v96
	v_dual_cndmask_b32 v97, v97, v57 :: v_dual_cndmask_b32 v98, v98, v56
	v_cmp_eq_u32_e32 vcc_lo, 12, v0
	v_cndmask_b32_e32 v97, v97, v59, vcc_lo
	s_delay_alu instid0(VALU_DEP_3) | instskip(SKIP_1) | instid1(VALU_DEP_2)
	v_cndmask_b32_e32 v99, v98, v58, vcc_lo
	v_cmp_eq_u32_e32 vcc_lo, 13, v0
	v_dual_cndmask_b32 v98, v97, v61 :: v_dual_cndmask_b32 v97, v99, v60
	s_waitcnt lgkmcnt(0)
	s_delay_alu instid0(VALU_DEP_1)
	v_mul_f64 v[94:95], v[97:98], v[94:95]
	s_cbranch_execz .LBB13_183
	s_branch .LBB13_184
.LBB13_182:
                                        ; implicit-def: $vgpr94_vgpr95
.LBB13_183:
	ds_load_b64 v[94:95], v96
.LBB13_184:
	s_and_saveexec_b32 s4, s0
	s_cbranch_execz .LBB13_194
; %bb.185:
	v_dual_mov_b32 v99, 1 :: v_dual_add_nc_u32 v98, -2, v0
	v_add_nc_u32_e32 v97, -1, v0
	s_mov_b32 s5, exec_lo
	s_delay_alu instid0(VALU_DEP_2)
	v_cmpx_lt_u32_e32 6, v98
	s_cbranch_execz .LBB13_189
; %bb.186:
	s_delay_alu instid0(VALU_DEP_2) | instskip(SKIP_3) | instid1(VALU_DEP_1)
	v_and_b32_e32 v98, -8, v97
	s_mov_b32 s6, 0
	s_mov_b64 s[0:1], 8
	s_movk_i32 s7, 0x78
	v_sub_nc_u32_e32 v98, 0, v98
.LBB13_187:                             ; =>This Inner Loop Header: Depth=1
	v_mov_b32_e32 v109, s7
	s_lshl_b32 s8, s0, 1
	s_delay_alu instid0(SALU_CYCLE_1)
	s_add_i32 m0, s8, -13
	v_movrels_b32_e32 v108, v34
	ds_load_2addr_b64 v[99:102], v109 offset1:1
	ds_load_2addr_b64 v[103:106], v109 offset0:2 offset1:3
	s_add_i32 m0, s8, -14
	v_movrels_b32_e32 v107, v34
	s_add_i32 m0, s8, -11
	s_waitcnt lgkmcnt(1)
	s_delay_alu instid0(VALU_DEP_1) | instskip(SKIP_4) | instid1(VALU_DEP_1)
	v_fma_f64 v[94:95], v[107:108], v[99:100], v[94:95]
	v_movrels_b32_e32 v100, v34
	s_add_i32 m0, s8, -12
	v_movrels_b32_e32 v99, v34
	s_add_i32 m0, s8, -9
	v_fma_f64 v[94:95], v[99:100], v[101:102], v[94:95]
	v_movrels_b32_e32 v100, v34
	s_add_i32 m0, s8, -10
	v_movrels_b32_e32 v99, v34
	s_add_i32 m0, s8, -7
	s_waitcnt lgkmcnt(0)
	s_delay_alu instid0(VALU_DEP_1)
	v_fma_f64 v[94:95], v[99:100], v[103:104], v[94:95]
	v_movrels_b32_e32 v100, v34
	s_add_i32 m0, s8, -8
	v_movrels_b32_e32 v99, v34
	s_add_i32 m0, s8, -5
	;; [unrolled: 2-line block ×4, first 2 shown]
	v_fma_f64 v[94:95], v[99:100], v[105:106], v[94:95]
	ds_load_2addr_b64 v[99:102], v109 offset0:4 offset1:5
	ds_load_2addr_b64 v[103:106], v109 offset0:6 offset1:7
	s_waitcnt lgkmcnt(1)
	v_fma_f64 v[94:95], v[107:108], v[99:100], v[94:95]
	v_movrels_b32_e32 v100, v34
	s_add_i32 m0, s8, -4
	v_movrels_b32_e32 v99, v34
	s_add_i32 m0, s8, -1
	s_delay_alu instid0(VALU_DEP_1)
	v_fma_f64 v[94:95], v[99:100], v[101:102], v[94:95]
	v_movrels_b32_e32 v100, v34
	s_add_i32 m0, s8, -2
	s_add_u32 s0, s0, 8
	v_movrels_b32_e32 v99, v34
	s_mov_b32 m0, s8
	s_addc_u32 s1, s1, 0
	s_add_i32 s8, s0, -7
	s_add_i32 s7, s7, 64
	s_waitcnt lgkmcnt(0)
	s_delay_alu instid0(VALU_DEP_3) | instskip(SKIP_2) | instid1(VALU_DEP_1)
	v_fma_f64 v[94:95], v[99:100], v[103:104], v[94:95]
	v_movrels_b32_e32 v100, v35
	v_movrels_b32_e32 v99, v34
	v_fma_f64 v[94:95], v[99:100], v[105:106], v[94:95]
	v_add_nc_u32_e32 v99, s0, v98
	s_delay_alu instid0(VALU_DEP_1) | instskip(SKIP_2) | instid1(SALU_CYCLE_1)
	v_cmp_eq_u32_e32 vcc_lo, 8, v99
	v_mov_b32_e32 v99, s8
	s_or_b32 s6, vcc_lo, s6
	s_and_not1_b32 exec_lo, exec_lo, s6
	s_cbranch_execnz .LBB13_187
; %bb.188:
	s_or_b32 exec_lo, exec_lo, s6
.LBB13_189:
	s_delay_alu instid0(SALU_CYCLE_1) | instskip(SKIP_3) | instid1(VALU_DEP_1)
	s_or_b32 exec_lo, exec_lo, s5
	v_and_b32_e32 v62, 7, v97
	s_mov_b32 s5, 0
	s_mov_b32 s1, exec_lo
	v_cmpx_ne_u32_e32 0, v62
	s_cbranch_execz .LBB13_193
; %bb.190:
	v_lshl_add_u32 v63, v99, 3, 0x70
	v_mov_b32_e32 v64, 0
.LBB13_191:                             ; =>This Inner Loop Header: Depth=1
	v_cmp_eq_u32_e32 vcc_lo, 1, v99
	v_cmp_eq_u32_e64 s0, 2, v99
	v_dual_cndmask_b32 v65, v35, v37 :: v_dual_add_nc_u32 v62, -1, v62
	v_cndmask_b32_e32 v97, v34, v36, vcc_lo
	v_cmp_eq_u32_e32 vcc_lo, 3, v99
	s_delay_alu instid0(VALU_DEP_3) | instskip(NEXT) | instid1(VALU_DEP_3)
	v_cndmask_b32_e64 v65, v65, v39, s0
	v_cndmask_b32_e64 v97, v97, v38, s0
	v_cmp_eq_u32_e64 s0, 4, v99
	s_delay_alu instid0(VALU_DEP_3) | instskip(NEXT) | instid1(VALU_DEP_3)
	v_cndmask_b32_e32 v65, v65, v41, vcc_lo
	v_cndmask_b32_e32 v97, v97, v40, vcc_lo
	v_cmp_eq_u32_e32 vcc_lo, 5, v99
	s_delay_alu instid0(VALU_DEP_3) | instskip(NEXT) | instid1(VALU_DEP_3)
	v_cndmask_b32_e64 v65, v65, v43, s0
	v_cndmask_b32_e64 v97, v97, v42, s0
	v_cmp_eq_u32_e64 s0, 6, v99
	s_delay_alu instid0(VALU_DEP_3) | instskip(NEXT) | instid1(VALU_DEP_3)
	v_cndmask_b32_e32 v65, v65, v45, vcc_lo
	v_cndmask_b32_e32 v97, v97, v44, vcc_lo
	v_cmp_eq_u32_e32 vcc_lo, 7, v99
	s_delay_alu instid0(VALU_DEP_3) | instskip(NEXT) | instid1(VALU_DEP_3)
	v_cndmask_b32_e64 v65, v65, v47, s0
	v_cndmask_b32_e64 v97, v97, v46, s0
	v_cmp_eq_u32_e64 s0, 8, v99
	s_delay_alu instid0(VALU_DEP_3) | instskip(NEXT) | instid1(VALU_DEP_3)
	v_cndmask_b32_e32 v65, v65, v49, vcc_lo
	v_cndmask_b32_e32 v97, v97, v48, vcc_lo
	v_cmp_eq_u32_e32 vcc_lo, 9, v99
	s_delay_alu instid0(VALU_DEP_3) | instskip(NEXT) | instid1(VALU_DEP_3)
	v_cndmask_b32_e64 v65, v65, v51, s0
	v_cndmask_b32_e64 v97, v97, v50, s0
	v_cmp_eq_u32_e64 s0, 10, v99
	s_delay_alu instid0(VALU_DEP_3) | instskip(NEXT) | instid1(VALU_DEP_3)
	v_cndmask_b32_e32 v65, v65, v53, vcc_lo
	v_cndmask_b32_e32 v100, v97, v52, vcc_lo
	ds_load_b64 v[97:98], v63
	v_cmp_eq_u32_e32 vcc_lo, 11, v99
	v_add_nc_u32_e32 v63, 8, v63
	v_cndmask_b32_e64 v65, v65, v55, s0
	v_cndmask_b32_e64 v100, v100, v54, s0
	v_cmp_eq_u32_e64 s0, 12, v99
	s_delay_alu instid0(VALU_DEP_2) | instskip(SKIP_1) | instid1(VALU_DEP_2)
	v_dual_cndmask_b32 v65, v65, v57 :: v_dual_cndmask_b32 v100, v100, v56
	v_cmp_eq_u32_e32 vcc_lo, 13, v99
	v_cndmask_b32_e64 v65, v65, v59, s0
	s_delay_alu instid0(VALU_DEP_3) | instskip(SKIP_1) | instid1(VALU_DEP_1)
	v_cndmask_b32_e64 v100, v100, v58, s0
	v_add_co_u32 v99, s0, v99, 1
	v_add_co_ci_u32_e64 v64, s0, 0, v64, s0
	s_delay_alu instid0(VALU_DEP_3) | instskip(SKIP_2) | instid1(VALU_DEP_2)
	v_dual_cndmask_b32 v100, v100, v60 :: v_dual_cndmask_b32 v101, v65, v61
	v_cmp_eq_u32_e32 vcc_lo, 0, v62
	s_waitcnt lgkmcnt(0)
	v_fma_f64 v[94:95], v[100:101], v[97:98], v[94:95]
	s_or_b32 s5, vcc_lo, s5
	s_delay_alu instid0(SALU_CYCLE_1)
	s_and_not1_b32 exec_lo, exec_lo, s5
	s_cbranch_execnz .LBB13_191
; %bb.192:
	s_or_b32 exec_lo, exec_lo, s5
.LBB13_193:
	s_delay_alu instid0(SALU_CYCLE_1)
	s_or_b32 exec_lo, exec_lo, s1
.LBB13_194:
	s_delay_alu instid0(SALU_CYCLE_1)
	s_or_b32 exec_lo, exec_lo, s4
	v_mov_b32_e32 v34, 0
	ds_load_b64 v[34:35], v34
	s_waitcnt lgkmcnt(0)
	v_mul_f64 v[34:35], v[94:95], v[34:35]
.LBB13_195:
	s_or_b32 exec_lo, exec_lo, s3
	s_delay_alu instid0(SALU_CYCLE_1)
	s_and_b32 vcc_lo, exec_lo, s2
	s_cbranch_vccz .LBB13_333
.LBB13_196:
	v_cmp_eq_u32_e64 s0, 0, v0
	s_waitcnt vmcnt(13)
	ds_store_b64 v96, v[4:5]
	s_waitcnt vmcnt(0) lgkmcnt(0)
	s_barrier
	buffer_gl0_inv
	s_and_saveexec_b32 s1, s0
	s_cbranch_execz .LBB13_202
; %bb.197:
	s_and_b32 vcc_lo, exec_lo, s14
	s_cbranch_vccz .LBB13_199
; %bb.198:
	v_cmp_eq_u32_e32 vcc_lo, 1, v0
	v_dual_cndmask_b32 v5, v3, v5 :: v_dual_cndmask_b32 v4, v2, v4
	v_cmp_eq_u32_e32 vcc_lo, 2, v0
	s_delay_alu instid0(VALU_DEP_2) | instskip(SKIP_1) | instid1(VALU_DEP_2)
	v_dual_cndmask_b32 v5, v5, v7 :: v_dual_cndmask_b32 v4, v4, v6
	v_cmp_eq_u32_e32 vcc_lo, 3, v0
	v_dual_cndmask_b32 v5, v5, v9 :: v_dual_cndmask_b32 v4, v4, v8
	v_cmp_eq_u32_e32 vcc_lo, 4, v0
	s_delay_alu instid0(VALU_DEP_2) | instskip(SKIP_1) | instid1(VALU_DEP_2)
	v_dual_cndmask_b32 v5, v5, v11 :: v_dual_cndmask_b32 v4, v4, v10
	;; [unrolled: 5-line block ×4, first 2 shown]
	v_cmp_eq_u32_e32 vcc_lo, 9, v0
	v_dual_cndmask_b32 v5, v5, v21 :: v_dual_cndmask_b32 v4, v4, v20
	v_cmp_eq_u32_e32 vcc_lo, 10, v0
	s_delay_alu instid0(VALU_DEP_2) | instskip(SKIP_4) | instid1(VALU_DEP_2)
	v_dual_cndmask_b32 v30, v5, v23 :: v_dual_cndmask_b32 v31, v4, v22
	v_cmp_eq_u32_e32 vcc_lo, 11, v0
	ds_load_b64 v[4:5], v96
	v_dual_cndmask_b32 v30, v30, v25 :: v_dual_cndmask_b32 v31, v31, v24
	v_cmp_eq_u32_e32 vcc_lo, 12, v0
	v_cndmask_b32_e32 v30, v30, v27, vcc_lo
	s_delay_alu instid0(VALU_DEP_3) | instskip(SKIP_1) | instid1(VALU_DEP_2)
	v_cndmask_b32_e32 v32, v31, v26, vcc_lo
	v_cmp_eq_u32_e32 vcc_lo, 13, v0
	v_dual_cndmask_b32 v31, v30, v29 :: v_dual_cndmask_b32 v30, v32, v28
	s_waitcnt lgkmcnt(0)
	s_delay_alu instid0(VALU_DEP_1)
	v_mul_f64 v[4:5], v[30:31], v[4:5]
	s_cbranch_execz .LBB13_200
	s_branch .LBB13_201
.LBB13_199:
                                        ; implicit-def: $vgpr4_vgpr5
.LBB13_200:
	ds_load_b64 v[4:5], v96
.LBB13_201:
	v_mov_b32_e32 v30, 0
	ds_load_b64 v[30:31], v30 offset:8
	s_waitcnt lgkmcnt(0)
	v_mul_f64 v[4:5], v[4:5], v[30:31]
.LBB13_202:
	s_or_b32 exec_lo, exec_lo, s1
	v_add_nc_u32_e32 v35, 1, v0
	v_cndmask_b32_e64 v34, 0, 1, s14
	s_mov_b32 s1, exec_lo
	ds_store_b64 v96, v[6:7]
	s_waitcnt lgkmcnt(0)
	s_barrier
	buffer_gl0_inv
	v_cmpx_gt_u32_e32 2, v0
	s_cbranch_execz .LBB13_210
; %bb.203:
	s_and_not1_b32 vcc_lo, exec_lo, s14
	s_cbranch_vccnz .LBB13_205
; %bb.204:
	v_cmp_eq_u32_e32 vcc_lo, 1, v0
	v_dual_cndmask_b32 v30, v3, v5 :: v_dual_cndmask_b32 v31, v2, v4
	v_cmp_eq_u32_e32 vcc_lo, 2, v0
	s_delay_alu instid0(VALU_DEP_2) | instskip(SKIP_1) | instid1(VALU_DEP_2)
	v_dual_cndmask_b32 v30, v30, v7 :: v_dual_cndmask_b32 v31, v31, v6
	v_cmp_eq_u32_e32 vcc_lo, 3, v0
	v_dual_cndmask_b32 v30, v30, v9 :: v_dual_cndmask_b32 v31, v31, v8
	v_cmp_eq_u32_e32 vcc_lo, 4, v0
	s_delay_alu instid0(VALU_DEP_2) | instskip(SKIP_1) | instid1(VALU_DEP_2)
	v_dual_cndmask_b32 v30, v30, v11 :: v_dual_cndmask_b32 v31, v31, v10
	;; [unrolled: 5-line block ×4, first 2 shown]
	v_cmp_eq_u32_e32 vcc_lo, 9, v0
	v_dual_cndmask_b32 v30, v30, v21 :: v_dual_cndmask_b32 v31, v31, v20
	v_cmp_eq_u32_e32 vcc_lo, 10, v0
	s_delay_alu instid0(VALU_DEP_2) | instskip(SKIP_4) | instid1(VALU_DEP_2)
	v_dual_cndmask_b32 v32, v30, v23 :: v_dual_cndmask_b32 v33, v31, v22
	v_cmp_eq_u32_e32 vcc_lo, 11, v0
	ds_load_b64 v[30:31], v96
	v_dual_cndmask_b32 v32, v32, v25 :: v_dual_cndmask_b32 v33, v33, v24
	v_cmp_eq_u32_e32 vcc_lo, 12, v0
	v_cndmask_b32_e32 v32, v32, v27, vcc_lo
	s_delay_alu instid0(VALU_DEP_3) | instskip(SKIP_1) | instid1(VALU_DEP_3)
	v_cndmask_b32_e32 v36, v33, v26, vcc_lo
	v_cmp_eq_u32_e32 vcc_lo, 13, v0
	v_cndmask_b32_e32 v33, v32, v29, vcc_lo
	s_delay_alu instid0(VALU_DEP_3) | instskip(SKIP_1) | instid1(VALU_DEP_1)
	v_cndmask_b32_e32 v32, v36, v28, vcc_lo
	s_waitcnt lgkmcnt(0)
	v_mul_f64 v[30:31], v[32:33], v[30:31]
	s_cbranch_execz .LBB13_206
	s_branch .LBB13_207
.LBB13_205:
                                        ; implicit-def: $vgpr30_vgpr31
.LBB13_206:
	ds_load_b64 v[30:31], v96
.LBB13_207:
	s_and_saveexec_b32 s2, s0
	s_cbranch_execz .LBB13_209
; %bb.208:
	v_cmp_eq_u32_e32 vcc_lo, 1, v35
	v_dual_cndmask_b32 v32, v3, v5 :: v_dual_cndmask_b32 v33, v2, v4
	v_cmp_eq_u32_e32 vcc_lo, 2, v35
	s_delay_alu instid0(VALU_DEP_2) | instskip(SKIP_1) | instid1(VALU_DEP_2)
	v_dual_cndmask_b32 v7, v32, v7 :: v_dual_cndmask_b32 v6, v33, v6
	v_cmp_eq_u32_e32 vcc_lo, 3, v35
	v_dual_cndmask_b32 v7, v7, v9 :: v_dual_cndmask_b32 v6, v6, v8
	v_cmp_eq_u32_e32 vcc_lo, 4, v35
	s_delay_alu instid0(VALU_DEP_2) | instskip(SKIP_1) | instid1(VALU_DEP_2)
	v_dual_cndmask_b32 v7, v7, v11 :: v_dual_cndmask_b32 v6, v6, v10
	;; [unrolled: 5-line block ×4, first 2 shown]
	v_cmp_eq_u32_e32 vcc_lo, 9, v35
	v_dual_cndmask_b32 v7, v7, v21 :: v_dual_cndmask_b32 v6, v6, v20
	v_cmp_eq_u32_e32 vcc_lo, 10, v35
	s_delay_alu instid0(VALU_DEP_2) | instskip(SKIP_4) | instid1(VALU_DEP_2)
	v_dual_cndmask_b32 v32, v7, v23 :: v_dual_cndmask_b32 v33, v6, v22
	v_cmp_eq_u32_e32 vcc_lo, 11, v35
	ds_load_b64 v[6:7], v96 offset:8
	v_dual_cndmask_b32 v32, v32, v25 :: v_dual_cndmask_b32 v33, v33, v24
	v_cmp_eq_u32_e32 vcc_lo, 12, v35
	v_cndmask_b32_e32 v32, v32, v27, vcc_lo
	s_delay_alu instid0(VALU_DEP_3) | instskip(SKIP_1) | instid1(VALU_DEP_3)
	v_cndmask_b32_e32 v36, v33, v26, vcc_lo
	v_cmp_eq_u32_e32 vcc_lo, 13, v35
	v_cndmask_b32_e32 v33, v32, v29, vcc_lo
	s_delay_alu instid0(VALU_DEP_3) | instskip(SKIP_1) | instid1(VALU_DEP_1)
	v_cndmask_b32_e32 v32, v36, v28, vcc_lo
	s_waitcnt lgkmcnt(0)
	v_fma_f64 v[30:31], v[32:33], v[6:7], v[30:31]
.LBB13_209:
	s_or_b32 exec_lo, exec_lo, s2
	v_mov_b32_e32 v6, 0
	ds_load_b64 v[6:7], v6 offset:16
	s_waitcnt lgkmcnt(0)
	v_mul_f64 v[6:7], v[30:31], v[6:7]
.LBB13_210:
	s_or_b32 exec_lo, exec_lo, s1
	v_cmp_gt_u32_e64 s1, 3, v0
	ds_store_b64 v96, v[8:9]
	s_waitcnt lgkmcnt(0)
	s_barrier
	buffer_gl0_inv
	s_and_saveexec_b32 s2, s1
	s_cbranch_execz .LBB13_220
; %bb.211:
	v_cmp_ne_u32_e32 vcc_lo, 1, v34
	s_cbranch_vccnz .LBB13_213
; %bb.212:
	v_cmp_eq_u32_e32 vcc_lo, 1, v0
	v_dual_cndmask_b32 v30, v3, v5 :: v_dual_cndmask_b32 v31, v2, v4
	v_cmp_eq_u32_e32 vcc_lo, 2, v0
	s_delay_alu instid0(VALU_DEP_2) | instskip(SKIP_1) | instid1(VALU_DEP_2)
	v_dual_cndmask_b32 v30, v30, v7 :: v_dual_cndmask_b32 v31, v31, v6
	v_cmp_eq_u32_e32 vcc_lo, 3, v0
	v_dual_cndmask_b32 v30, v30, v9 :: v_dual_cndmask_b32 v31, v31, v8
	v_cmp_eq_u32_e32 vcc_lo, 4, v0
	s_delay_alu instid0(VALU_DEP_2) | instskip(SKIP_1) | instid1(VALU_DEP_2)
	v_dual_cndmask_b32 v30, v30, v11 :: v_dual_cndmask_b32 v31, v31, v10
	;; [unrolled: 5-line block ×4, first 2 shown]
	v_cmp_eq_u32_e32 vcc_lo, 9, v0
	v_dual_cndmask_b32 v30, v30, v21 :: v_dual_cndmask_b32 v31, v31, v20
	v_cmp_eq_u32_e32 vcc_lo, 10, v0
	s_delay_alu instid0(VALU_DEP_2) | instskip(SKIP_4) | instid1(VALU_DEP_2)
	v_dual_cndmask_b32 v32, v30, v23 :: v_dual_cndmask_b32 v33, v31, v22
	v_cmp_eq_u32_e32 vcc_lo, 11, v0
	ds_load_b64 v[30:31], v96
	v_dual_cndmask_b32 v32, v32, v25 :: v_dual_cndmask_b32 v33, v33, v24
	v_cmp_eq_u32_e32 vcc_lo, 12, v0
	v_cndmask_b32_e32 v32, v32, v27, vcc_lo
	s_delay_alu instid0(VALU_DEP_3) | instskip(SKIP_1) | instid1(VALU_DEP_3)
	v_cndmask_b32_e32 v36, v33, v26, vcc_lo
	v_cmp_eq_u32_e32 vcc_lo, 13, v0
	v_cndmask_b32_e32 v33, v32, v29, vcc_lo
	s_delay_alu instid0(VALU_DEP_3) | instskip(SKIP_1) | instid1(VALU_DEP_1)
	v_cndmask_b32_e32 v32, v36, v28, vcc_lo
	s_waitcnt lgkmcnt(0)
	v_mul_f64 v[30:31], v[32:33], v[30:31]
	s_cbranch_execz .LBB13_214
	s_branch .LBB13_215
.LBB13_213:
                                        ; implicit-def: $vgpr30_vgpr31
.LBB13_214:
	ds_load_b64 v[30:31], v96
.LBB13_215:
	s_mov_b32 s3, exec_lo
	v_cmpx_ne_u32_e32 2, v0
	s_cbranch_execz .LBB13_219
; %bb.216:
	v_cmp_eq_u32_e32 vcc_lo, 1, v35
	v_dual_cndmask_b32 v32, v3, v5 :: v_dual_cndmask_b32 v33, v2, v4
	v_cmp_eq_u32_e32 vcc_lo, 2, v35
	s_delay_alu instid0(VALU_DEP_2) | instskip(SKIP_1) | instid1(VALU_DEP_2)
	v_dual_cndmask_b32 v32, v32, v7 :: v_dual_cndmask_b32 v33, v33, v6
	v_cmp_eq_u32_e32 vcc_lo, 3, v35
	v_dual_cndmask_b32 v9, v32, v9 :: v_dual_cndmask_b32 v8, v33, v8
	v_cmp_eq_u32_e32 vcc_lo, 4, v35
	s_delay_alu instid0(VALU_DEP_2) | instskip(SKIP_1) | instid1(VALU_DEP_2)
	v_dual_cndmask_b32 v9, v9, v11 :: v_dual_cndmask_b32 v8, v8, v10
	;; [unrolled: 5-line block ×4, first 2 shown]
	v_cmp_eq_u32_e32 vcc_lo, 9, v35
	v_dual_cndmask_b32 v9, v9, v21 :: v_dual_cndmask_b32 v8, v8, v20
	v_cmp_eq_u32_e32 vcc_lo, 10, v35
	s_delay_alu instid0(VALU_DEP_2) | instskip(SKIP_4) | instid1(VALU_DEP_2)
	v_dual_cndmask_b32 v32, v9, v23 :: v_dual_cndmask_b32 v33, v8, v22
	v_cmp_eq_u32_e32 vcc_lo, 11, v35
	ds_load_b64 v[8:9], v96 offset:8
	v_dual_cndmask_b32 v32, v32, v25 :: v_dual_cndmask_b32 v33, v33, v24
	v_cmp_eq_u32_e32 vcc_lo, 12, v35
	v_cndmask_b32_e32 v32, v32, v27, vcc_lo
	s_delay_alu instid0(VALU_DEP_3) | instskip(SKIP_1) | instid1(VALU_DEP_3)
	v_cndmask_b32_e32 v36, v33, v26, vcc_lo
	v_cmp_eq_u32_e32 vcc_lo, 13, v35
	v_cndmask_b32_e32 v33, v32, v29, vcc_lo
	s_delay_alu instid0(VALU_DEP_3) | instskip(SKIP_1) | instid1(VALU_DEP_1)
	v_cndmask_b32_e32 v32, v36, v28, vcc_lo
	s_waitcnt lgkmcnt(0)
	v_fma_f64 v[30:31], v[32:33], v[8:9], v[30:31]
	s_and_saveexec_b32 s4, s0
	s_cbranch_execz .LBB13_218
; %bb.217:
	v_mov_b32_e32 v8, 0
	ds_load_b64 v[8:9], v8 offset:128
	s_waitcnt lgkmcnt(0)
	v_fma_f64 v[30:31], v[6:7], v[8:9], v[30:31]
.LBB13_218:
	s_or_b32 exec_lo, exec_lo, s4
.LBB13_219:
	s_delay_alu instid0(SALU_CYCLE_1)
	s_or_b32 exec_lo, exec_lo, s3
	v_mov_b32_e32 v8, 0
	ds_load_b64 v[8:9], v8 offset:24
	s_waitcnt lgkmcnt(0)
	v_mul_f64 v[8:9], v[30:31], v[8:9]
.LBB13_220:
	s_or_b32 exec_lo, exec_lo, s2
	s_delay_alu instid0(SALU_CYCLE_1)
	s_mov_b32 s3, exec_lo
	ds_store_b64 v96, v[10:11]
	s_waitcnt lgkmcnt(0)
	s_barrier
	buffer_gl0_inv
	v_cmpx_gt_u32_e32 4, v0
	s_cbranch_execz .LBB13_230
; %bb.221:
	v_cmp_ne_u32_e32 vcc_lo, 1, v34
	s_cbranch_vccnz .LBB13_223
; %bb.222:
	v_cmp_eq_u32_e32 vcc_lo, 1, v0
	v_dual_cndmask_b32 v30, v3, v5 :: v_dual_cndmask_b32 v31, v2, v4
	v_cmp_eq_u32_e32 vcc_lo, 2, v0
	s_delay_alu instid0(VALU_DEP_2) | instskip(SKIP_1) | instid1(VALU_DEP_2)
	v_dual_cndmask_b32 v30, v30, v7 :: v_dual_cndmask_b32 v31, v31, v6
	v_cmp_eq_u32_e32 vcc_lo, 3, v0
	v_dual_cndmask_b32 v30, v30, v9 :: v_dual_cndmask_b32 v31, v31, v8
	v_cmp_eq_u32_e32 vcc_lo, 4, v0
	s_delay_alu instid0(VALU_DEP_2) | instskip(SKIP_1) | instid1(VALU_DEP_2)
	v_dual_cndmask_b32 v30, v30, v11 :: v_dual_cndmask_b32 v31, v31, v10
	;; [unrolled: 5-line block ×4, first 2 shown]
	v_cmp_eq_u32_e32 vcc_lo, 9, v0
	v_dual_cndmask_b32 v30, v30, v21 :: v_dual_cndmask_b32 v31, v31, v20
	v_cmp_eq_u32_e32 vcc_lo, 10, v0
	s_delay_alu instid0(VALU_DEP_2) | instskip(SKIP_4) | instid1(VALU_DEP_2)
	v_dual_cndmask_b32 v32, v30, v23 :: v_dual_cndmask_b32 v33, v31, v22
	v_cmp_eq_u32_e32 vcc_lo, 11, v0
	ds_load_b64 v[30:31], v96
	v_dual_cndmask_b32 v32, v32, v25 :: v_dual_cndmask_b32 v33, v33, v24
	v_cmp_eq_u32_e32 vcc_lo, 12, v0
	v_cndmask_b32_e32 v32, v32, v27, vcc_lo
	s_delay_alu instid0(VALU_DEP_3) | instskip(SKIP_1) | instid1(VALU_DEP_3)
	v_cndmask_b32_e32 v36, v33, v26, vcc_lo
	v_cmp_eq_u32_e32 vcc_lo, 13, v0
	v_cndmask_b32_e32 v33, v32, v29, vcc_lo
	s_delay_alu instid0(VALU_DEP_3) | instskip(SKIP_1) | instid1(VALU_DEP_1)
	v_cndmask_b32_e32 v32, v36, v28, vcc_lo
	s_waitcnt lgkmcnt(0)
	v_mul_f64 v[30:31], v[32:33], v[30:31]
	s_cbranch_execz .LBB13_224
	s_branch .LBB13_225
.LBB13_223:
                                        ; implicit-def: $vgpr30_vgpr31
.LBB13_224:
	ds_load_b64 v[30:31], v96
.LBB13_225:
	s_mov_b32 s4, exec_lo
	v_cmpx_ne_u32_e32 3, v0
	s_cbranch_execz .LBB13_229
; %bb.226:
	v_lshl_add_u32 v36, v0, 3, 0x78
	v_dual_mov_b32 v33, v1 :: v_dual_mov_b32 v32, v0
	s_mov_b32 s5, 0
.LBB13_227:                             ; =>This Inner Loop Header: Depth=1
	s_delay_alu instid0(VALU_DEP_1) | instskip(NEXT) | instid1(VALU_DEP_2)
	v_add_co_u32 v32, vcc_lo, v32, 1
	v_add_co_ci_u32_e32 v33, vcc_lo, 0, v33, vcc_lo
	s_delay_alu instid0(VALU_DEP_2) | instskip(SKIP_3) | instid1(VALU_DEP_2)
	v_cmp_eq_u32_e32 vcc_lo, 1, v32
	v_cmp_eq_u32_e64 s2, 2, v32
	v_dual_cndmask_b32 v37, v3, v5 :: v_dual_cndmask_b32 v38, v2, v4
	v_cmp_eq_u32_e32 vcc_lo, 3, v32
	v_cndmask_b32_e64 v37, v37, v7, s2
	s_delay_alu instid0(VALU_DEP_3) | instskip(SKIP_1) | instid1(VALU_DEP_2)
	v_cndmask_b32_e64 v38, v38, v6, s2
	v_cmp_eq_u32_e64 s2, 4, v32
	v_dual_cndmask_b32 v37, v37, v9 :: v_dual_cndmask_b32 v38, v38, v8
	v_cmp_eq_u32_e32 vcc_lo, 5, v32
	s_delay_alu instid0(VALU_DEP_2) | instskip(NEXT) | instid1(VALU_DEP_3)
	v_cndmask_b32_e64 v37, v37, v11, s2
	v_cndmask_b32_e64 v38, v38, v10, s2
	v_cmp_eq_u32_e64 s2, 6, v32
	s_delay_alu instid0(VALU_DEP_2) | instskip(SKIP_1) | instid1(VALU_DEP_2)
	v_dual_cndmask_b32 v37, v37, v13 :: v_dual_cndmask_b32 v38, v38, v12
	v_cmp_eq_u32_e32 vcc_lo, 7, v32
	v_cndmask_b32_e64 v37, v37, v15, s2
	s_delay_alu instid0(VALU_DEP_3) | instskip(SKIP_1) | instid1(VALU_DEP_2)
	v_cndmask_b32_e64 v38, v38, v14, s2
	v_cmp_eq_u32_e64 s2, 8, v32
	v_dual_cndmask_b32 v37, v37, v17 :: v_dual_cndmask_b32 v38, v38, v16
	v_cmp_eq_u32_e32 vcc_lo, 9, v32
	s_delay_alu instid0(VALU_DEP_2) | instskip(NEXT) | instid1(VALU_DEP_3)
	v_cndmask_b32_e64 v37, v37, v19, s2
	v_cndmask_b32_e64 v38, v38, v18, s2
	v_cmp_eq_u32_e64 s2, 10, v32
	s_delay_alu instid0(VALU_DEP_2)
	v_dual_cndmask_b32 v39, v37, v21 :: v_dual_cndmask_b32 v40, v38, v20
	ds_load_b64 v[37:38], v36
	v_cmp_eq_u32_e32 vcc_lo, 11, v32
	v_add_nc_u32_e32 v36, 8, v36
	v_cndmask_b32_e64 v39, v39, v23, s2
	v_cndmask_b32_e64 v40, v40, v22, s2
	v_cmp_eq_u32_e64 s2, 12, v32
	s_delay_alu instid0(VALU_DEP_2) | instskip(SKIP_1) | instid1(VALU_DEP_2)
	v_dual_cndmask_b32 v39, v39, v25 :: v_dual_cndmask_b32 v40, v40, v24
	v_cmp_eq_u32_e32 vcc_lo, 13, v32
	v_cndmask_b32_e64 v39, v39, v27, s2
	s_delay_alu instid0(VALU_DEP_3) | instskip(NEXT) | instid1(VALU_DEP_1)
	v_cndmask_b32_e64 v41, v40, v26, s2
	v_dual_cndmask_b32 v40, v39, v29 :: v_dual_cndmask_b32 v39, v41, v28
	v_cmp_lt_u32_e32 vcc_lo, 2, v32
	s_waitcnt lgkmcnt(0)
	s_delay_alu instid0(VALU_DEP_2) | instskip(SKIP_1) | instid1(SALU_CYCLE_1)
	v_fma_f64 v[30:31], v[39:40], v[37:38], v[30:31]
	s_or_b32 s5, vcc_lo, s5
	s_and_not1_b32 exec_lo, exec_lo, s5
	s_cbranch_execnz .LBB13_227
; %bb.228:
	s_or_b32 exec_lo, exec_lo, s5
.LBB13_229:
	s_delay_alu instid0(SALU_CYCLE_1)
	s_or_b32 exec_lo, exec_lo, s4
	v_mov_b32_e32 v10, 0
	ds_load_b64 v[10:11], v10 offset:32
	s_waitcnt lgkmcnt(0)
	v_mul_f64 v[10:11], v[30:31], v[10:11]
.LBB13_230:
	s_or_b32 exec_lo, exec_lo, s3
	v_cmp_gt_u32_e64 s2, 5, v0
	ds_store_b64 v96, v[12:13]
	s_waitcnt lgkmcnt(0)
	s_barrier
	buffer_gl0_inv
	s_and_saveexec_b32 s4, s2
	s_cbranch_execz .LBB13_240
; %bb.231:
	v_cmp_ne_u32_e32 vcc_lo, 1, v34
	s_cbranch_vccnz .LBB13_233
; %bb.232:
	v_cmp_eq_u32_e32 vcc_lo, 1, v0
	v_dual_cndmask_b32 v30, v3, v5 :: v_dual_cndmask_b32 v31, v2, v4
	v_cmp_eq_u32_e32 vcc_lo, 2, v0
	s_delay_alu instid0(VALU_DEP_2) | instskip(SKIP_1) | instid1(VALU_DEP_2)
	v_dual_cndmask_b32 v30, v30, v7 :: v_dual_cndmask_b32 v31, v31, v6
	v_cmp_eq_u32_e32 vcc_lo, 3, v0
	v_dual_cndmask_b32 v30, v30, v9 :: v_dual_cndmask_b32 v31, v31, v8
	v_cmp_eq_u32_e32 vcc_lo, 4, v0
	s_delay_alu instid0(VALU_DEP_2) | instskip(SKIP_1) | instid1(VALU_DEP_2)
	v_dual_cndmask_b32 v30, v30, v11 :: v_dual_cndmask_b32 v31, v31, v10
	;; [unrolled: 5-line block ×4, first 2 shown]
	v_cmp_eq_u32_e32 vcc_lo, 9, v0
	v_dual_cndmask_b32 v30, v30, v21 :: v_dual_cndmask_b32 v31, v31, v20
	v_cmp_eq_u32_e32 vcc_lo, 10, v0
	s_delay_alu instid0(VALU_DEP_2) | instskip(SKIP_4) | instid1(VALU_DEP_2)
	v_dual_cndmask_b32 v32, v30, v23 :: v_dual_cndmask_b32 v33, v31, v22
	v_cmp_eq_u32_e32 vcc_lo, 11, v0
	ds_load_b64 v[30:31], v96
	v_dual_cndmask_b32 v32, v32, v25 :: v_dual_cndmask_b32 v33, v33, v24
	v_cmp_eq_u32_e32 vcc_lo, 12, v0
	v_cndmask_b32_e32 v32, v32, v27, vcc_lo
	s_delay_alu instid0(VALU_DEP_3) | instskip(SKIP_1) | instid1(VALU_DEP_3)
	v_cndmask_b32_e32 v36, v33, v26, vcc_lo
	v_cmp_eq_u32_e32 vcc_lo, 13, v0
	v_cndmask_b32_e32 v33, v32, v29, vcc_lo
	s_delay_alu instid0(VALU_DEP_3) | instskip(SKIP_1) | instid1(VALU_DEP_1)
	v_cndmask_b32_e32 v32, v36, v28, vcc_lo
	s_waitcnt lgkmcnt(0)
	v_mul_f64 v[30:31], v[32:33], v[30:31]
	s_cbranch_execz .LBB13_234
	s_branch .LBB13_235
.LBB13_233:
                                        ; implicit-def: $vgpr30_vgpr31
.LBB13_234:
	ds_load_b64 v[30:31], v96
.LBB13_235:
	s_mov_b32 s5, exec_lo
	v_cmpx_ne_u32_e32 4, v0
	s_cbranch_execz .LBB13_239
; %bb.236:
	v_lshl_add_u32 v36, v0, 3, 0x78
	v_dual_mov_b32 v33, v1 :: v_dual_mov_b32 v32, v0
	s_mov_b32 s6, 0
.LBB13_237:                             ; =>This Inner Loop Header: Depth=1
	s_delay_alu instid0(VALU_DEP_1) | instskip(NEXT) | instid1(VALU_DEP_2)
	v_add_co_u32 v32, vcc_lo, v32, 1
	v_add_co_ci_u32_e32 v33, vcc_lo, 0, v33, vcc_lo
	s_delay_alu instid0(VALU_DEP_2) | instskip(SKIP_3) | instid1(VALU_DEP_2)
	v_cmp_eq_u32_e32 vcc_lo, 1, v32
	v_cmp_eq_u32_e64 s3, 2, v32
	v_dual_cndmask_b32 v37, v3, v5 :: v_dual_cndmask_b32 v38, v2, v4
	v_cmp_eq_u32_e32 vcc_lo, 3, v32
	v_cndmask_b32_e64 v37, v37, v7, s3
	s_delay_alu instid0(VALU_DEP_3) | instskip(SKIP_1) | instid1(VALU_DEP_2)
	v_cndmask_b32_e64 v38, v38, v6, s3
	v_cmp_eq_u32_e64 s3, 4, v32
	v_dual_cndmask_b32 v37, v37, v9 :: v_dual_cndmask_b32 v38, v38, v8
	v_cmp_eq_u32_e32 vcc_lo, 5, v32
	s_delay_alu instid0(VALU_DEP_2) | instskip(NEXT) | instid1(VALU_DEP_3)
	v_cndmask_b32_e64 v37, v37, v11, s3
	v_cndmask_b32_e64 v38, v38, v10, s3
	v_cmp_eq_u32_e64 s3, 6, v32
	s_delay_alu instid0(VALU_DEP_2) | instskip(SKIP_1) | instid1(VALU_DEP_2)
	v_dual_cndmask_b32 v37, v37, v13 :: v_dual_cndmask_b32 v38, v38, v12
	v_cmp_eq_u32_e32 vcc_lo, 7, v32
	v_cndmask_b32_e64 v37, v37, v15, s3
	s_delay_alu instid0(VALU_DEP_3) | instskip(SKIP_1) | instid1(VALU_DEP_2)
	v_cndmask_b32_e64 v38, v38, v14, s3
	v_cmp_eq_u32_e64 s3, 8, v32
	v_dual_cndmask_b32 v37, v37, v17 :: v_dual_cndmask_b32 v38, v38, v16
	v_cmp_eq_u32_e32 vcc_lo, 9, v32
	s_delay_alu instid0(VALU_DEP_2) | instskip(NEXT) | instid1(VALU_DEP_3)
	v_cndmask_b32_e64 v37, v37, v19, s3
	v_cndmask_b32_e64 v38, v38, v18, s3
	v_cmp_eq_u32_e64 s3, 10, v32
	s_delay_alu instid0(VALU_DEP_2)
	v_dual_cndmask_b32 v39, v37, v21 :: v_dual_cndmask_b32 v40, v38, v20
	ds_load_b64 v[37:38], v36
	v_cmp_eq_u32_e32 vcc_lo, 11, v32
	v_add_nc_u32_e32 v36, 8, v36
	v_cndmask_b32_e64 v39, v39, v23, s3
	v_cndmask_b32_e64 v40, v40, v22, s3
	v_cmp_eq_u32_e64 s3, 12, v32
	s_delay_alu instid0(VALU_DEP_2) | instskip(SKIP_1) | instid1(VALU_DEP_2)
	v_dual_cndmask_b32 v39, v39, v25 :: v_dual_cndmask_b32 v40, v40, v24
	v_cmp_eq_u32_e32 vcc_lo, 13, v32
	v_cndmask_b32_e64 v39, v39, v27, s3
	s_delay_alu instid0(VALU_DEP_3) | instskip(NEXT) | instid1(VALU_DEP_1)
	v_cndmask_b32_e64 v41, v40, v26, s3
	v_dual_cndmask_b32 v40, v39, v29 :: v_dual_cndmask_b32 v39, v41, v28
	v_cmp_lt_u32_e32 vcc_lo, 3, v32
	s_waitcnt lgkmcnt(0)
	s_delay_alu instid0(VALU_DEP_2) | instskip(SKIP_1) | instid1(SALU_CYCLE_1)
	v_fma_f64 v[30:31], v[39:40], v[37:38], v[30:31]
	s_or_b32 s6, vcc_lo, s6
	s_and_not1_b32 exec_lo, exec_lo, s6
	s_cbranch_execnz .LBB13_237
; %bb.238:
	s_or_b32 exec_lo, exec_lo, s6
.LBB13_239:
	s_delay_alu instid0(SALU_CYCLE_1)
	s_or_b32 exec_lo, exec_lo, s5
	v_mov_b32_e32 v12, 0
	ds_load_b64 v[12:13], v12 offset:40
	s_waitcnt lgkmcnt(0)
	v_mul_f64 v[12:13], v[30:31], v[12:13]
.LBB13_240:
	s_or_b32 exec_lo, exec_lo, s4
	s_delay_alu instid0(SALU_CYCLE_1)
	s_mov_b32 s4, exec_lo
	ds_store_b64 v96, v[14:15]
	s_waitcnt lgkmcnt(0)
	s_barrier
	buffer_gl0_inv
	v_cmpx_gt_u32_e32 6, v0
	s_cbranch_execz .LBB13_250
; %bb.241:
	v_cmp_ne_u32_e32 vcc_lo, 1, v34
	s_cbranch_vccnz .LBB13_243
; %bb.242:
	v_cmp_eq_u32_e32 vcc_lo, 1, v0
	v_dual_cndmask_b32 v30, v3, v5 :: v_dual_cndmask_b32 v31, v2, v4
	v_cmp_eq_u32_e32 vcc_lo, 2, v0
	s_delay_alu instid0(VALU_DEP_2) | instskip(SKIP_1) | instid1(VALU_DEP_2)
	v_dual_cndmask_b32 v30, v30, v7 :: v_dual_cndmask_b32 v31, v31, v6
	v_cmp_eq_u32_e32 vcc_lo, 3, v0
	v_dual_cndmask_b32 v30, v30, v9 :: v_dual_cndmask_b32 v31, v31, v8
	v_cmp_eq_u32_e32 vcc_lo, 4, v0
	s_delay_alu instid0(VALU_DEP_2) | instskip(SKIP_1) | instid1(VALU_DEP_2)
	v_dual_cndmask_b32 v30, v30, v11 :: v_dual_cndmask_b32 v31, v31, v10
	;; [unrolled: 5-line block ×4, first 2 shown]
	v_cmp_eq_u32_e32 vcc_lo, 9, v0
	v_dual_cndmask_b32 v30, v30, v21 :: v_dual_cndmask_b32 v31, v31, v20
	v_cmp_eq_u32_e32 vcc_lo, 10, v0
	s_delay_alu instid0(VALU_DEP_2) | instskip(SKIP_4) | instid1(VALU_DEP_2)
	v_dual_cndmask_b32 v32, v30, v23 :: v_dual_cndmask_b32 v33, v31, v22
	v_cmp_eq_u32_e32 vcc_lo, 11, v0
	ds_load_b64 v[30:31], v96
	v_dual_cndmask_b32 v32, v32, v25 :: v_dual_cndmask_b32 v33, v33, v24
	v_cmp_eq_u32_e32 vcc_lo, 12, v0
	v_cndmask_b32_e32 v32, v32, v27, vcc_lo
	s_delay_alu instid0(VALU_DEP_3) | instskip(SKIP_1) | instid1(VALU_DEP_3)
	v_cndmask_b32_e32 v36, v33, v26, vcc_lo
	v_cmp_eq_u32_e32 vcc_lo, 13, v0
	v_cndmask_b32_e32 v33, v32, v29, vcc_lo
	s_delay_alu instid0(VALU_DEP_3) | instskip(SKIP_1) | instid1(VALU_DEP_1)
	v_cndmask_b32_e32 v32, v36, v28, vcc_lo
	s_waitcnt lgkmcnt(0)
	v_mul_f64 v[30:31], v[32:33], v[30:31]
	s_cbranch_execz .LBB13_244
	s_branch .LBB13_245
.LBB13_243:
                                        ; implicit-def: $vgpr30_vgpr31
.LBB13_244:
	ds_load_b64 v[30:31], v96
.LBB13_245:
	s_mov_b32 s5, exec_lo
	v_cmpx_ne_u32_e32 5, v0
	s_cbranch_execz .LBB13_249
; %bb.246:
	v_lshl_add_u32 v36, v0, 3, 0x78
	v_dual_mov_b32 v33, v1 :: v_dual_mov_b32 v32, v0
	s_mov_b32 s6, 0
.LBB13_247:                             ; =>This Inner Loop Header: Depth=1
	s_delay_alu instid0(VALU_DEP_1) | instskip(NEXT) | instid1(VALU_DEP_2)
	v_add_co_u32 v32, vcc_lo, v32, 1
	v_add_co_ci_u32_e32 v33, vcc_lo, 0, v33, vcc_lo
	s_delay_alu instid0(VALU_DEP_2) | instskip(SKIP_3) | instid1(VALU_DEP_2)
	v_cmp_eq_u32_e32 vcc_lo, 1, v32
	v_cmp_eq_u32_e64 s3, 2, v32
	v_dual_cndmask_b32 v37, v3, v5 :: v_dual_cndmask_b32 v38, v2, v4
	v_cmp_eq_u32_e32 vcc_lo, 3, v32
	v_cndmask_b32_e64 v37, v37, v7, s3
	s_delay_alu instid0(VALU_DEP_3) | instskip(SKIP_1) | instid1(VALU_DEP_2)
	v_cndmask_b32_e64 v38, v38, v6, s3
	v_cmp_eq_u32_e64 s3, 4, v32
	v_dual_cndmask_b32 v37, v37, v9 :: v_dual_cndmask_b32 v38, v38, v8
	v_cmp_eq_u32_e32 vcc_lo, 5, v32
	s_delay_alu instid0(VALU_DEP_2) | instskip(NEXT) | instid1(VALU_DEP_3)
	v_cndmask_b32_e64 v37, v37, v11, s3
	v_cndmask_b32_e64 v38, v38, v10, s3
	v_cmp_eq_u32_e64 s3, 6, v32
	s_delay_alu instid0(VALU_DEP_2) | instskip(SKIP_1) | instid1(VALU_DEP_2)
	v_dual_cndmask_b32 v37, v37, v13 :: v_dual_cndmask_b32 v38, v38, v12
	v_cmp_eq_u32_e32 vcc_lo, 7, v32
	v_cndmask_b32_e64 v37, v37, v15, s3
	s_delay_alu instid0(VALU_DEP_3) | instskip(SKIP_1) | instid1(VALU_DEP_2)
	v_cndmask_b32_e64 v38, v38, v14, s3
	v_cmp_eq_u32_e64 s3, 8, v32
	v_dual_cndmask_b32 v37, v37, v17 :: v_dual_cndmask_b32 v38, v38, v16
	v_cmp_eq_u32_e32 vcc_lo, 9, v32
	s_delay_alu instid0(VALU_DEP_2) | instskip(NEXT) | instid1(VALU_DEP_3)
	v_cndmask_b32_e64 v37, v37, v19, s3
	v_cndmask_b32_e64 v38, v38, v18, s3
	v_cmp_eq_u32_e64 s3, 10, v32
	s_delay_alu instid0(VALU_DEP_2)
	v_dual_cndmask_b32 v39, v37, v21 :: v_dual_cndmask_b32 v40, v38, v20
	ds_load_b64 v[37:38], v36
	v_cmp_eq_u32_e32 vcc_lo, 11, v32
	v_add_nc_u32_e32 v36, 8, v36
	v_cndmask_b32_e64 v39, v39, v23, s3
	v_cndmask_b32_e64 v40, v40, v22, s3
	v_cmp_eq_u32_e64 s3, 12, v32
	s_delay_alu instid0(VALU_DEP_2) | instskip(SKIP_1) | instid1(VALU_DEP_2)
	v_dual_cndmask_b32 v39, v39, v25 :: v_dual_cndmask_b32 v40, v40, v24
	v_cmp_eq_u32_e32 vcc_lo, 13, v32
	v_cndmask_b32_e64 v39, v39, v27, s3
	s_delay_alu instid0(VALU_DEP_3) | instskip(NEXT) | instid1(VALU_DEP_1)
	v_cndmask_b32_e64 v41, v40, v26, s3
	v_dual_cndmask_b32 v40, v39, v29 :: v_dual_cndmask_b32 v39, v41, v28
	v_cmp_lt_u32_e32 vcc_lo, 4, v32
	s_waitcnt lgkmcnt(0)
	s_delay_alu instid0(VALU_DEP_2) | instskip(SKIP_1) | instid1(SALU_CYCLE_1)
	v_fma_f64 v[30:31], v[39:40], v[37:38], v[30:31]
	s_or_b32 s6, vcc_lo, s6
	s_and_not1_b32 exec_lo, exec_lo, s6
	s_cbranch_execnz .LBB13_247
; %bb.248:
	s_or_b32 exec_lo, exec_lo, s6
.LBB13_249:
	s_delay_alu instid0(SALU_CYCLE_1)
	s_or_b32 exec_lo, exec_lo, s5
	v_mov_b32_e32 v14, 0
	ds_load_b64 v[14:15], v14 offset:48
	s_waitcnt lgkmcnt(0)
	v_mul_f64 v[14:15], v[30:31], v[14:15]
.LBB13_250:
	s_or_b32 exec_lo, exec_lo, s4
	v_cmp_gt_u32_e64 s3, 7, v0
	ds_store_b64 v96, v[16:17]
	s_waitcnt lgkmcnt(0)
	s_barrier
	buffer_gl0_inv
	s_and_saveexec_b32 s5, s3
	s_cbranch_execz .LBB13_260
; %bb.251:
	v_cmp_ne_u32_e32 vcc_lo, 1, v34
	s_cbranch_vccnz .LBB13_253
; %bb.252:
	v_cmp_eq_u32_e32 vcc_lo, 1, v0
	v_dual_cndmask_b32 v30, v3, v5 :: v_dual_cndmask_b32 v31, v2, v4
	v_cmp_eq_u32_e32 vcc_lo, 2, v0
	s_delay_alu instid0(VALU_DEP_2) | instskip(SKIP_1) | instid1(VALU_DEP_2)
	v_dual_cndmask_b32 v30, v30, v7 :: v_dual_cndmask_b32 v31, v31, v6
	v_cmp_eq_u32_e32 vcc_lo, 3, v0
	v_dual_cndmask_b32 v30, v30, v9 :: v_dual_cndmask_b32 v31, v31, v8
	v_cmp_eq_u32_e32 vcc_lo, 4, v0
	s_delay_alu instid0(VALU_DEP_2) | instskip(SKIP_1) | instid1(VALU_DEP_2)
	v_dual_cndmask_b32 v30, v30, v11 :: v_dual_cndmask_b32 v31, v31, v10
	;; [unrolled: 5-line block ×4, first 2 shown]
	v_cmp_eq_u32_e32 vcc_lo, 9, v0
	v_dual_cndmask_b32 v30, v30, v21 :: v_dual_cndmask_b32 v31, v31, v20
	v_cmp_eq_u32_e32 vcc_lo, 10, v0
	s_delay_alu instid0(VALU_DEP_2) | instskip(SKIP_4) | instid1(VALU_DEP_2)
	v_dual_cndmask_b32 v32, v30, v23 :: v_dual_cndmask_b32 v33, v31, v22
	v_cmp_eq_u32_e32 vcc_lo, 11, v0
	ds_load_b64 v[30:31], v96
	v_dual_cndmask_b32 v32, v32, v25 :: v_dual_cndmask_b32 v33, v33, v24
	v_cmp_eq_u32_e32 vcc_lo, 12, v0
	v_cndmask_b32_e32 v32, v32, v27, vcc_lo
	s_delay_alu instid0(VALU_DEP_3) | instskip(SKIP_1) | instid1(VALU_DEP_3)
	v_cndmask_b32_e32 v36, v33, v26, vcc_lo
	v_cmp_eq_u32_e32 vcc_lo, 13, v0
	v_cndmask_b32_e32 v33, v32, v29, vcc_lo
	s_delay_alu instid0(VALU_DEP_3) | instskip(SKIP_1) | instid1(VALU_DEP_1)
	v_cndmask_b32_e32 v32, v36, v28, vcc_lo
	s_waitcnt lgkmcnt(0)
	v_mul_f64 v[30:31], v[32:33], v[30:31]
	s_cbranch_execz .LBB13_254
	s_branch .LBB13_255
.LBB13_253:
                                        ; implicit-def: $vgpr30_vgpr31
.LBB13_254:
	ds_load_b64 v[30:31], v96
.LBB13_255:
	s_mov_b32 s6, exec_lo
	v_cmpx_ne_u32_e32 6, v0
	s_cbranch_execz .LBB13_259
; %bb.256:
	v_lshl_add_u32 v36, v0, 3, 0x78
	v_dual_mov_b32 v33, v1 :: v_dual_mov_b32 v32, v0
	s_mov_b32 s7, 0
.LBB13_257:                             ; =>This Inner Loop Header: Depth=1
	s_delay_alu instid0(VALU_DEP_1) | instskip(NEXT) | instid1(VALU_DEP_2)
	v_add_co_u32 v32, vcc_lo, v32, 1
	v_add_co_ci_u32_e32 v33, vcc_lo, 0, v33, vcc_lo
	s_delay_alu instid0(VALU_DEP_2) | instskip(SKIP_3) | instid1(VALU_DEP_2)
	v_cmp_eq_u32_e32 vcc_lo, 1, v32
	v_cmp_eq_u32_e64 s4, 2, v32
	v_dual_cndmask_b32 v37, v3, v5 :: v_dual_cndmask_b32 v38, v2, v4
	v_cmp_eq_u32_e32 vcc_lo, 3, v32
	v_cndmask_b32_e64 v37, v37, v7, s4
	s_delay_alu instid0(VALU_DEP_3) | instskip(SKIP_1) | instid1(VALU_DEP_2)
	v_cndmask_b32_e64 v38, v38, v6, s4
	v_cmp_eq_u32_e64 s4, 4, v32
	v_dual_cndmask_b32 v37, v37, v9 :: v_dual_cndmask_b32 v38, v38, v8
	v_cmp_eq_u32_e32 vcc_lo, 5, v32
	s_delay_alu instid0(VALU_DEP_2) | instskip(NEXT) | instid1(VALU_DEP_3)
	v_cndmask_b32_e64 v37, v37, v11, s4
	v_cndmask_b32_e64 v38, v38, v10, s4
	v_cmp_eq_u32_e64 s4, 6, v32
	s_delay_alu instid0(VALU_DEP_2) | instskip(SKIP_1) | instid1(VALU_DEP_2)
	v_dual_cndmask_b32 v37, v37, v13 :: v_dual_cndmask_b32 v38, v38, v12
	v_cmp_eq_u32_e32 vcc_lo, 7, v32
	v_cndmask_b32_e64 v37, v37, v15, s4
	s_delay_alu instid0(VALU_DEP_3) | instskip(SKIP_1) | instid1(VALU_DEP_2)
	v_cndmask_b32_e64 v38, v38, v14, s4
	v_cmp_eq_u32_e64 s4, 8, v32
	v_dual_cndmask_b32 v37, v37, v17 :: v_dual_cndmask_b32 v38, v38, v16
	v_cmp_eq_u32_e32 vcc_lo, 9, v32
	s_delay_alu instid0(VALU_DEP_2) | instskip(NEXT) | instid1(VALU_DEP_3)
	v_cndmask_b32_e64 v37, v37, v19, s4
	v_cndmask_b32_e64 v38, v38, v18, s4
	v_cmp_eq_u32_e64 s4, 10, v32
	s_delay_alu instid0(VALU_DEP_2)
	v_dual_cndmask_b32 v39, v37, v21 :: v_dual_cndmask_b32 v40, v38, v20
	ds_load_b64 v[37:38], v36
	v_cmp_eq_u32_e32 vcc_lo, 11, v32
	v_add_nc_u32_e32 v36, 8, v36
	v_cndmask_b32_e64 v39, v39, v23, s4
	v_cndmask_b32_e64 v40, v40, v22, s4
	v_cmp_eq_u32_e64 s4, 12, v32
	s_delay_alu instid0(VALU_DEP_2) | instskip(SKIP_1) | instid1(VALU_DEP_2)
	v_dual_cndmask_b32 v39, v39, v25 :: v_dual_cndmask_b32 v40, v40, v24
	v_cmp_eq_u32_e32 vcc_lo, 13, v32
	v_cndmask_b32_e64 v39, v39, v27, s4
	s_delay_alu instid0(VALU_DEP_3) | instskip(NEXT) | instid1(VALU_DEP_1)
	v_cndmask_b32_e64 v41, v40, v26, s4
	v_dual_cndmask_b32 v40, v39, v29 :: v_dual_cndmask_b32 v39, v41, v28
	v_cmp_lt_u32_e32 vcc_lo, 5, v32
	s_waitcnt lgkmcnt(0)
	s_delay_alu instid0(VALU_DEP_2) | instskip(SKIP_1) | instid1(SALU_CYCLE_1)
	v_fma_f64 v[30:31], v[39:40], v[37:38], v[30:31]
	s_or_b32 s7, vcc_lo, s7
	s_and_not1_b32 exec_lo, exec_lo, s7
	s_cbranch_execnz .LBB13_257
; %bb.258:
	s_or_b32 exec_lo, exec_lo, s7
.LBB13_259:
	s_delay_alu instid0(SALU_CYCLE_1)
	s_or_b32 exec_lo, exec_lo, s6
	v_mov_b32_e32 v16, 0
	ds_load_b64 v[16:17], v16 offset:56
	s_waitcnt lgkmcnt(0)
	v_mul_f64 v[16:17], v[30:31], v[16:17]
.LBB13_260:
	s_or_b32 exec_lo, exec_lo, s5
	s_delay_alu instid0(SALU_CYCLE_1)
	s_mov_b32 s5, exec_lo
	ds_store_b64 v96, v[18:19]
	s_waitcnt lgkmcnt(0)
	s_barrier
	buffer_gl0_inv
	v_cmpx_gt_u32_e32 8, v0
	s_cbranch_execz .LBB13_270
; %bb.261:
	v_cmp_ne_u32_e32 vcc_lo, 1, v34
	s_cbranch_vccnz .LBB13_263
; %bb.262:
	v_cmp_eq_u32_e32 vcc_lo, 1, v0
	v_dual_cndmask_b32 v30, v3, v5 :: v_dual_cndmask_b32 v31, v2, v4
	v_cmp_eq_u32_e32 vcc_lo, 2, v0
	s_delay_alu instid0(VALU_DEP_2) | instskip(SKIP_1) | instid1(VALU_DEP_2)
	v_dual_cndmask_b32 v30, v30, v7 :: v_dual_cndmask_b32 v31, v31, v6
	v_cmp_eq_u32_e32 vcc_lo, 3, v0
	v_dual_cndmask_b32 v30, v30, v9 :: v_dual_cndmask_b32 v31, v31, v8
	v_cmp_eq_u32_e32 vcc_lo, 4, v0
	s_delay_alu instid0(VALU_DEP_2) | instskip(SKIP_1) | instid1(VALU_DEP_2)
	v_dual_cndmask_b32 v30, v30, v11 :: v_dual_cndmask_b32 v31, v31, v10
	;; [unrolled: 5-line block ×4, first 2 shown]
	v_cmp_eq_u32_e32 vcc_lo, 9, v0
	v_dual_cndmask_b32 v30, v30, v21 :: v_dual_cndmask_b32 v31, v31, v20
	v_cmp_eq_u32_e32 vcc_lo, 10, v0
	s_delay_alu instid0(VALU_DEP_2) | instskip(SKIP_4) | instid1(VALU_DEP_2)
	v_dual_cndmask_b32 v32, v30, v23 :: v_dual_cndmask_b32 v33, v31, v22
	v_cmp_eq_u32_e32 vcc_lo, 11, v0
	ds_load_b64 v[30:31], v96
	v_dual_cndmask_b32 v32, v32, v25 :: v_dual_cndmask_b32 v33, v33, v24
	v_cmp_eq_u32_e32 vcc_lo, 12, v0
	v_cndmask_b32_e32 v32, v32, v27, vcc_lo
	s_delay_alu instid0(VALU_DEP_3) | instskip(SKIP_1) | instid1(VALU_DEP_3)
	v_cndmask_b32_e32 v36, v33, v26, vcc_lo
	v_cmp_eq_u32_e32 vcc_lo, 13, v0
	v_cndmask_b32_e32 v33, v32, v29, vcc_lo
	s_delay_alu instid0(VALU_DEP_3) | instskip(SKIP_1) | instid1(VALU_DEP_1)
	v_cndmask_b32_e32 v32, v36, v28, vcc_lo
	s_waitcnt lgkmcnt(0)
	v_mul_f64 v[30:31], v[32:33], v[30:31]
	s_cbranch_execz .LBB13_264
	s_branch .LBB13_265
.LBB13_263:
                                        ; implicit-def: $vgpr30_vgpr31
.LBB13_264:
	ds_load_b64 v[30:31], v96
.LBB13_265:
	s_mov_b32 s6, exec_lo
	v_cmpx_ne_u32_e32 7, v0
	s_cbranch_execz .LBB13_269
; %bb.266:
	v_lshl_add_u32 v36, v0, 3, 0x78
	v_dual_mov_b32 v33, v1 :: v_dual_mov_b32 v32, v0
	s_mov_b32 s7, 0
.LBB13_267:                             ; =>This Inner Loop Header: Depth=1
	s_delay_alu instid0(VALU_DEP_1) | instskip(NEXT) | instid1(VALU_DEP_2)
	v_add_co_u32 v32, vcc_lo, v32, 1
	v_add_co_ci_u32_e32 v33, vcc_lo, 0, v33, vcc_lo
	s_delay_alu instid0(VALU_DEP_2) | instskip(SKIP_3) | instid1(VALU_DEP_2)
	v_cmp_eq_u32_e32 vcc_lo, 1, v32
	v_cmp_eq_u32_e64 s4, 2, v32
	v_dual_cndmask_b32 v37, v3, v5 :: v_dual_cndmask_b32 v38, v2, v4
	v_cmp_eq_u32_e32 vcc_lo, 3, v32
	v_cndmask_b32_e64 v37, v37, v7, s4
	s_delay_alu instid0(VALU_DEP_3) | instskip(SKIP_1) | instid1(VALU_DEP_2)
	v_cndmask_b32_e64 v38, v38, v6, s4
	v_cmp_eq_u32_e64 s4, 4, v32
	v_dual_cndmask_b32 v37, v37, v9 :: v_dual_cndmask_b32 v38, v38, v8
	v_cmp_eq_u32_e32 vcc_lo, 5, v32
	s_delay_alu instid0(VALU_DEP_2) | instskip(NEXT) | instid1(VALU_DEP_3)
	v_cndmask_b32_e64 v37, v37, v11, s4
	v_cndmask_b32_e64 v38, v38, v10, s4
	v_cmp_eq_u32_e64 s4, 6, v32
	s_delay_alu instid0(VALU_DEP_2) | instskip(SKIP_1) | instid1(VALU_DEP_2)
	v_dual_cndmask_b32 v37, v37, v13 :: v_dual_cndmask_b32 v38, v38, v12
	v_cmp_eq_u32_e32 vcc_lo, 7, v32
	v_cndmask_b32_e64 v37, v37, v15, s4
	s_delay_alu instid0(VALU_DEP_3) | instskip(SKIP_1) | instid1(VALU_DEP_2)
	v_cndmask_b32_e64 v38, v38, v14, s4
	v_cmp_eq_u32_e64 s4, 8, v32
	v_dual_cndmask_b32 v37, v37, v17 :: v_dual_cndmask_b32 v38, v38, v16
	v_cmp_eq_u32_e32 vcc_lo, 9, v32
	s_delay_alu instid0(VALU_DEP_2) | instskip(NEXT) | instid1(VALU_DEP_3)
	v_cndmask_b32_e64 v37, v37, v19, s4
	v_cndmask_b32_e64 v38, v38, v18, s4
	v_cmp_eq_u32_e64 s4, 10, v32
	s_delay_alu instid0(VALU_DEP_2)
	v_dual_cndmask_b32 v39, v37, v21 :: v_dual_cndmask_b32 v40, v38, v20
	ds_load_b64 v[37:38], v36
	v_cmp_eq_u32_e32 vcc_lo, 11, v32
	v_add_nc_u32_e32 v36, 8, v36
	v_cndmask_b32_e64 v39, v39, v23, s4
	v_cndmask_b32_e64 v40, v40, v22, s4
	v_cmp_eq_u32_e64 s4, 12, v32
	s_delay_alu instid0(VALU_DEP_2) | instskip(SKIP_1) | instid1(VALU_DEP_2)
	v_dual_cndmask_b32 v39, v39, v25 :: v_dual_cndmask_b32 v40, v40, v24
	v_cmp_eq_u32_e32 vcc_lo, 13, v32
	v_cndmask_b32_e64 v39, v39, v27, s4
	s_delay_alu instid0(VALU_DEP_3) | instskip(NEXT) | instid1(VALU_DEP_1)
	v_cndmask_b32_e64 v41, v40, v26, s4
	v_dual_cndmask_b32 v40, v39, v29 :: v_dual_cndmask_b32 v39, v41, v28
	v_cmp_lt_u32_e32 vcc_lo, 6, v32
	s_waitcnt lgkmcnt(0)
	s_delay_alu instid0(VALU_DEP_2) | instskip(SKIP_1) | instid1(SALU_CYCLE_1)
	v_fma_f64 v[30:31], v[39:40], v[37:38], v[30:31]
	s_or_b32 s7, vcc_lo, s7
	s_and_not1_b32 exec_lo, exec_lo, s7
	s_cbranch_execnz .LBB13_267
; %bb.268:
	s_or_b32 exec_lo, exec_lo, s7
.LBB13_269:
	s_delay_alu instid0(SALU_CYCLE_1)
	s_or_b32 exec_lo, exec_lo, s6
	v_mov_b32_e32 v18, 0
	ds_load_b64 v[18:19], v18 offset:64
	s_waitcnt lgkmcnt(0)
	v_mul_f64 v[18:19], v[30:31], v[18:19]
.LBB13_270:
	s_or_b32 exec_lo, exec_lo, s5
	s_delay_alu instid0(SALU_CYCLE_1)
	s_mov_b32 s4, exec_lo
	ds_store_b64 v96, v[20:21]
	s_waitcnt lgkmcnt(0)
	s_barrier
	buffer_gl0_inv
	v_cmpx_gt_u32_e32 9, v0
	s_cbranch_execz .LBB13_292
; %bb.271:
	v_cmp_ne_u32_e32 vcc_lo, 1, v34
	s_cbranch_vccnz .LBB13_273
; %bb.272:
	v_cmp_eq_u32_e32 vcc_lo, 1, v0
	v_dual_cndmask_b32 v30, v3, v5 :: v_dual_cndmask_b32 v31, v2, v4
	v_cmp_eq_u32_e32 vcc_lo, 2, v0
	s_delay_alu instid0(VALU_DEP_2) | instskip(SKIP_1) | instid1(VALU_DEP_2)
	v_dual_cndmask_b32 v30, v30, v7 :: v_dual_cndmask_b32 v31, v31, v6
	v_cmp_eq_u32_e32 vcc_lo, 3, v0
	v_dual_cndmask_b32 v30, v30, v9 :: v_dual_cndmask_b32 v31, v31, v8
	v_cmp_eq_u32_e32 vcc_lo, 4, v0
	s_delay_alu instid0(VALU_DEP_2) | instskip(SKIP_1) | instid1(VALU_DEP_2)
	v_dual_cndmask_b32 v30, v30, v11 :: v_dual_cndmask_b32 v31, v31, v10
	;; [unrolled: 5-line block ×4, first 2 shown]
	v_cmp_eq_u32_e32 vcc_lo, 9, v0
	v_dual_cndmask_b32 v30, v30, v21 :: v_dual_cndmask_b32 v31, v31, v20
	v_cmp_eq_u32_e32 vcc_lo, 10, v0
	s_delay_alu instid0(VALU_DEP_2) | instskip(SKIP_4) | instid1(VALU_DEP_2)
	v_dual_cndmask_b32 v32, v30, v23 :: v_dual_cndmask_b32 v33, v31, v22
	v_cmp_eq_u32_e32 vcc_lo, 11, v0
	ds_load_b64 v[30:31], v96
	v_dual_cndmask_b32 v32, v32, v25 :: v_dual_cndmask_b32 v33, v33, v24
	v_cmp_eq_u32_e32 vcc_lo, 12, v0
	v_cndmask_b32_e32 v32, v32, v27, vcc_lo
	s_delay_alu instid0(VALU_DEP_3) | instskip(SKIP_1) | instid1(VALU_DEP_3)
	v_cndmask_b32_e32 v36, v33, v26, vcc_lo
	v_cmp_eq_u32_e32 vcc_lo, 13, v0
	v_cndmask_b32_e32 v33, v32, v29, vcc_lo
	s_delay_alu instid0(VALU_DEP_3) | instskip(SKIP_1) | instid1(VALU_DEP_1)
	v_cndmask_b32_e32 v32, v36, v28, vcc_lo
	s_waitcnt lgkmcnt(0)
	v_mul_f64 v[30:31], v[32:33], v[30:31]
	s_cbranch_execz .LBB13_274
	s_branch .LBB13_275
.LBB13_273:
                                        ; implicit-def: $vgpr30_vgpr31
.LBB13_274:
	ds_load_b64 v[30:31], v96
.LBB13_275:
	s_mov_b32 s5, exec_lo
	v_cmpx_ne_u32_e32 8, v0
	s_cbranch_execz .LBB13_291
; %bb.276:
	v_cmp_eq_u32_e32 vcc_lo, 1, v35
	v_dual_cndmask_b32 v32, v3, v5 :: v_dual_cndmask_b32 v33, v2, v4
	v_cmp_eq_u32_e32 vcc_lo, 2, v35
	s_delay_alu instid0(VALU_DEP_2) | instskip(SKIP_1) | instid1(VALU_DEP_2)
	v_dual_cndmask_b32 v32, v32, v7 :: v_dual_cndmask_b32 v33, v33, v6
	v_cmp_eq_u32_e32 vcc_lo, 3, v35
	v_dual_cndmask_b32 v32, v32, v9 :: v_dual_cndmask_b32 v33, v33, v8
	v_cmp_eq_u32_e32 vcc_lo, 4, v35
	s_delay_alu instid0(VALU_DEP_2) | instskip(SKIP_1) | instid1(VALU_DEP_2)
	v_dual_cndmask_b32 v32, v32, v11 :: v_dual_cndmask_b32 v33, v33, v10
	;; [unrolled: 5-line block ×4, first 2 shown]
	v_cmp_eq_u32_e32 vcc_lo, 9, v35
	v_dual_cndmask_b32 v32, v32, v21 :: v_dual_cndmask_b32 v33, v33, v20
	v_cmp_eq_u32_e32 vcc_lo, 10, v35
	s_delay_alu instid0(VALU_DEP_2) | instskip(SKIP_4) | instid1(VALU_DEP_2)
	v_dual_cndmask_b32 v36, v32, v23 :: v_dual_cndmask_b32 v37, v33, v22
	v_cmp_eq_u32_e32 vcc_lo, 11, v35
	ds_load_b64 v[32:33], v96 offset:8
	v_dual_cndmask_b32 v36, v36, v25 :: v_dual_cndmask_b32 v37, v37, v24
	v_cmp_eq_u32_e32 vcc_lo, 12, v35
	v_dual_cndmask_b32 v36, v36, v27 :: v_dual_cndmask_b32 v37, v37, v26
	v_cmp_eq_u32_e32 vcc_lo, 13, v35
	s_delay_alu instid0(VALU_DEP_2) | instskip(SKIP_1) | instid1(VALU_DEP_1)
	v_dual_cndmask_b32 v36, v36, v29 :: v_dual_cndmask_b32 v35, v37, v28
	s_waitcnt lgkmcnt(0)
	v_fma_f64 v[30:31], v[35:36], v[32:33], v[30:31]
	s_and_saveexec_b32 s6, s3
	s_cbranch_execz .LBB13_290
; %bb.277:
	v_add_nc_u32_e32 v35, 2, v0
	s_mov_b32 s3, exec_lo
	s_delay_alu instid0(VALU_DEP_1) | instskip(SKIP_2) | instid1(VALU_DEP_2)
	v_cmp_eq_u32_e32 vcc_lo, 1, v35
	v_dual_cndmask_b32 v32, v3, v5 :: v_dual_cndmask_b32 v33, v2, v4
	v_cmp_eq_u32_e32 vcc_lo, 2, v35
	v_dual_cndmask_b32 v32, v32, v7 :: v_dual_cndmask_b32 v33, v33, v6
	v_cmp_eq_u32_e32 vcc_lo, 3, v35
	s_delay_alu instid0(VALU_DEP_2) | instskip(SKIP_1) | instid1(VALU_DEP_2)
	v_dual_cndmask_b32 v32, v32, v9 :: v_dual_cndmask_b32 v33, v33, v8
	v_cmp_eq_u32_e32 vcc_lo, 4, v35
	v_dual_cndmask_b32 v32, v32, v11 :: v_dual_cndmask_b32 v33, v33, v10
	v_cmp_eq_u32_e32 vcc_lo, 5, v35
	s_delay_alu instid0(VALU_DEP_2) | instskip(SKIP_1) | instid1(VALU_DEP_2)
	;; [unrolled: 5-line block ×4, first 2 shown]
	v_dual_cndmask_b32 v32, v32, v21 :: v_dual_cndmask_b32 v33, v33, v20
	v_cmp_eq_u32_e32 vcc_lo, 10, v35
	v_dual_cndmask_b32 v36, v32, v23 :: v_dual_cndmask_b32 v37, v33, v22
	v_cmp_eq_u32_e32 vcc_lo, 11, v35
	ds_load_b64 v[32:33], v96 offset:16
	v_dual_cndmask_b32 v36, v36, v25 :: v_dual_cndmask_b32 v37, v37, v24
	v_cmp_eq_u32_e32 vcc_lo, 12, v35
	s_delay_alu instid0(VALU_DEP_2) | instskip(SKIP_1) | instid1(VALU_DEP_2)
	v_dual_cndmask_b32 v36, v36, v27 :: v_dual_cndmask_b32 v37, v37, v26
	v_cmp_eq_u32_e32 vcc_lo, 13, v35
	v_dual_cndmask_b32 v36, v36, v29 :: v_dual_cndmask_b32 v35, v37, v28
	s_waitcnt lgkmcnt(0)
	s_delay_alu instid0(VALU_DEP_1)
	v_fma_f64 v[30:31], v[35:36], v[32:33], v[30:31]
	v_cmpx_ne_u32_e32 6, v0
	s_cbranch_execz .LBB13_289
; %bb.278:
	v_add_nc_u32_e32 v35, 3, v0
	s_delay_alu instid0(VALU_DEP_1) | instskip(SKIP_2) | instid1(VALU_DEP_2)
	v_cmp_eq_u32_e32 vcc_lo, 1, v35
	v_dual_cndmask_b32 v32, v3, v5 :: v_dual_cndmask_b32 v33, v2, v4
	v_cmp_eq_u32_e32 vcc_lo, 2, v35
	v_dual_cndmask_b32 v32, v32, v7 :: v_dual_cndmask_b32 v33, v33, v6
	v_cmp_eq_u32_e32 vcc_lo, 3, v35
	s_delay_alu instid0(VALU_DEP_2) | instskip(SKIP_1) | instid1(VALU_DEP_2)
	v_dual_cndmask_b32 v32, v32, v9 :: v_dual_cndmask_b32 v33, v33, v8
	v_cmp_eq_u32_e32 vcc_lo, 4, v35
	v_dual_cndmask_b32 v32, v32, v11 :: v_dual_cndmask_b32 v33, v33, v10
	v_cmp_eq_u32_e32 vcc_lo, 5, v35
	s_delay_alu instid0(VALU_DEP_2) | instskip(SKIP_1) | instid1(VALU_DEP_2)
	;; [unrolled: 5-line block ×4, first 2 shown]
	v_dual_cndmask_b32 v32, v32, v21 :: v_dual_cndmask_b32 v33, v33, v20
	v_cmp_eq_u32_e32 vcc_lo, 10, v35
	v_dual_cndmask_b32 v36, v32, v23 :: v_dual_cndmask_b32 v37, v33, v22
	v_cmp_eq_u32_e32 vcc_lo, 11, v35
	ds_load_b64 v[32:33], v96 offset:24
	v_dual_cndmask_b32 v36, v36, v25 :: v_dual_cndmask_b32 v37, v37, v24
	v_cmp_eq_u32_e32 vcc_lo, 12, v35
	s_delay_alu instid0(VALU_DEP_2) | instskip(SKIP_1) | instid1(VALU_DEP_2)
	v_dual_cndmask_b32 v36, v36, v27 :: v_dual_cndmask_b32 v37, v37, v26
	v_cmp_eq_u32_e32 vcc_lo, 13, v35
	v_dual_cndmask_b32 v36, v36, v29 :: v_dual_cndmask_b32 v35, v37, v28
	s_waitcnt lgkmcnt(0)
	s_delay_alu instid0(VALU_DEP_1)
	v_fma_f64 v[30:31], v[35:36], v[32:33], v[30:31]
	s_and_saveexec_b32 s7, s2
	s_cbranch_execz .LBB13_288
; %bb.279:
	v_add_nc_u32_e32 v35, 4, v0
	s_mov_b32 s2, exec_lo
	s_delay_alu instid0(VALU_DEP_1) | instskip(SKIP_2) | instid1(VALU_DEP_2)
	v_cmp_eq_u32_e32 vcc_lo, 1, v35
	v_dual_cndmask_b32 v32, v3, v5 :: v_dual_cndmask_b32 v33, v2, v4
	v_cmp_eq_u32_e32 vcc_lo, 2, v35
	v_dual_cndmask_b32 v32, v32, v7 :: v_dual_cndmask_b32 v33, v33, v6
	v_cmp_eq_u32_e32 vcc_lo, 3, v35
	s_delay_alu instid0(VALU_DEP_2) | instskip(SKIP_1) | instid1(VALU_DEP_2)
	v_dual_cndmask_b32 v32, v32, v9 :: v_dual_cndmask_b32 v33, v33, v8
	v_cmp_eq_u32_e32 vcc_lo, 4, v35
	v_dual_cndmask_b32 v32, v32, v11 :: v_dual_cndmask_b32 v33, v33, v10
	v_cmp_eq_u32_e32 vcc_lo, 5, v35
	s_delay_alu instid0(VALU_DEP_2) | instskip(SKIP_1) | instid1(VALU_DEP_2)
	;; [unrolled: 5-line block ×4, first 2 shown]
	v_dual_cndmask_b32 v32, v32, v21 :: v_dual_cndmask_b32 v33, v33, v20
	v_cmp_eq_u32_e32 vcc_lo, 10, v35
	v_dual_cndmask_b32 v36, v32, v23 :: v_dual_cndmask_b32 v37, v33, v22
	v_cmp_eq_u32_e32 vcc_lo, 11, v35
	ds_load_b64 v[32:33], v96 offset:32
	v_dual_cndmask_b32 v36, v36, v25 :: v_dual_cndmask_b32 v37, v37, v24
	v_cmp_eq_u32_e32 vcc_lo, 12, v35
	s_delay_alu instid0(VALU_DEP_2) | instskip(SKIP_1) | instid1(VALU_DEP_2)
	v_dual_cndmask_b32 v36, v36, v27 :: v_dual_cndmask_b32 v37, v37, v26
	v_cmp_eq_u32_e32 vcc_lo, 13, v35
	v_dual_cndmask_b32 v36, v36, v29 :: v_dual_cndmask_b32 v35, v37, v28
	s_waitcnt lgkmcnt(0)
	s_delay_alu instid0(VALU_DEP_1)
	v_fma_f64 v[30:31], v[35:36], v[32:33], v[30:31]
	v_cmpx_ne_u32_e32 4, v0
	s_cbranch_execz .LBB13_287
; %bb.280:
	v_add_nc_u32_e32 v35, 5, v0
	s_delay_alu instid0(VALU_DEP_1) | instskip(SKIP_2) | instid1(VALU_DEP_2)
	v_cmp_eq_u32_e32 vcc_lo, 1, v35
	v_dual_cndmask_b32 v32, v3, v5 :: v_dual_cndmask_b32 v33, v2, v4
	v_cmp_eq_u32_e32 vcc_lo, 2, v35
	v_dual_cndmask_b32 v32, v32, v7 :: v_dual_cndmask_b32 v33, v33, v6
	v_cmp_eq_u32_e32 vcc_lo, 3, v35
	s_delay_alu instid0(VALU_DEP_2) | instskip(SKIP_1) | instid1(VALU_DEP_2)
	v_dual_cndmask_b32 v32, v32, v9 :: v_dual_cndmask_b32 v33, v33, v8
	v_cmp_eq_u32_e32 vcc_lo, 4, v35
	v_dual_cndmask_b32 v32, v32, v11 :: v_dual_cndmask_b32 v33, v33, v10
	v_cmp_eq_u32_e32 vcc_lo, 5, v35
	s_delay_alu instid0(VALU_DEP_2) | instskip(SKIP_1) | instid1(VALU_DEP_2)
	;; [unrolled: 5-line block ×4, first 2 shown]
	v_dual_cndmask_b32 v32, v32, v21 :: v_dual_cndmask_b32 v33, v33, v20
	v_cmp_eq_u32_e32 vcc_lo, 10, v35
	v_dual_cndmask_b32 v36, v32, v23 :: v_dual_cndmask_b32 v37, v33, v22
	v_cmp_eq_u32_e32 vcc_lo, 11, v35
	ds_load_b64 v[32:33], v96 offset:40
	v_dual_cndmask_b32 v36, v36, v25 :: v_dual_cndmask_b32 v37, v37, v24
	v_cmp_eq_u32_e32 vcc_lo, 12, v35
	s_delay_alu instid0(VALU_DEP_2) | instskip(SKIP_1) | instid1(VALU_DEP_2)
	v_dual_cndmask_b32 v36, v36, v27 :: v_dual_cndmask_b32 v37, v37, v26
	v_cmp_eq_u32_e32 vcc_lo, 13, v35
	v_dual_cndmask_b32 v36, v36, v29 :: v_dual_cndmask_b32 v35, v37, v28
	s_waitcnt lgkmcnt(0)
	s_delay_alu instid0(VALU_DEP_1)
	v_fma_f64 v[30:31], v[35:36], v[32:33], v[30:31]
	s_and_saveexec_b32 s8, s1
	s_cbranch_execz .LBB13_286
; %bb.281:
	v_add_nc_u32_e32 v35, 6, v0
	s_mov_b32 s1, exec_lo
	s_delay_alu instid0(VALU_DEP_1) | instskip(SKIP_2) | instid1(VALU_DEP_2)
	v_cmp_eq_u32_e32 vcc_lo, 1, v35
	v_dual_cndmask_b32 v32, v3, v5 :: v_dual_cndmask_b32 v33, v2, v4
	v_cmp_eq_u32_e32 vcc_lo, 2, v35
	v_dual_cndmask_b32 v32, v32, v7 :: v_dual_cndmask_b32 v33, v33, v6
	v_cmp_eq_u32_e32 vcc_lo, 3, v35
	s_delay_alu instid0(VALU_DEP_2) | instskip(SKIP_1) | instid1(VALU_DEP_2)
	v_dual_cndmask_b32 v32, v32, v9 :: v_dual_cndmask_b32 v33, v33, v8
	v_cmp_eq_u32_e32 vcc_lo, 4, v35
	v_dual_cndmask_b32 v32, v32, v11 :: v_dual_cndmask_b32 v33, v33, v10
	v_cmp_eq_u32_e32 vcc_lo, 5, v35
	s_delay_alu instid0(VALU_DEP_2) | instskip(SKIP_1) | instid1(VALU_DEP_2)
	;; [unrolled: 5-line block ×4, first 2 shown]
	v_dual_cndmask_b32 v32, v32, v21 :: v_dual_cndmask_b32 v33, v33, v20
	v_cmp_eq_u32_e32 vcc_lo, 10, v35
	v_dual_cndmask_b32 v36, v32, v23 :: v_dual_cndmask_b32 v37, v33, v22
	v_cmp_eq_u32_e32 vcc_lo, 11, v35
	ds_load_b64 v[32:33], v96 offset:48
	v_dual_cndmask_b32 v36, v36, v25 :: v_dual_cndmask_b32 v37, v37, v24
	v_cmp_eq_u32_e32 vcc_lo, 12, v35
	s_delay_alu instid0(VALU_DEP_2) | instskip(SKIP_1) | instid1(VALU_DEP_2)
	v_dual_cndmask_b32 v36, v36, v27 :: v_dual_cndmask_b32 v37, v37, v26
	v_cmp_eq_u32_e32 vcc_lo, 13, v35
	v_dual_cndmask_b32 v36, v36, v29 :: v_dual_cndmask_b32 v35, v37, v28
	s_waitcnt lgkmcnt(0)
	s_delay_alu instid0(VALU_DEP_1)
	v_fma_f64 v[30:31], v[35:36], v[32:33], v[30:31]
	v_cmpx_ne_u32_e32 2, v0
	s_cbranch_execz .LBB13_285
; %bb.282:
	v_add_nc_u32_e32 v32, 7, v0
	s_delay_alu instid0(VALU_DEP_1) | instskip(SKIP_3) | instid1(VALU_DEP_3)
	v_cmp_eq_u32_e32 vcc_lo, 1, v32
	v_cndmask_b32_e32 v33, v3, v5, vcc_lo
	v_cndmask_b32_e32 v35, v2, v4, vcc_lo
	v_cmp_eq_u32_e32 vcc_lo, 2, v32
	v_cndmask_b32_e32 v33, v33, v7, vcc_lo
	s_delay_alu instid0(VALU_DEP_3) | instskip(SKIP_1) | instid1(VALU_DEP_3)
	v_cndmask_b32_e32 v35, v35, v6, vcc_lo
	v_cmp_eq_u32_e32 vcc_lo, 3, v32
	v_cndmask_b32_e32 v33, v33, v9, vcc_lo
	s_delay_alu instid0(VALU_DEP_3) | instskip(SKIP_1) | instid1(VALU_DEP_3)
	;; [unrolled: 4-line block ×6, first 2 shown]
	v_cndmask_b32_e32 v35, v35, v16, vcc_lo
	v_cmp_eq_u32_e32 vcc_lo, 8, v32
	v_cndmask_b32_e32 v33, v33, v19, vcc_lo
	s_delay_alu instid0(VALU_DEP_3) | instskip(SKIP_1) | instid1(VALU_DEP_2)
	v_cndmask_b32_e32 v35, v35, v18, vcc_lo
	v_cmp_eq_u32_e32 vcc_lo, 9, v32
	v_dual_cndmask_b32 v21, v33, v21 :: v_dual_cndmask_b32 v20, v35, v20
	v_cmp_eq_u32_e32 vcc_lo, 10, v32
	s_delay_alu instid0(VALU_DEP_2) | instskip(NEXT) | instid1(VALU_DEP_3)
	v_cndmask_b32_e32 v33, v21, v23, vcc_lo
	v_cndmask_b32_e32 v35, v20, v22, vcc_lo
	v_cmp_eq_u32_e32 vcc_lo, 11, v32
	ds_load_b64 v[20:21], v96 offset:56
	v_cndmask_b32_e32 v33, v33, v25, vcc_lo
	v_cndmask_b32_e32 v35, v35, v24, vcc_lo
	v_cmp_eq_u32_e32 vcc_lo, 12, v32
	s_delay_alu instid0(VALU_DEP_3) | instskip(NEXT) | instid1(VALU_DEP_3)
	v_cndmask_b32_e32 v33, v33, v27, vcc_lo
	v_cndmask_b32_e32 v35, v35, v26, vcc_lo
	v_cmp_eq_u32_e32 vcc_lo, 13, v32
	s_delay_alu instid0(VALU_DEP_2) | instskip(SKIP_1) | instid1(VALU_DEP_1)
	v_dual_cndmask_b32 v32, v35, v28 :: v_dual_cndmask_b32 v33, v33, v29
	s_waitcnt lgkmcnt(0)
	v_fma_f64 v[30:31], v[32:33], v[20:21], v[30:31]
	s_and_saveexec_b32 s9, s0
	s_cbranch_execz .LBB13_284
; %bb.283:
	ds_load_b64 v[20:21], v96 offset:64
	s_waitcnt lgkmcnt(0)
	v_fma_f64 v[30:31], v[18:19], v[20:21], v[30:31]
.LBB13_284:
	s_or_b32 exec_lo, exec_lo, s9
.LBB13_285:
	s_delay_alu instid0(SALU_CYCLE_1)
	s_or_b32 exec_lo, exec_lo, s1
.LBB13_286:
	s_delay_alu instid0(SALU_CYCLE_1)
	s_or_b32 exec_lo, exec_lo, s8
.LBB13_287:
	s_delay_alu instid0(SALU_CYCLE_1)
	s_or_b32 exec_lo, exec_lo, s2
.LBB13_288:
	s_delay_alu instid0(SALU_CYCLE_1)
	s_or_b32 exec_lo, exec_lo, s7
.LBB13_289:
	s_delay_alu instid0(SALU_CYCLE_1)
	s_or_b32 exec_lo, exec_lo, s3
.LBB13_290:
	s_delay_alu instid0(SALU_CYCLE_1)
	s_or_b32 exec_lo, exec_lo, s6
.LBB13_291:
	s_delay_alu instid0(SALU_CYCLE_1)
	s_or_b32 exec_lo, exec_lo, s5
	v_mov_b32_e32 v20, 0
	ds_load_b64 v[20:21], v20 offset:72
	s_waitcnt lgkmcnt(0)
	v_mul_f64 v[20:21], v[30:31], v[20:21]
.LBB13_292:
	s_or_b32 exec_lo, exec_lo, s4
	s_delay_alu instid0(SALU_CYCLE_1)
	s_mov_b32 s1, exec_lo
	ds_store_b64 v96, v[22:23]
	s_waitcnt lgkmcnt(0)
	s_barrier
	buffer_gl0_inv
	v_cmpx_gt_u32_e32 10, v0
	s_cbranch_execz .LBB13_302
; %bb.293:
	v_cmp_ne_u32_e32 vcc_lo, 1, v34
	s_cbranch_vccnz .LBB13_295
; %bb.294:
	v_cmp_eq_u32_e32 vcc_lo, 1, v0
	v_dual_cndmask_b32 v30, v3, v5 :: v_dual_cndmask_b32 v31, v2, v4
	v_cmp_eq_u32_e32 vcc_lo, 2, v0
	s_delay_alu instid0(VALU_DEP_2) | instskip(SKIP_1) | instid1(VALU_DEP_2)
	v_dual_cndmask_b32 v30, v30, v7 :: v_dual_cndmask_b32 v31, v31, v6
	v_cmp_eq_u32_e32 vcc_lo, 3, v0
	v_dual_cndmask_b32 v30, v30, v9 :: v_dual_cndmask_b32 v31, v31, v8
	v_cmp_eq_u32_e32 vcc_lo, 4, v0
	s_delay_alu instid0(VALU_DEP_2) | instskip(SKIP_1) | instid1(VALU_DEP_2)
	v_dual_cndmask_b32 v30, v30, v11 :: v_dual_cndmask_b32 v31, v31, v10
	;; [unrolled: 5-line block ×4, first 2 shown]
	v_cmp_eq_u32_e32 vcc_lo, 9, v0
	v_dual_cndmask_b32 v30, v30, v21 :: v_dual_cndmask_b32 v31, v31, v20
	v_cmp_eq_u32_e32 vcc_lo, 10, v0
	s_delay_alu instid0(VALU_DEP_2) | instskip(SKIP_4) | instid1(VALU_DEP_2)
	v_dual_cndmask_b32 v32, v30, v23 :: v_dual_cndmask_b32 v33, v31, v22
	v_cmp_eq_u32_e32 vcc_lo, 11, v0
	ds_load_b64 v[30:31], v96
	v_dual_cndmask_b32 v32, v32, v25 :: v_dual_cndmask_b32 v33, v33, v24
	v_cmp_eq_u32_e32 vcc_lo, 12, v0
	v_dual_cndmask_b32 v32, v32, v27 :: v_dual_cndmask_b32 v35, v33, v26
	v_cmp_eq_u32_e32 vcc_lo, 13, v0
	s_delay_alu instid0(VALU_DEP_2) | instskip(SKIP_1) | instid1(VALU_DEP_1)
	v_dual_cndmask_b32 v33, v32, v29 :: v_dual_cndmask_b32 v32, v35, v28
	s_waitcnt lgkmcnt(0)
	v_mul_f64 v[30:31], v[32:33], v[30:31]
	s_cbranch_execz .LBB13_296
	s_branch .LBB13_297
.LBB13_295:
                                        ; implicit-def: $vgpr30_vgpr31
.LBB13_296:
	ds_load_b64 v[30:31], v96
.LBB13_297:
	s_mov_b32 s2, exec_lo
	v_cmpx_ne_u32_e32 9, v0
	s_cbranch_execz .LBB13_301
; %bb.298:
	v_lshl_add_u32 v35, v0, 3, 0x78
	v_dual_mov_b32 v33, v1 :: v_dual_mov_b32 v32, v0
	s_mov_b32 s3, 0
.LBB13_299:                             ; =>This Inner Loop Header: Depth=1
	s_delay_alu instid0(VALU_DEP_1) | instskip(NEXT) | instid1(VALU_DEP_2)
	v_add_co_u32 v32, vcc_lo, v32, 1
	v_add_co_ci_u32_e32 v33, vcc_lo, 0, v33, vcc_lo
	s_delay_alu instid0(VALU_DEP_2) | instskip(SKIP_3) | instid1(VALU_DEP_2)
	v_cmp_eq_u32_e32 vcc_lo, 1, v32
	v_cmp_eq_u32_e64 s0, 2, v32
	v_dual_cndmask_b32 v36, v3, v5 :: v_dual_cndmask_b32 v37, v2, v4
	v_cmp_eq_u32_e32 vcc_lo, 3, v32
	v_cndmask_b32_e64 v36, v36, v7, s0
	s_delay_alu instid0(VALU_DEP_3) | instskip(SKIP_1) | instid1(VALU_DEP_2)
	v_cndmask_b32_e64 v37, v37, v6, s0
	v_cmp_eq_u32_e64 s0, 4, v32
	v_dual_cndmask_b32 v36, v36, v9 :: v_dual_cndmask_b32 v37, v37, v8
	v_cmp_eq_u32_e32 vcc_lo, 5, v32
	s_delay_alu instid0(VALU_DEP_2) | instskip(NEXT) | instid1(VALU_DEP_3)
	v_cndmask_b32_e64 v36, v36, v11, s0
	v_cndmask_b32_e64 v37, v37, v10, s0
	v_cmp_eq_u32_e64 s0, 6, v32
	s_delay_alu instid0(VALU_DEP_2) | instskip(SKIP_1) | instid1(VALU_DEP_2)
	v_dual_cndmask_b32 v36, v36, v13 :: v_dual_cndmask_b32 v37, v37, v12
	v_cmp_eq_u32_e32 vcc_lo, 7, v32
	v_cndmask_b32_e64 v36, v36, v15, s0
	s_delay_alu instid0(VALU_DEP_3) | instskip(SKIP_1) | instid1(VALU_DEP_2)
	v_cndmask_b32_e64 v37, v37, v14, s0
	v_cmp_eq_u32_e64 s0, 8, v32
	v_dual_cndmask_b32 v36, v36, v17 :: v_dual_cndmask_b32 v37, v37, v16
	v_cmp_eq_u32_e32 vcc_lo, 9, v32
	s_delay_alu instid0(VALU_DEP_2) | instskip(NEXT) | instid1(VALU_DEP_3)
	v_cndmask_b32_e64 v36, v36, v19, s0
	v_cndmask_b32_e64 v37, v37, v18, s0
	v_cmp_eq_u32_e64 s0, 10, v32
	s_delay_alu instid0(VALU_DEP_2)
	v_dual_cndmask_b32 v38, v36, v21 :: v_dual_cndmask_b32 v39, v37, v20
	ds_load_b64 v[36:37], v35
	v_cmp_eq_u32_e32 vcc_lo, 11, v32
	v_add_nc_u32_e32 v35, 8, v35
	v_cndmask_b32_e64 v38, v38, v23, s0
	v_cndmask_b32_e64 v39, v39, v22, s0
	v_cmp_eq_u32_e64 s0, 12, v32
	s_delay_alu instid0(VALU_DEP_2) | instskip(SKIP_1) | instid1(VALU_DEP_2)
	v_dual_cndmask_b32 v38, v38, v25 :: v_dual_cndmask_b32 v39, v39, v24
	v_cmp_eq_u32_e32 vcc_lo, 13, v32
	v_cndmask_b32_e64 v38, v38, v27, s0
	s_delay_alu instid0(VALU_DEP_3) | instskip(NEXT) | instid1(VALU_DEP_1)
	v_cndmask_b32_e64 v40, v39, v26, s0
	v_dual_cndmask_b32 v39, v38, v29 :: v_dual_cndmask_b32 v38, v40, v28
	v_cmp_lt_u32_e32 vcc_lo, 8, v32
	s_waitcnt lgkmcnt(0)
	s_delay_alu instid0(VALU_DEP_2) | instskip(SKIP_1) | instid1(SALU_CYCLE_1)
	v_fma_f64 v[30:31], v[38:39], v[36:37], v[30:31]
	s_or_b32 s3, vcc_lo, s3
	s_and_not1_b32 exec_lo, exec_lo, s3
	s_cbranch_execnz .LBB13_299
; %bb.300:
	s_or_b32 exec_lo, exec_lo, s3
.LBB13_301:
	s_delay_alu instid0(SALU_CYCLE_1)
	s_or_b32 exec_lo, exec_lo, s2
	v_mov_b32_e32 v22, 0
	ds_load_b64 v[22:23], v22 offset:80
	s_waitcnt lgkmcnt(0)
	v_mul_f64 v[22:23], v[30:31], v[22:23]
.LBB13_302:
	s_or_b32 exec_lo, exec_lo, s1
	s_delay_alu instid0(SALU_CYCLE_1)
	s_mov_b32 s1, exec_lo
	ds_store_b64 v96, v[24:25]
	s_waitcnt lgkmcnt(0)
	s_barrier
	buffer_gl0_inv
	v_cmpx_gt_u32_e32 11, v0
	s_cbranch_execz .LBB13_312
; %bb.303:
	v_cmp_ne_u32_e32 vcc_lo, 1, v34
	s_cbranch_vccnz .LBB13_305
; %bb.304:
	v_cmp_eq_u32_e32 vcc_lo, 1, v0
	v_dual_cndmask_b32 v30, v3, v5 :: v_dual_cndmask_b32 v31, v2, v4
	v_cmp_eq_u32_e32 vcc_lo, 2, v0
	s_delay_alu instid0(VALU_DEP_2) | instskip(SKIP_1) | instid1(VALU_DEP_2)
	v_dual_cndmask_b32 v30, v30, v7 :: v_dual_cndmask_b32 v31, v31, v6
	v_cmp_eq_u32_e32 vcc_lo, 3, v0
	v_dual_cndmask_b32 v30, v30, v9 :: v_dual_cndmask_b32 v31, v31, v8
	v_cmp_eq_u32_e32 vcc_lo, 4, v0
	s_delay_alu instid0(VALU_DEP_2) | instskip(SKIP_1) | instid1(VALU_DEP_2)
	v_dual_cndmask_b32 v30, v30, v11 :: v_dual_cndmask_b32 v31, v31, v10
	;; [unrolled: 5-line block ×4, first 2 shown]
	v_cmp_eq_u32_e32 vcc_lo, 9, v0
	v_dual_cndmask_b32 v30, v30, v21 :: v_dual_cndmask_b32 v31, v31, v20
	v_cmp_eq_u32_e32 vcc_lo, 10, v0
	s_delay_alu instid0(VALU_DEP_2) | instskip(SKIP_4) | instid1(VALU_DEP_2)
	v_dual_cndmask_b32 v32, v30, v23 :: v_dual_cndmask_b32 v33, v31, v22
	v_cmp_eq_u32_e32 vcc_lo, 11, v0
	ds_load_b64 v[30:31], v96
	v_dual_cndmask_b32 v32, v32, v25 :: v_dual_cndmask_b32 v33, v33, v24
	v_cmp_eq_u32_e32 vcc_lo, 12, v0
	v_dual_cndmask_b32 v32, v32, v27 :: v_dual_cndmask_b32 v35, v33, v26
	v_cmp_eq_u32_e32 vcc_lo, 13, v0
	s_delay_alu instid0(VALU_DEP_2) | instskip(SKIP_1) | instid1(VALU_DEP_1)
	v_dual_cndmask_b32 v33, v32, v29 :: v_dual_cndmask_b32 v32, v35, v28
	s_waitcnt lgkmcnt(0)
	v_mul_f64 v[30:31], v[32:33], v[30:31]
	s_cbranch_execz .LBB13_306
	s_branch .LBB13_307
.LBB13_305:
                                        ; implicit-def: $vgpr30_vgpr31
.LBB13_306:
	ds_load_b64 v[30:31], v96
.LBB13_307:
	s_mov_b32 s2, exec_lo
	v_cmpx_ne_u32_e32 10, v0
	s_cbranch_execz .LBB13_311
; %bb.308:
	v_lshl_add_u32 v35, v0, 3, 0x78
	v_dual_mov_b32 v33, v1 :: v_dual_mov_b32 v32, v0
	s_mov_b32 s3, 0
.LBB13_309:                             ; =>This Inner Loop Header: Depth=1
	s_delay_alu instid0(VALU_DEP_1) | instskip(NEXT) | instid1(VALU_DEP_2)
	v_add_co_u32 v32, vcc_lo, v32, 1
	v_add_co_ci_u32_e32 v33, vcc_lo, 0, v33, vcc_lo
	s_delay_alu instid0(VALU_DEP_2) | instskip(SKIP_3) | instid1(VALU_DEP_2)
	v_cmp_eq_u32_e32 vcc_lo, 1, v32
	v_cmp_eq_u32_e64 s0, 2, v32
	v_dual_cndmask_b32 v36, v3, v5 :: v_dual_cndmask_b32 v37, v2, v4
	v_cmp_eq_u32_e32 vcc_lo, 3, v32
	v_cndmask_b32_e64 v36, v36, v7, s0
	s_delay_alu instid0(VALU_DEP_3) | instskip(SKIP_1) | instid1(VALU_DEP_2)
	v_cndmask_b32_e64 v37, v37, v6, s0
	v_cmp_eq_u32_e64 s0, 4, v32
	v_dual_cndmask_b32 v36, v36, v9 :: v_dual_cndmask_b32 v37, v37, v8
	v_cmp_eq_u32_e32 vcc_lo, 5, v32
	s_delay_alu instid0(VALU_DEP_2) | instskip(NEXT) | instid1(VALU_DEP_3)
	v_cndmask_b32_e64 v36, v36, v11, s0
	v_cndmask_b32_e64 v37, v37, v10, s0
	v_cmp_eq_u32_e64 s0, 6, v32
	s_delay_alu instid0(VALU_DEP_2) | instskip(SKIP_1) | instid1(VALU_DEP_2)
	v_dual_cndmask_b32 v36, v36, v13 :: v_dual_cndmask_b32 v37, v37, v12
	v_cmp_eq_u32_e32 vcc_lo, 7, v32
	v_cndmask_b32_e64 v36, v36, v15, s0
	s_delay_alu instid0(VALU_DEP_3) | instskip(SKIP_1) | instid1(VALU_DEP_2)
	v_cndmask_b32_e64 v37, v37, v14, s0
	v_cmp_eq_u32_e64 s0, 8, v32
	v_dual_cndmask_b32 v36, v36, v17 :: v_dual_cndmask_b32 v37, v37, v16
	v_cmp_eq_u32_e32 vcc_lo, 9, v32
	s_delay_alu instid0(VALU_DEP_2) | instskip(NEXT) | instid1(VALU_DEP_3)
	v_cndmask_b32_e64 v36, v36, v19, s0
	v_cndmask_b32_e64 v37, v37, v18, s0
	v_cmp_eq_u32_e64 s0, 10, v32
	s_delay_alu instid0(VALU_DEP_2)
	v_dual_cndmask_b32 v38, v36, v21 :: v_dual_cndmask_b32 v39, v37, v20
	ds_load_b64 v[36:37], v35
	v_cmp_eq_u32_e32 vcc_lo, 11, v32
	v_add_nc_u32_e32 v35, 8, v35
	v_cndmask_b32_e64 v38, v38, v23, s0
	v_cndmask_b32_e64 v39, v39, v22, s0
	v_cmp_eq_u32_e64 s0, 12, v32
	s_delay_alu instid0(VALU_DEP_2) | instskip(SKIP_1) | instid1(VALU_DEP_2)
	v_dual_cndmask_b32 v38, v38, v25 :: v_dual_cndmask_b32 v39, v39, v24
	v_cmp_eq_u32_e32 vcc_lo, 13, v32
	v_cndmask_b32_e64 v38, v38, v27, s0
	s_delay_alu instid0(VALU_DEP_3) | instskip(NEXT) | instid1(VALU_DEP_1)
	v_cndmask_b32_e64 v40, v39, v26, s0
	v_dual_cndmask_b32 v39, v38, v29 :: v_dual_cndmask_b32 v38, v40, v28
	v_cmp_lt_u32_e32 vcc_lo, 9, v32
	s_waitcnt lgkmcnt(0)
	s_delay_alu instid0(VALU_DEP_2) | instskip(SKIP_1) | instid1(SALU_CYCLE_1)
	v_fma_f64 v[30:31], v[38:39], v[36:37], v[30:31]
	s_or_b32 s3, vcc_lo, s3
	s_and_not1_b32 exec_lo, exec_lo, s3
	s_cbranch_execnz .LBB13_309
; %bb.310:
	s_or_b32 exec_lo, exec_lo, s3
.LBB13_311:
	s_delay_alu instid0(SALU_CYCLE_1)
	s_or_b32 exec_lo, exec_lo, s2
	v_mov_b32_e32 v24, 0
	ds_load_b64 v[24:25], v24 offset:88
	s_waitcnt lgkmcnt(0)
	v_mul_f64 v[24:25], v[30:31], v[24:25]
.LBB13_312:
	s_or_b32 exec_lo, exec_lo, s1
	v_cmp_gt_u32_e64 s0, 12, v0
	ds_store_b64 v96, v[26:27]
	s_waitcnt lgkmcnt(0)
	s_barrier
	buffer_gl0_inv
	s_and_saveexec_b32 s2, s0
	s_cbranch_execz .LBB13_322
; %bb.313:
	v_cmp_ne_u32_e32 vcc_lo, 1, v34
	s_cbranch_vccnz .LBB13_315
; %bb.314:
	v_cmp_eq_u32_e32 vcc_lo, 1, v0
	v_dual_cndmask_b32 v30, v3, v5 :: v_dual_cndmask_b32 v31, v2, v4
	v_cmp_eq_u32_e32 vcc_lo, 2, v0
	s_delay_alu instid0(VALU_DEP_2) | instskip(SKIP_1) | instid1(VALU_DEP_2)
	v_dual_cndmask_b32 v30, v30, v7 :: v_dual_cndmask_b32 v31, v31, v6
	v_cmp_eq_u32_e32 vcc_lo, 3, v0
	v_dual_cndmask_b32 v30, v30, v9 :: v_dual_cndmask_b32 v31, v31, v8
	v_cmp_eq_u32_e32 vcc_lo, 4, v0
	s_delay_alu instid0(VALU_DEP_2) | instskip(SKIP_1) | instid1(VALU_DEP_2)
	v_dual_cndmask_b32 v30, v30, v11 :: v_dual_cndmask_b32 v31, v31, v10
	;; [unrolled: 5-line block ×4, first 2 shown]
	v_cmp_eq_u32_e32 vcc_lo, 9, v0
	v_dual_cndmask_b32 v30, v30, v21 :: v_dual_cndmask_b32 v31, v31, v20
	v_cmp_eq_u32_e32 vcc_lo, 10, v0
	s_delay_alu instid0(VALU_DEP_2) | instskip(SKIP_4) | instid1(VALU_DEP_2)
	v_dual_cndmask_b32 v32, v30, v23 :: v_dual_cndmask_b32 v33, v31, v22
	v_cmp_eq_u32_e32 vcc_lo, 11, v0
	ds_load_b64 v[30:31], v96
	v_dual_cndmask_b32 v32, v32, v25 :: v_dual_cndmask_b32 v33, v33, v24
	v_cmp_eq_u32_e32 vcc_lo, 12, v0
	v_dual_cndmask_b32 v32, v32, v27 :: v_dual_cndmask_b32 v35, v33, v26
	v_cmp_eq_u32_e32 vcc_lo, 13, v0
	s_delay_alu instid0(VALU_DEP_2) | instskip(SKIP_1) | instid1(VALU_DEP_1)
	v_dual_cndmask_b32 v33, v32, v29 :: v_dual_cndmask_b32 v32, v35, v28
	s_waitcnt lgkmcnt(0)
	v_mul_f64 v[30:31], v[32:33], v[30:31]
	s_cbranch_execz .LBB13_316
	s_branch .LBB13_317
.LBB13_315:
                                        ; implicit-def: $vgpr30_vgpr31
.LBB13_316:
	ds_load_b64 v[30:31], v96
.LBB13_317:
	s_mov_b32 s3, exec_lo
	v_cmpx_ne_u32_e32 11, v0
	s_cbranch_execz .LBB13_321
; %bb.318:
	v_lshl_add_u32 v35, v0, 3, 0x78
	v_dual_mov_b32 v33, v1 :: v_dual_mov_b32 v32, v0
	s_mov_b32 s4, 0
.LBB13_319:                             ; =>This Inner Loop Header: Depth=1
	s_delay_alu instid0(VALU_DEP_1) | instskip(NEXT) | instid1(VALU_DEP_2)
	v_add_co_u32 v32, vcc_lo, v32, 1
	v_add_co_ci_u32_e32 v33, vcc_lo, 0, v33, vcc_lo
	s_delay_alu instid0(VALU_DEP_2) | instskip(SKIP_3) | instid1(VALU_DEP_2)
	v_cmp_eq_u32_e32 vcc_lo, 1, v32
	v_cmp_eq_u32_e64 s1, 2, v32
	v_dual_cndmask_b32 v36, v3, v5 :: v_dual_cndmask_b32 v37, v2, v4
	v_cmp_eq_u32_e32 vcc_lo, 3, v32
	v_cndmask_b32_e64 v36, v36, v7, s1
	s_delay_alu instid0(VALU_DEP_3) | instskip(SKIP_1) | instid1(VALU_DEP_2)
	v_cndmask_b32_e64 v37, v37, v6, s1
	v_cmp_eq_u32_e64 s1, 4, v32
	v_dual_cndmask_b32 v36, v36, v9 :: v_dual_cndmask_b32 v37, v37, v8
	v_cmp_eq_u32_e32 vcc_lo, 5, v32
	s_delay_alu instid0(VALU_DEP_2) | instskip(NEXT) | instid1(VALU_DEP_3)
	v_cndmask_b32_e64 v36, v36, v11, s1
	v_cndmask_b32_e64 v37, v37, v10, s1
	v_cmp_eq_u32_e64 s1, 6, v32
	s_delay_alu instid0(VALU_DEP_2) | instskip(SKIP_1) | instid1(VALU_DEP_2)
	v_dual_cndmask_b32 v36, v36, v13 :: v_dual_cndmask_b32 v37, v37, v12
	v_cmp_eq_u32_e32 vcc_lo, 7, v32
	v_cndmask_b32_e64 v36, v36, v15, s1
	s_delay_alu instid0(VALU_DEP_3) | instskip(SKIP_1) | instid1(VALU_DEP_2)
	v_cndmask_b32_e64 v37, v37, v14, s1
	v_cmp_eq_u32_e64 s1, 8, v32
	v_dual_cndmask_b32 v36, v36, v17 :: v_dual_cndmask_b32 v37, v37, v16
	v_cmp_eq_u32_e32 vcc_lo, 9, v32
	s_delay_alu instid0(VALU_DEP_2) | instskip(NEXT) | instid1(VALU_DEP_3)
	v_cndmask_b32_e64 v36, v36, v19, s1
	v_cndmask_b32_e64 v37, v37, v18, s1
	v_cmp_eq_u32_e64 s1, 10, v32
	s_delay_alu instid0(VALU_DEP_2)
	v_dual_cndmask_b32 v38, v36, v21 :: v_dual_cndmask_b32 v39, v37, v20
	ds_load_b64 v[36:37], v35
	v_cmp_eq_u32_e32 vcc_lo, 11, v32
	v_add_nc_u32_e32 v35, 8, v35
	v_cndmask_b32_e64 v38, v38, v23, s1
	v_cndmask_b32_e64 v39, v39, v22, s1
	v_cmp_eq_u32_e64 s1, 12, v32
	s_delay_alu instid0(VALU_DEP_2) | instskip(SKIP_1) | instid1(VALU_DEP_2)
	v_dual_cndmask_b32 v38, v38, v25 :: v_dual_cndmask_b32 v39, v39, v24
	v_cmp_eq_u32_e32 vcc_lo, 13, v32
	v_cndmask_b32_e64 v38, v38, v27, s1
	s_delay_alu instid0(VALU_DEP_3) | instskip(NEXT) | instid1(VALU_DEP_1)
	v_cndmask_b32_e64 v40, v39, v26, s1
	v_dual_cndmask_b32 v39, v38, v29 :: v_dual_cndmask_b32 v38, v40, v28
	v_cmp_lt_u32_e32 vcc_lo, 10, v32
	s_waitcnt lgkmcnt(0)
	s_delay_alu instid0(VALU_DEP_2) | instskip(SKIP_1) | instid1(SALU_CYCLE_1)
	v_fma_f64 v[30:31], v[38:39], v[36:37], v[30:31]
	s_or_b32 s4, vcc_lo, s4
	s_and_not1_b32 exec_lo, exec_lo, s4
	s_cbranch_execnz .LBB13_319
; %bb.320:
	s_or_b32 exec_lo, exec_lo, s4
.LBB13_321:
	s_delay_alu instid0(SALU_CYCLE_1)
	s_or_b32 exec_lo, exec_lo, s3
	v_mov_b32_e32 v26, 0
	ds_load_b64 v[26:27], v26 offset:96
	s_waitcnt lgkmcnt(0)
	v_mul_f64 v[26:27], v[30:31], v[26:27]
.LBB13_322:
	s_or_b32 exec_lo, exec_lo, s2
	s_delay_alu instid0(SALU_CYCLE_1)
	s_mov_b32 s1, exec_lo
	ds_store_b64 v96, v[28:29]
	s_waitcnt lgkmcnt(0)
	s_barrier
	buffer_gl0_inv
	v_cmpx_ne_u32_e32 13, v0
	s_cbranch_execz .LBB13_332
; %bb.323:
	v_cmp_ne_u32_e32 vcc_lo, 1, v34
	s_cbranch_vccnz .LBB13_325
; %bb.324:
	v_cmp_eq_u32_e32 vcc_lo, 1, v0
	v_dual_cndmask_b32 v30, v3, v5 :: v_dual_cndmask_b32 v31, v2, v4
	v_cmp_eq_u32_e32 vcc_lo, 2, v0
	s_delay_alu instid0(VALU_DEP_2) | instskip(SKIP_1) | instid1(VALU_DEP_2)
	v_dual_cndmask_b32 v30, v30, v7 :: v_dual_cndmask_b32 v31, v31, v6
	v_cmp_eq_u32_e32 vcc_lo, 3, v0
	v_dual_cndmask_b32 v30, v30, v9 :: v_dual_cndmask_b32 v31, v31, v8
	v_cmp_eq_u32_e32 vcc_lo, 4, v0
	s_delay_alu instid0(VALU_DEP_2) | instskip(SKIP_1) | instid1(VALU_DEP_2)
	v_dual_cndmask_b32 v30, v30, v11 :: v_dual_cndmask_b32 v31, v31, v10
	;; [unrolled: 5-line block ×4, first 2 shown]
	v_cmp_eq_u32_e32 vcc_lo, 9, v0
	v_dual_cndmask_b32 v30, v30, v21 :: v_dual_cndmask_b32 v31, v31, v20
	v_cmp_eq_u32_e32 vcc_lo, 10, v0
	s_delay_alu instid0(VALU_DEP_2) | instskip(SKIP_4) | instid1(VALU_DEP_2)
	v_dual_cndmask_b32 v32, v30, v23 :: v_dual_cndmask_b32 v33, v31, v22
	v_cmp_eq_u32_e32 vcc_lo, 11, v0
	ds_load_b64 v[30:31], v96
	v_dual_cndmask_b32 v32, v32, v25 :: v_dual_cndmask_b32 v33, v33, v24
	v_cmp_eq_u32_e32 vcc_lo, 12, v0
	v_cndmask_b32_e32 v32, v32, v27, vcc_lo
	s_delay_alu instid0(VALU_DEP_3) | instskip(SKIP_1) | instid1(VALU_DEP_2)
	v_cndmask_b32_e32 v34, v33, v26, vcc_lo
	v_cmp_eq_u32_e32 vcc_lo, 13, v0
	v_dual_cndmask_b32 v33, v32, v29 :: v_dual_cndmask_b32 v32, v34, v28
	s_waitcnt lgkmcnt(0)
	s_delay_alu instid0(VALU_DEP_1)
	v_mul_f64 v[30:31], v[32:33], v[30:31]
	s_cbranch_execz .LBB13_326
	s_branch .LBB13_327
.LBB13_325:
                                        ; implicit-def: $vgpr30_vgpr31
.LBB13_326:
	ds_load_b64 v[30:31], v96
.LBB13_327:
	s_and_saveexec_b32 s2, s0
	s_cbranch_execz .LBB13_331
; %bb.328:
	v_lshl_add_u32 v32, v0, 3, 0x78
	s_mov_b32 s3, 0
.LBB13_329:                             ; =>This Inner Loop Header: Depth=1
	v_add_co_u32 v0, vcc_lo, v0, 1
	v_add_co_ci_u32_e32 v1, vcc_lo, 0, v1, vcc_lo
	s_delay_alu instid0(VALU_DEP_2) | instskip(SKIP_3) | instid1(VALU_DEP_2)
	v_cmp_eq_u32_e32 vcc_lo, 1, v0
	v_cmp_eq_u32_e64 s0, 2, v0
	v_dual_cndmask_b32 v33, v3, v5 :: v_dual_cndmask_b32 v34, v2, v4
	v_cmp_eq_u32_e32 vcc_lo, 3, v0
	v_cndmask_b32_e64 v33, v33, v7, s0
	s_delay_alu instid0(VALU_DEP_3) | instskip(SKIP_1) | instid1(VALU_DEP_2)
	v_cndmask_b32_e64 v34, v34, v6, s0
	v_cmp_eq_u32_e64 s0, 4, v0
	v_dual_cndmask_b32 v33, v33, v9 :: v_dual_cndmask_b32 v34, v34, v8
	v_cmp_eq_u32_e32 vcc_lo, 5, v0
	s_delay_alu instid0(VALU_DEP_2) | instskip(NEXT) | instid1(VALU_DEP_3)
	v_cndmask_b32_e64 v33, v33, v11, s0
	v_cndmask_b32_e64 v34, v34, v10, s0
	v_cmp_eq_u32_e64 s0, 6, v0
	s_delay_alu instid0(VALU_DEP_2) | instskip(SKIP_1) | instid1(VALU_DEP_2)
	v_dual_cndmask_b32 v33, v33, v13 :: v_dual_cndmask_b32 v34, v34, v12
	v_cmp_eq_u32_e32 vcc_lo, 7, v0
	v_cndmask_b32_e64 v33, v33, v15, s0
	s_delay_alu instid0(VALU_DEP_3) | instskip(SKIP_1) | instid1(VALU_DEP_2)
	v_cndmask_b32_e64 v34, v34, v14, s0
	v_cmp_eq_u32_e64 s0, 8, v0
	v_dual_cndmask_b32 v33, v33, v17 :: v_dual_cndmask_b32 v34, v34, v16
	v_cmp_eq_u32_e32 vcc_lo, 9, v0
	s_delay_alu instid0(VALU_DEP_2) | instskip(NEXT) | instid1(VALU_DEP_3)
	v_cndmask_b32_e64 v33, v33, v19, s0
	v_cndmask_b32_e64 v34, v34, v18, s0
	v_cmp_eq_u32_e64 s0, 10, v0
	s_delay_alu instid0(VALU_DEP_2)
	v_dual_cndmask_b32 v35, v33, v21 :: v_dual_cndmask_b32 v36, v34, v20
	ds_load_b64 v[33:34], v32
	v_cmp_eq_u32_e32 vcc_lo, 11, v0
	v_add_nc_u32_e32 v32, 8, v32
	v_cndmask_b32_e64 v35, v35, v23, s0
	v_cndmask_b32_e64 v36, v36, v22, s0
	v_cmp_eq_u32_e64 s0, 12, v0
	s_delay_alu instid0(VALU_DEP_2) | instskip(SKIP_1) | instid1(VALU_DEP_2)
	v_dual_cndmask_b32 v35, v35, v25 :: v_dual_cndmask_b32 v36, v36, v24
	v_cmp_eq_u32_e32 vcc_lo, 13, v0
	v_cndmask_b32_e64 v35, v35, v27, s0
	s_delay_alu instid0(VALU_DEP_3) | instskip(NEXT) | instid1(VALU_DEP_1)
	v_cndmask_b32_e64 v37, v36, v26, s0
	v_dual_cndmask_b32 v36, v35, v29 :: v_dual_cndmask_b32 v35, v37, v28
	v_cmp_lt_u32_e32 vcc_lo, 11, v0
	s_waitcnt lgkmcnt(0)
	s_delay_alu instid0(VALU_DEP_2) | instskip(SKIP_1) | instid1(SALU_CYCLE_1)
	v_fma_f64 v[30:31], v[35:36], v[33:34], v[30:31]
	s_or_b32 s3, vcc_lo, s3
	s_and_not1_b32 exec_lo, exec_lo, s3
	s_cbranch_execnz .LBB13_329
; %bb.330:
	s_or_b32 exec_lo, exec_lo, s3
.LBB13_331:
	s_delay_alu instid0(SALU_CYCLE_1)
	s_or_b32 exec_lo, exec_lo, s2
	v_mov_b32_e32 v0, 0
	ds_load_b64 v[0:1], v0 offset:104
	s_waitcnt lgkmcnt(0)
	v_mul_f64 v[28:29], v[30:31], v[0:1]
.LBB13_332:
	s_or_b32 exec_lo, exec_lo, s1
	v_dual_mov_b32 v65, v33 :: v_dual_mov_b32 v64, v32
	v_dual_mov_b32 v63, v31 :: v_dual_mov_b32 v62, v30
	s_delay_alu instid0(VALU_DEP_3)
	v_dual_mov_b32 v61, v29 :: v_dual_mov_b32 v60, v28
	v_dual_mov_b32 v59, v27 :: v_dual_mov_b32 v58, v26
	v_dual_mov_b32 v57, v25 :: v_dual_mov_b32 v56, v24
	v_dual_mov_b32 v55, v23 :: v_dual_mov_b32 v54, v22
	v_dual_mov_b32 v53, v21 :: v_dual_mov_b32 v52, v20
	v_dual_mov_b32 v51, v19 :: v_dual_mov_b32 v50, v18
	v_dual_mov_b32 v49, v17 :: v_dual_mov_b32 v48, v16
	v_dual_mov_b32 v47, v15 :: v_dual_mov_b32 v46, v14
	v_dual_mov_b32 v45, v13 :: v_dual_mov_b32 v44, v12
	v_dual_mov_b32 v43, v11 :: v_dual_mov_b32 v42, v10
	v_dual_mov_b32 v41, v9 :: v_dual_mov_b32 v40, v8
	v_dual_mov_b32 v39, v7 :: v_dual_mov_b32 v38, v6
	v_dual_mov_b32 v37, v5 :: v_dual_mov_b32 v36, v4
	v_dual_mov_b32 v35, v3 :: v_dual_mov_b32 v34, v2
.LBB13_333:
	s_clause 0xd
	global_store_b64 v[68:69], v[34:35], off
	global_store_b64 v[70:71], v[36:37], off
	;; [unrolled: 1-line block ×14, first 2 shown]
.LBB13_334:
	s_nop 0
	s_sendmsg sendmsg(MSG_DEALLOC_VGPRS)
	s_endpgm
	.section	.rodata,"a",@progbits
	.p2align	6, 0x0
	.amdhsa_kernel _ZN9rocsolver6v33100L18trti2_kernel_smallILi14EdPdEEv13rocblas_fill_17rocblas_diagonal_T1_iil
		.amdhsa_group_segment_fixed_size 224
		.amdhsa_private_segment_fixed_size 0
		.amdhsa_kernarg_size 32
		.amdhsa_user_sgpr_count 15
		.amdhsa_user_sgpr_dispatch_ptr 0
		.amdhsa_user_sgpr_queue_ptr 0
		.amdhsa_user_sgpr_kernarg_segment_ptr 1
		.amdhsa_user_sgpr_dispatch_id 0
		.amdhsa_user_sgpr_private_segment_size 0
		.amdhsa_wavefront_size32 1
		.amdhsa_uses_dynamic_stack 0
		.amdhsa_enable_private_segment 0
		.amdhsa_system_sgpr_workgroup_id_x 1
		.amdhsa_system_sgpr_workgroup_id_y 0
		.amdhsa_system_sgpr_workgroup_id_z 0
		.amdhsa_system_sgpr_workgroup_info 0
		.amdhsa_system_vgpr_workitem_id 0
		.amdhsa_next_free_vgpr 110
		.amdhsa_next_free_sgpr 24
		.amdhsa_reserve_vcc 1
		.amdhsa_float_round_mode_32 0
		.amdhsa_float_round_mode_16_64 0
		.amdhsa_float_denorm_mode_32 3
		.amdhsa_float_denorm_mode_16_64 3
		.amdhsa_dx10_clamp 1
		.amdhsa_ieee_mode 1
		.amdhsa_fp16_overflow 0
		.amdhsa_workgroup_processor_mode 1
		.amdhsa_memory_ordered 1
		.amdhsa_forward_progress 0
		.amdhsa_shared_vgpr_count 0
		.amdhsa_exception_fp_ieee_invalid_op 0
		.amdhsa_exception_fp_denorm_src 0
		.amdhsa_exception_fp_ieee_div_zero 0
		.amdhsa_exception_fp_ieee_overflow 0
		.amdhsa_exception_fp_ieee_underflow 0
		.amdhsa_exception_fp_ieee_inexact 0
		.amdhsa_exception_int_div_zero 0
	.end_amdhsa_kernel
	.section	.text._ZN9rocsolver6v33100L18trti2_kernel_smallILi14EdPdEEv13rocblas_fill_17rocblas_diagonal_T1_iil,"axG",@progbits,_ZN9rocsolver6v33100L18trti2_kernel_smallILi14EdPdEEv13rocblas_fill_17rocblas_diagonal_T1_iil,comdat
.Lfunc_end13:
	.size	_ZN9rocsolver6v33100L18trti2_kernel_smallILi14EdPdEEv13rocblas_fill_17rocblas_diagonal_T1_iil, .Lfunc_end13-_ZN9rocsolver6v33100L18trti2_kernel_smallILi14EdPdEEv13rocblas_fill_17rocblas_diagonal_T1_iil
                                        ; -- End function
	.section	.AMDGPU.csdata,"",@progbits
; Kernel info:
; codeLenInByte = 23612
; NumSgprs: 26
; NumVgprs: 110
; ScratchSize: 0
; MemoryBound: 0
; FloatMode: 240
; IeeeMode: 1
; LDSByteSize: 224 bytes/workgroup (compile time only)
; SGPRBlocks: 3
; VGPRBlocks: 13
; NumSGPRsForWavesPerEU: 26
; NumVGPRsForWavesPerEU: 110
; Occupancy: 12
; WaveLimiterHint : 0
; COMPUTE_PGM_RSRC2:SCRATCH_EN: 0
; COMPUTE_PGM_RSRC2:USER_SGPR: 15
; COMPUTE_PGM_RSRC2:TRAP_HANDLER: 0
; COMPUTE_PGM_RSRC2:TGID_X_EN: 1
; COMPUTE_PGM_RSRC2:TGID_Y_EN: 0
; COMPUTE_PGM_RSRC2:TGID_Z_EN: 0
; COMPUTE_PGM_RSRC2:TIDIG_COMP_CNT: 0
	.section	.text._ZN9rocsolver6v33100L18trti2_kernel_smallILi15EdPdEEv13rocblas_fill_17rocblas_diagonal_T1_iil,"axG",@progbits,_ZN9rocsolver6v33100L18trti2_kernel_smallILi15EdPdEEv13rocblas_fill_17rocblas_diagonal_T1_iil,comdat
	.globl	_ZN9rocsolver6v33100L18trti2_kernel_smallILi15EdPdEEv13rocblas_fill_17rocblas_diagonal_T1_iil ; -- Begin function _ZN9rocsolver6v33100L18trti2_kernel_smallILi15EdPdEEv13rocblas_fill_17rocblas_diagonal_T1_iil
	.p2align	8
	.type	_ZN9rocsolver6v33100L18trti2_kernel_smallILi15EdPdEEv13rocblas_fill_17rocblas_diagonal_T1_iil,@function
_ZN9rocsolver6v33100L18trti2_kernel_smallILi15EdPdEEv13rocblas_fill_17rocblas_diagonal_T1_iil: ; @_ZN9rocsolver6v33100L18trti2_kernel_smallILi15EdPdEEv13rocblas_fill_17rocblas_diagonal_T1_iil
; %bb.0:
	s_mov_b32 s2, exec_lo
	v_cmpx_gt_u32_e32 15, v0
	s_cbranch_execz .LBB14_360
; %bb.1:
	s_load_b256 s[16:23], s[0:1], 0x0
	s_ashr_i32 s2, s15, 31
	v_lshlrev_b32_e32 v36, 3, v0
	v_mov_b32_e32 v34, 0
	v_mov_b32_e32 v35, 0xbff00000
	s_waitcnt lgkmcnt(0)
	v_add3_u32 v1, s21, s21, v0
	s_mul_i32 s3, s15, s23
	s_mul_hi_u32 s4, s15, s22
	s_mul_i32 s5, s2, s22
	s_add_i32 s3, s4, s3
	v_add_nc_u32_e32 v3, s21, v1
	v_ashrrev_i32_e32 v2, 31, v1
	s_mul_i32 s2, s15, s22
	s_add_i32 s3, s3, s5
	s_ashr_i32 s1, s20, 31
	v_add_nc_u32_e32 v5, s21, v3
	s_lshl_b64 s[2:3], s[2:3], 3
	s_mov_b32 s0, s20
	v_lshlrev_b64 v[1:2], 3, v[1:2]
	s_add_u32 s2, s18, s2
	s_addc_u32 s3, s19, s3
	s_lshl_b64 s[0:1], s[0:1], 3
	v_ashrrev_i32_e32 v6, 31, v5
	v_ashrrev_i32_e32 v4, 31, v3
	s_add_u32 s0, s2, s0
	s_addc_u32 s1, s3, s1
	v_add_co_u32 v66, vcc_lo, s0, v1
	v_add_co_u32 v68, s2, s0, v36
	s_mov_b32 s4, s21
	s_ashr_i32 s5, s21, 31
	v_add_co_ci_u32_e32 v67, vcc_lo, s1, v2, vcc_lo
	v_lshlrev_b64 v[1:2], 3, v[5:6]
	v_add_nc_u32_e32 v5, s21, v5
	v_add_co_ci_u32_e64 v69, null, s1, 0, s2
	v_lshlrev_b64 v[3:4], 3, v[3:4]
	s_lshl_b64 s[2:3], s[4:5], 3
	s_delay_alu instid0(VALU_DEP_3) | instskip(SKIP_2) | instid1(VALU_DEP_4)
	v_add_nc_u32_e32 v12, s21, v5
	v_add_co_u32 v70, vcc_lo, v68, s2
	v_add_co_ci_u32_e32 v71, vcc_lo, s3, v69, vcc_lo
	v_add_co_u32 v72, vcc_lo, s0, v3
	v_ashrrev_i32_e32 v6, 31, v5
	v_add_co_ci_u32_e32 v73, vcc_lo, s1, v4, vcc_lo
	v_add_co_u32 v74, vcc_lo, s0, v1
	v_add_nc_u32_e32 v14, s21, v12
	v_add_co_ci_u32_e32 v75, vcc_lo, s1, v2, vcc_lo
	v_lshlrev_b64 v[1:2], 3, v[5:6]
	v_ashrrev_i32_e32 v13, 31, v12
	s_delay_alu instid0(VALU_DEP_4)
	v_ashrrev_i32_e32 v15, 31, v14
	v_add_nc_u32_e32 v16, s21, v14
	s_clause 0x3
	global_load_b64 v[4:5], v[70:71], off
	global_load_b64 v[6:7], v[66:67], off
	global_load_b64 v[8:9], v[72:73], off
	global_load_b64 v[10:11], v[74:75], off
	s_cmpk_lg_i32 s17, 0x84
	v_lshlrev_b64 v[12:13], 3, v[12:13]
	v_add_co_u32 v78, vcc_lo, s0, v1
	v_add_co_ci_u32_e32 v79, vcc_lo, s1, v2, vcc_lo
	v_lshlrev_b64 v[1:2], 3, v[14:15]
	v_add_nc_u32_e32 v14, s21, v16
	v_add_co_u32 v76, vcc_lo, s0, v12
	v_ashrrev_i32_e32 v17, 31, v16
	v_add_co_ci_u32_e32 v77, vcc_lo, s1, v13, vcc_lo
	v_add_co_u32 v80, vcc_lo, s0, v1
	v_add_nc_u32_e32 v1, s21, v14
	v_ashrrev_i32_e32 v15, 31, v14
	v_lshlrev_b64 v[12:13], 3, v[16:17]
	v_add_co_ci_u32_e32 v81, vcc_lo, s1, v2, vcc_lo
	s_delay_alu instid0(VALU_DEP_4) | instskip(NEXT) | instid1(VALU_DEP_4)
	v_add_nc_u32_e32 v22, s21, v1
	v_lshlrev_b64 v[20:21], 3, v[14:15]
	v_ashrrev_i32_e32 v2, 31, v1
	v_add_co_u32 v82, vcc_lo, s0, v12
	s_delay_alu instid0(VALU_DEP_4)
	v_ashrrev_i32_e32 v23, 31, v22
	v_add_nc_u32_e32 v24, s21, v22
	v_add_co_ci_u32_e32 v83, vcc_lo, s1, v13, vcc_lo
	v_lshlrev_b64 v[1:2], 3, v[1:2]
	v_add_co_u32 v84, vcc_lo, s0, v20
	v_add_co_ci_u32_e32 v85, vcc_lo, s1, v21, vcc_lo
	v_lshlrev_b64 v[20:21], 3, v[22:23]
	v_ashrrev_i32_e32 v25, 31, v24
	v_add_nc_u32_e32 v22, s21, v24
	v_add_co_u32 v86, vcc_lo, s0, v1
	v_add_co_ci_u32_e32 v87, vcc_lo, s1, v2, vcc_lo
	s_delay_alu instid0(VALU_DEP_4) | instskip(NEXT) | instid1(VALU_DEP_4)
	v_lshlrev_b64 v[1:2], 3, v[24:25]
	v_add_nc_u32_e32 v24, s21, v22
	v_ashrrev_i32_e32 v23, 31, v22
	v_add_co_u32 v94, vcc_lo, s0, v20
	v_add_co_ci_u32_e32 v95, vcc_lo, s1, v21, vcc_lo
	s_delay_alu instid0(VALU_DEP_4) | instskip(NEXT) | instid1(VALU_DEP_4)
	v_ashrrev_i32_e32 v25, 31, v24
	v_lshlrev_b64 v[20:21], 3, v[22:23]
	v_add_co_u32 v90, vcc_lo, s0, v1
	v_add_co_ci_u32_e32 v91, vcc_lo, s1, v2, vcc_lo
	s_delay_alu instid0(VALU_DEP_4) | instskip(NEXT) | instid1(VALU_DEP_4)
	v_lshlrev_b64 v[1:2], 3, v[24:25]
	v_add_co_u32 v92, vcc_lo, s0, v20
	v_add_co_ci_u32_e32 v93, vcc_lo, s1, v21, vcc_lo
	s_clause 0x3
	global_load_b64 v[12:13], v[78:79], off
	global_load_b64 v[14:15], v[76:77], off
	;; [unrolled: 1-line block ×4, first 2 shown]
	v_add_co_u32 v88, vcc_lo, s0, v1
	v_add_co_ci_u32_e32 v89, vcc_lo, s1, v2, vcc_lo
	v_mov_b32_e32 v1, 0
	s_clause 0x6
	global_load_b64 v[20:21], v[84:85], off
	global_load_b64 v[22:23], v[86:87], off
	;; [unrolled: 1-line block ×5, first 2 shown]
	global_load_b64 v[2:3], v36, s[0:1]
	global_load_b64 v[30:31], v[88:89], off
	v_cmp_eq_u32_e64 s0, 0, v0
	s_cselect_b32 s15, -1, 0
	s_cmpk_eq_i32 s17, 0x84
	s_cbranch_scc1 .LBB14_3
; %bb.2:
	v_cmp_eq_u32_e64 s1, 1, v0
	v_cmp_eq_u32_e64 s2, 2, v0
	;; [unrolled: 1-line block ×5, first 2 shown]
	s_waitcnt vmcnt(1)
	v_cndmask_b32_e64 v32, v3, v5, s1
	v_cndmask_b32_e64 v33, v2, v4, s1
	v_cmp_eq_u32_e64 s6, 6, v0
	v_cmp_eq_u32_e64 s7, 7, v0
	v_cmp_eq_u32_e64 s8, 8, v0
	v_cndmask_b32_e64 v32, v32, v7, s2
	v_cndmask_b32_e64 v33, v33, v6, s2
	v_cmp_eq_u32_e64 s9, 9, v0
	v_cmp_eq_u32_e64 s10, 10, v0
	v_cmp_eq_u32_e64 s11, 11, v0
	;; [unrolled: 5-line block ×3, first 2 shown]
	v_cndmask_b32_e64 v32, v32, v11, s4
	v_cndmask_b32_e64 v33, v33, v10, s4
	s_delay_alu instid0(VALU_DEP_2) | instskip(NEXT) | instid1(VALU_DEP_2)
	v_cndmask_b32_e64 v32, v32, v13, s5
	v_cndmask_b32_e64 v33, v33, v12, s5
	s_delay_alu instid0(VALU_DEP_2) | instskip(NEXT) | instid1(VALU_DEP_2)
	;; [unrolled: 3-line block ×9, first 2 shown]
	v_cndmask_b32_e64 v32, v32, v29, s13
	v_cndmask_b32_e64 v34, v33, v28, s13
	s_waitcnt vmcnt(0)
	s_delay_alu instid0(VALU_DEP_2) | instskip(NEXT) | instid1(VALU_DEP_2)
	v_cndmask_b32_e64 v33, v32, v31, s14
	v_cndmask_b32_e64 v32, v34, v30, s14
	s_delay_alu instid0(VALU_DEP_1) | instskip(SKIP_1) | instid1(VALU_DEP_2)
	v_div_scale_f64 v[34:35], null, v[32:33], v[32:33], 1.0
	v_div_scale_f64 v[41:42], vcc_lo, 1.0, v[32:33], 1.0
	v_rcp_f64_e32 v[37:38], v[34:35]
	s_waitcnt_depctr 0xfff
	v_fma_f64 v[39:40], -v[34:35], v[37:38], 1.0
	s_delay_alu instid0(VALU_DEP_1) | instskip(NEXT) | instid1(VALU_DEP_1)
	v_fma_f64 v[37:38], v[37:38], v[39:40], v[37:38]
	v_fma_f64 v[39:40], -v[34:35], v[37:38], 1.0
	s_delay_alu instid0(VALU_DEP_1) | instskip(NEXT) | instid1(VALU_DEP_1)
	v_fma_f64 v[37:38], v[37:38], v[39:40], v[37:38]
	v_mul_f64 v[39:40], v[41:42], v[37:38]
	s_delay_alu instid0(VALU_DEP_1) | instskip(NEXT) | instid1(VALU_DEP_1)
	v_fma_f64 v[34:35], -v[34:35], v[39:40], v[41:42]
	v_div_fmas_f64 v[34:35], v[34:35], v[37:38], v[39:40]
	s_delay_alu instid0(VALU_DEP_1) | instskip(NEXT) | instid1(VALU_DEP_1)
	v_div_fixup_f64 v[34:35], v[34:35], v[32:33], 1.0
	v_cndmask_b32_e64 v31, v31, v35, s14
	s_delay_alu instid0(VALU_DEP_2)
	v_cndmask_b32_e64 v30, v30, v34, s14
	v_cndmask_b32_e64 v29, v29, v35, s13
	;; [unrolled: 1-line block ×29, first 2 shown]
	v_xor_b32_e32 v35, 0x80000000, v35
.LBB14_3:
	v_add_nc_u32_e32 v98, 0x80, v36
	s_cmpk_eq_i32 s16, 0x79
	ds_store_b64 v36, v[34:35]
	s_cbranch_scc1 .LBB14_7
; %bb.4:
	s_waitcnt vmcnt(0)
	v_dual_mov_b32 v65, v33 :: v_dual_mov_b32 v64, v32
	v_dual_mov_b32 v63, v31 :: v_dual_mov_b32 v62, v30
	;; [unrolled: 1-line block ×16, first 2 shown]
	v_cmp_eq_u32_e64 s1, 14, v0
	ds_store_b64 v98, v[28:29]
	s_waitcnt lgkmcnt(0)
	s_barrier
	buffer_gl0_inv
	s_and_saveexec_b32 s0, s1
	s_cbranch_execz .LBB14_11
; %bb.5:
	s_and_b32 vcc_lo, exec_lo, s15
	s_cbranch_vccz .LBB14_8
; %bb.6:
	v_cmp_eq_u32_e32 vcc_lo, 1, v0
	v_dual_cndmask_b32 v34, v3, v5 :: v_dual_cndmask_b32 v35, v2, v4
	v_cmp_eq_u32_e32 vcc_lo, 2, v0
	s_delay_alu instid0(VALU_DEP_2) | instskip(SKIP_1) | instid1(VALU_DEP_2)
	v_dual_cndmask_b32 v34, v34, v7 :: v_dual_cndmask_b32 v35, v35, v6
	v_cmp_eq_u32_e32 vcc_lo, 3, v0
	v_dual_cndmask_b32 v34, v34, v9 :: v_dual_cndmask_b32 v35, v35, v8
	v_cmp_eq_u32_e32 vcc_lo, 4, v0
	s_delay_alu instid0(VALU_DEP_2) | instskip(SKIP_1) | instid1(VALU_DEP_2)
	v_dual_cndmask_b32 v34, v34, v11 :: v_dual_cndmask_b32 v35, v35, v10
	;; [unrolled: 5-line block ×5, first 2 shown]
	v_cmp_eq_u32_e32 vcc_lo, 11, v0
	v_dual_cndmask_b32 v36, v34, v25 :: v_dual_cndmask_b32 v37, v35, v24
	v_cmp_eq_u32_e32 vcc_lo, 12, v0
	ds_load_b64 v[34:35], v98
	v_dual_cndmask_b32 v36, v36, v27 :: v_dual_cndmask_b32 v37, v37, v26
	v_cmp_eq_u32_e32 vcc_lo, 13, v0
	s_delay_alu instid0(VALU_DEP_2) | instskip(NEXT) | instid1(VALU_DEP_3)
	v_cndmask_b32_e32 v36, v36, v29, vcc_lo
	v_cndmask_b32_e32 v38, v37, v28, vcc_lo
	v_cmp_eq_u32_e32 vcc_lo, 14, v0
	s_delay_alu instid0(VALU_DEP_2) | instskip(SKIP_1) | instid1(VALU_DEP_1)
	v_dual_cndmask_b32 v37, v36, v31 :: v_dual_cndmask_b32 v36, v38, v30
	s_waitcnt lgkmcnt(0)
	v_mul_f64 v[34:35], v[36:37], v[34:35]
	s_cbranch_execz .LBB14_9
	s_branch .LBB14_10
.LBB14_7:
                                        ; implicit-def: $vgpr34_vgpr35_vgpr36_vgpr37_vgpr38_vgpr39_vgpr40_vgpr41_vgpr42_vgpr43_vgpr44_vgpr45_vgpr46_vgpr47_vgpr48_vgpr49_vgpr50_vgpr51_vgpr52_vgpr53_vgpr54_vgpr55_vgpr56_vgpr57_vgpr58_vgpr59_vgpr60_vgpr61_vgpr62_vgpr63_vgpr64_vgpr65
	s_cbranch_execnz .LBB14_212
	s_branch .LBB14_359
.LBB14_8:
                                        ; implicit-def: $vgpr34_vgpr35
.LBB14_9:
	ds_load_b64 v[34:35], v98
.LBB14_10:
	v_mov_b32_e32 v36, 0
	v_dual_mov_b32 v38, v6 :: v_dual_mov_b32 v41, v9
	v_dual_mov_b32 v40, v8 :: v_dual_mov_b32 v43, v11
	ds_load_b64 v[36:37], v36 offset:104
	v_dual_mov_b32 v42, v10 :: v_dual_mov_b32 v45, v13
	v_dual_mov_b32 v44, v12 :: v_dual_mov_b32 v47, v15
	;; [unrolled: 1-line block ×9, first 2 shown]
	v_mov_b32_e32 v62, v30
	s_waitcnt lgkmcnt(0)
	v_mul_f64 v[60:61], v[34:35], v[36:37]
	v_dual_mov_b32 v34, v2 :: v_dual_mov_b32 v37, v5
	v_dual_mov_b32 v35, v3 :: v_dual_mov_b32 v36, v4
	v_mov_b32_e32 v39, v7
.LBB14_11:
	s_or_b32 exec_lo, exec_lo, s0
	v_cmp_lt_u32_e64 s0, 12, v0
	ds_store_b64 v98, v[58:59]
	s_waitcnt lgkmcnt(0)
	s_barrier
	buffer_gl0_inv
	s_and_saveexec_b32 s2, s0
	s_cbranch_execz .LBB14_19
; %bb.12:
	s_and_not1_b32 vcc_lo, exec_lo, s15
	s_cbranch_vccnz .LBB14_14
; %bb.13:
	v_cmp_eq_u32_e32 vcc_lo, 1, v0
	v_dual_cndmask_b32 v64, v35, v37 :: v_dual_cndmask_b32 v65, v34, v36
	v_cmp_eq_u32_e32 vcc_lo, 2, v0
	s_delay_alu instid0(VALU_DEP_2) | instskip(SKIP_1) | instid1(VALU_DEP_2)
	v_dual_cndmask_b32 v64, v64, v39 :: v_dual_cndmask_b32 v65, v65, v38
	v_cmp_eq_u32_e32 vcc_lo, 3, v0
	v_dual_cndmask_b32 v64, v64, v41 :: v_dual_cndmask_b32 v65, v65, v40
	v_cmp_eq_u32_e32 vcc_lo, 4, v0
	s_delay_alu instid0(VALU_DEP_2) | instskip(SKIP_1) | instid1(VALU_DEP_2)
	v_dual_cndmask_b32 v64, v64, v43 :: v_dual_cndmask_b32 v65, v65, v42
	;; [unrolled: 5-line block ×5, first 2 shown]
	v_cmp_eq_u32_e32 vcc_lo, 11, v0
	v_dual_cndmask_b32 v96, v64, v57 :: v_dual_cndmask_b32 v97, v65, v56
	v_cmp_eq_u32_e32 vcc_lo, 12, v0
	ds_load_b64 v[64:65], v98
	v_dual_cndmask_b32 v59, v96, v59 :: v_dual_cndmask_b32 v58, v97, v58
	v_cmp_eq_u32_e32 vcc_lo, 13, v0
	s_delay_alu instid0(VALU_DEP_2) | instskip(SKIP_1) | instid1(VALU_DEP_2)
	v_dual_cndmask_b32 v59, v59, v61 :: v_dual_cndmask_b32 v58, v58, v60
	v_cmp_eq_u32_e32 vcc_lo, 14, v0
	v_dual_cndmask_b32 v59, v59, v63 :: v_dual_cndmask_b32 v58, v58, v62
	s_waitcnt lgkmcnt(0)
	s_delay_alu instid0(VALU_DEP_1)
	v_mul_f64 v[58:59], v[58:59], v[64:65]
	s_cbranch_execz .LBB14_15
	s_branch .LBB14_16
.LBB14_14:
                                        ; implicit-def: $vgpr58_vgpr59
.LBB14_15:
	ds_load_b64 v[58:59], v98
.LBB14_16:
	s_and_saveexec_b32 s3, s1
	s_cbranch_execz .LBB14_18
; %bb.17:
	v_mov_b32_e32 v64, 0
	ds_load_b64 v[64:65], v64 offset:232
	s_waitcnt lgkmcnt(0)
	v_fma_f64 v[58:59], v[60:61], v[64:65], v[58:59]
.LBB14_18:
	s_or_b32 exec_lo, exec_lo, s3
	v_mov_b32_e32 v64, 0
	ds_load_b64 v[64:65], v64 offset:96
	s_waitcnt lgkmcnt(0)
	v_mul_f64 v[58:59], v[58:59], v[64:65]
.LBB14_19:
	s_or_b32 exec_lo, exec_lo, s2
	v_cmp_lt_u32_e64 s1, 11, v0
	ds_store_b64 v98, v[56:57]
	s_waitcnt lgkmcnt(0)
	s_barrier
	buffer_gl0_inv
	s_and_saveexec_b32 s4, s1
	s_cbranch_execz .LBB14_35
; %bb.20:
	s_and_not1_b32 vcc_lo, exec_lo, s15
	s_cbranch_vccnz .LBB14_22
; %bb.21:
	v_cmp_eq_u32_e32 vcc_lo, 1, v0
	v_dual_cndmask_b32 v96, v35, v37 :: v_dual_cndmask_b32 v97, v34, v36
	v_cmp_eq_u32_e32 vcc_lo, 2, v0
	s_delay_alu instid0(VALU_DEP_2) | instskip(SKIP_1) | instid1(VALU_DEP_2)
	v_dual_cndmask_b32 v96, v96, v39 :: v_dual_cndmask_b32 v97, v97, v38
	v_cmp_eq_u32_e32 vcc_lo, 3, v0
	v_dual_cndmask_b32 v96, v96, v41 :: v_dual_cndmask_b32 v97, v97, v40
	v_cmp_eq_u32_e32 vcc_lo, 4, v0
	s_delay_alu instid0(VALU_DEP_2) | instskip(SKIP_1) | instid1(VALU_DEP_2)
	v_dual_cndmask_b32 v96, v96, v43 :: v_dual_cndmask_b32 v97, v97, v42
	;; [unrolled: 5-line block ×5, first 2 shown]
	v_cmp_eq_u32_e32 vcc_lo, 11, v0
	v_dual_cndmask_b32 v99, v96, v57 :: v_dual_cndmask_b32 v100, v97, v56
	v_cmp_eq_u32_e32 vcc_lo, 12, v0
	ds_load_b64 v[96:97], v98
	v_dual_cndmask_b32 v99, v99, v59 :: v_dual_cndmask_b32 v100, v100, v58
	v_cmp_eq_u32_e32 vcc_lo, 13, v0
	s_delay_alu instid0(VALU_DEP_2) | instskip(NEXT) | instid1(VALU_DEP_3)
	v_cndmask_b32_e32 v99, v99, v61, vcc_lo
	v_cndmask_b32_e32 v101, v100, v60, vcc_lo
	v_cmp_eq_u32_e32 vcc_lo, 14, v0
	s_delay_alu instid0(VALU_DEP_2) | instskip(SKIP_1) | instid1(VALU_DEP_1)
	v_dual_cndmask_b32 v100, v99, v63 :: v_dual_cndmask_b32 v99, v101, v62
	s_waitcnt lgkmcnt(0)
	v_mul_f64 v[96:97], v[99:100], v[96:97]
	s_cbranch_execz .LBB14_23
	s_branch .LBB14_24
.LBB14_22:
                                        ; implicit-def: $vgpr96_vgpr97
.LBB14_23:
	ds_load_b64 v[96:97], v98
.LBB14_24:
	s_and_saveexec_b32 s5, s0
	s_cbranch_execz .LBB14_34
; %bb.25:
	v_add_nc_u32_e32 v100, -13, v0
	v_add_nc_u32_e32 v99, -12, v0
	s_delay_alu instid0(VALU_DEP_2)
	v_cmp_lt_u32_e32 vcc_lo, 6, v100
	v_mov_b32_e32 v100, 12
	s_and_saveexec_b32 s0, vcc_lo
	s_cbranch_execz .LBB14_29
; %bb.26:
	v_and_b32_e32 v100, -8, v99
	s_mov_b32 s6, 0
	s_mov_b64 s[2:3], 19
	s_movk_i32 s7, 0xe0
	s_delay_alu instid0(VALU_DEP_1)
	v_sub_nc_u32_e32 v101, 0, v100
.LBB14_27:                              ; =>This Inner Loop Header: Depth=1
	v_mov_b32_e32 v100, s7
	s_lshl_b32 s8, s2, 1
	s_delay_alu instid0(SALU_CYCLE_1)
	s_add_i32 m0, s8, -13
	v_movrels_b32_e32 v111, v34
	ds_load_b128 v[102:105], v100
	ds_load_b128 v[106:109], v100 offset:16
	s_add_i32 m0, s8, -14
	v_movrels_b32_e32 v110, v34
	s_add_i32 m0, s8, -11
	s_waitcnt lgkmcnt(1)
	s_delay_alu instid0(VALU_DEP_1) | instskip(SKIP_4) | instid1(VALU_DEP_1)
	v_fma_f64 v[96:97], v[110:111], v[102:103], v[96:97]
	v_movrels_b32_e32 v103, v34
	s_add_i32 m0, s8, -12
	v_movrels_b32_e32 v102, v34
	s_add_i32 m0, s8, -9
	v_fma_f64 v[96:97], v[102:103], v[104:105], v[96:97]
	v_movrels_b32_e32 v103, v34
	s_add_i32 m0, s8, -10
	v_movrels_b32_e32 v102, v34
	s_add_i32 m0, s8, -7
	s_waitcnt lgkmcnt(0)
	s_delay_alu instid0(VALU_DEP_1)
	v_fma_f64 v[96:97], v[102:103], v[106:107], v[96:97]
	v_movrels_b32_e32 v103, v34
	s_add_i32 m0, s8, -8
	v_movrels_b32_e32 v102, v34
	s_add_i32 m0, s8, -5
	;; [unrolled: 2-line block ×4, first 2 shown]
	v_fma_f64 v[96:97], v[102:103], v[108:109], v[96:97]
	ds_load_b128 v[102:105], v100 offset:32
	ds_load_b128 v[106:109], v100 offset:48
	s_waitcnt lgkmcnt(1)
	v_fma_f64 v[96:97], v[110:111], v[102:103], v[96:97]
	v_movrels_b32_e32 v103, v34
	s_add_i32 m0, s8, -4
	v_movrels_b32_e32 v102, v34
	s_add_i32 m0, s8, -1
	s_delay_alu instid0(VALU_DEP_1)
	v_fma_f64 v[96:97], v[102:103], v[104:105], v[96:97]
	v_movrels_b32_e32 v103, v34
	s_add_i32 m0, s8, -2
	s_add_u32 s2, s2, 8
	v_movrels_b32_e32 v102, v34
	s_mov_b32 m0, s8
	v_add_nc_u32_e32 v100, s2, v101
	s_addc_u32 s3, s3, 0
	s_add_i32 s8, s2, -7
	s_add_i32 s7, s7, 64
	s_delay_alu instid0(VALU_DEP_1)
	v_cmp_eq_u32_e32 vcc_lo, 19, v100
	v_mov_b32_e32 v100, s8
	s_or_b32 s6, vcc_lo, s6
	s_waitcnt lgkmcnt(0)
	v_fma_f64 v[96:97], v[102:103], v[106:107], v[96:97]
	v_movrels_b32_e32 v103, v35
	v_movrels_b32_e32 v102, v34
	s_delay_alu instid0(VALU_DEP_1)
	v_fma_f64 v[96:97], v[102:103], v[108:109], v[96:97]
	s_and_not1_b32 exec_lo, exec_lo, s6
	s_cbranch_execnz .LBB14_27
; %bb.28:
	s_or_b32 exec_lo, exec_lo, s6
.LBB14_29:
	s_delay_alu instid0(SALU_CYCLE_1) | instskip(SKIP_3) | instid1(VALU_DEP_1)
	s_or_b32 exec_lo, exec_lo, s0
	v_and_b32_e32 v64, 7, v99
	s_mov_b32 s3, 0
	s_mov_b32 s2, exec_lo
	v_cmpx_ne_u32_e32 0, v64
	s_cbranch_execz .LBB14_33
; %bb.30:
	v_lshl_add_u32 v65, v100, 3, 0x80
	v_mov_b32_e32 v99, 0
.LBB14_31:                              ; =>This Inner Loop Header: Depth=1
	v_cmp_eq_u32_e32 vcc_lo, 1, v100
	v_cmp_eq_u32_e64 s0, 2, v100
	v_dual_cndmask_b32 v101, v35, v37 :: v_dual_add_nc_u32 v64, -1, v64
	v_cndmask_b32_e32 v102, v34, v36, vcc_lo
	v_cmp_eq_u32_e32 vcc_lo, 3, v100
	s_delay_alu instid0(VALU_DEP_3) | instskip(NEXT) | instid1(VALU_DEP_3)
	v_cndmask_b32_e64 v101, v101, v39, s0
	v_cndmask_b32_e64 v102, v102, v38, s0
	v_cmp_eq_u32_e64 s0, 4, v100
	s_delay_alu instid0(VALU_DEP_2) | instskip(SKIP_1) | instid1(VALU_DEP_2)
	v_dual_cndmask_b32 v101, v101, v41 :: v_dual_cndmask_b32 v102, v102, v40
	v_cmp_eq_u32_e32 vcc_lo, 5, v100
	v_cndmask_b32_e64 v101, v101, v43, s0
	s_delay_alu instid0(VALU_DEP_3) | instskip(SKIP_1) | instid1(VALU_DEP_2)
	v_cndmask_b32_e64 v102, v102, v42, s0
	v_cmp_eq_u32_e64 s0, 6, v100
	v_dual_cndmask_b32 v101, v101, v45 :: v_dual_cndmask_b32 v102, v102, v44
	v_cmp_eq_u32_e32 vcc_lo, 7, v100
	s_delay_alu instid0(VALU_DEP_2) | instskip(NEXT) | instid1(VALU_DEP_3)
	v_cndmask_b32_e64 v101, v101, v47, s0
	v_cndmask_b32_e64 v102, v102, v46, s0
	v_cmp_eq_u32_e64 s0, 8, v100
	s_delay_alu instid0(VALU_DEP_2) | instskip(SKIP_1) | instid1(VALU_DEP_2)
	v_dual_cndmask_b32 v101, v101, v49 :: v_dual_cndmask_b32 v102, v102, v48
	v_cmp_eq_u32_e32 vcc_lo, 9, v100
	v_cndmask_b32_e64 v101, v101, v51, s0
	s_delay_alu instid0(VALU_DEP_3) | instskip(SKIP_1) | instid1(VALU_DEP_2)
	v_cndmask_b32_e64 v102, v102, v50, s0
	v_cmp_eq_u32_e64 s0, 10, v100
	v_dual_cndmask_b32 v101, v101, v53 :: v_dual_cndmask_b32 v102, v102, v52
	v_cmp_eq_u32_e32 vcc_lo, 11, v100
	s_delay_alu instid0(VALU_DEP_2) | instskip(NEXT) | instid1(VALU_DEP_3)
	v_cndmask_b32_e64 v103, v101, v55, s0
	v_cndmask_b32_e64 v104, v102, v54, s0
	ds_load_b64 v[101:102], v65
	v_cmp_eq_u32_e64 s0, 12, v100
	v_add_nc_u32_e32 v65, 8, v65
	v_dual_cndmask_b32 v103, v103, v57 :: v_dual_cndmask_b32 v104, v104, v56
	v_cmp_eq_u32_e32 vcc_lo, 13, v100
	s_delay_alu instid0(VALU_DEP_2) | instskip(NEXT) | instid1(VALU_DEP_3)
	v_cndmask_b32_e64 v103, v103, v59, s0
	v_cndmask_b32_e64 v104, v104, v58, s0
	v_cmp_eq_u32_e64 s0, 14, v100
	s_delay_alu instid0(VALU_DEP_3) | instskip(NEXT) | instid1(VALU_DEP_3)
	v_cndmask_b32_e32 v103, v103, v61, vcc_lo
	v_cndmask_b32_e32 v105, v104, v60, vcc_lo
	v_cmp_eq_u32_e32 vcc_lo, 0, v64
	s_delay_alu instid0(VALU_DEP_3) | instskip(NEXT) | instid1(VALU_DEP_3)
	v_cndmask_b32_e64 v104, v103, v63, s0
	v_cndmask_b32_e64 v103, v105, v62, s0
	v_add_co_u32 v100, s0, v100, 1
	s_delay_alu instid0(VALU_DEP_1) | instskip(SKIP_1) | instid1(VALU_DEP_3)
	v_add_co_ci_u32_e64 v99, s0, 0, v99, s0
	s_waitcnt lgkmcnt(0)
	v_fma_f64 v[96:97], v[103:104], v[101:102], v[96:97]
	s_or_b32 s3, vcc_lo, s3
	s_delay_alu instid0(SALU_CYCLE_1)
	s_and_not1_b32 exec_lo, exec_lo, s3
	s_cbranch_execnz .LBB14_31
; %bb.32:
	s_or_b32 exec_lo, exec_lo, s3
.LBB14_33:
	s_delay_alu instid0(SALU_CYCLE_1)
	s_or_b32 exec_lo, exec_lo, s2
.LBB14_34:
	s_delay_alu instid0(SALU_CYCLE_1)
	s_or_b32 exec_lo, exec_lo, s5
	v_mov_b32_e32 v56, 0
	ds_load_b64 v[56:57], v56 offset:88
	s_waitcnt lgkmcnt(0)
	v_mul_f64 v[56:57], v[96:97], v[56:57]
.LBB14_35:
	s_or_b32 exec_lo, exec_lo, s4
	v_cmp_lt_u32_e64 s0, 10, v0
	ds_store_b64 v98, v[54:55]
	s_waitcnt lgkmcnt(0)
	s_barrier
	buffer_gl0_inv
	s_and_saveexec_b32 s4, s0
	s_cbranch_execz .LBB14_51
; %bb.36:
	s_and_not1_b32 vcc_lo, exec_lo, s15
	s_cbranch_vccnz .LBB14_38
; %bb.37:
	v_cmp_eq_u32_e32 vcc_lo, 1, v0
	v_dual_cndmask_b32 v96, v35, v37 :: v_dual_cndmask_b32 v97, v34, v36
	v_cmp_eq_u32_e32 vcc_lo, 2, v0
	s_delay_alu instid0(VALU_DEP_2) | instskip(SKIP_1) | instid1(VALU_DEP_2)
	v_dual_cndmask_b32 v96, v96, v39 :: v_dual_cndmask_b32 v97, v97, v38
	v_cmp_eq_u32_e32 vcc_lo, 3, v0
	v_dual_cndmask_b32 v96, v96, v41 :: v_dual_cndmask_b32 v97, v97, v40
	v_cmp_eq_u32_e32 vcc_lo, 4, v0
	s_delay_alu instid0(VALU_DEP_2) | instskip(SKIP_1) | instid1(VALU_DEP_2)
	v_dual_cndmask_b32 v96, v96, v43 :: v_dual_cndmask_b32 v97, v97, v42
	;; [unrolled: 5-line block ×5, first 2 shown]
	v_cmp_eq_u32_e32 vcc_lo, 11, v0
	v_dual_cndmask_b32 v99, v96, v57 :: v_dual_cndmask_b32 v100, v97, v56
	v_cmp_eq_u32_e32 vcc_lo, 12, v0
	ds_load_b64 v[96:97], v98
	v_dual_cndmask_b32 v99, v99, v59 :: v_dual_cndmask_b32 v100, v100, v58
	v_cmp_eq_u32_e32 vcc_lo, 13, v0
	s_delay_alu instid0(VALU_DEP_2) | instskip(NEXT) | instid1(VALU_DEP_3)
	v_cndmask_b32_e32 v99, v99, v61, vcc_lo
	v_cndmask_b32_e32 v101, v100, v60, vcc_lo
	v_cmp_eq_u32_e32 vcc_lo, 14, v0
	s_delay_alu instid0(VALU_DEP_2) | instskip(SKIP_1) | instid1(VALU_DEP_1)
	v_dual_cndmask_b32 v100, v99, v63 :: v_dual_cndmask_b32 v99, v101, v62
	s_waitcnt lgkmcnt(0)
	v_mul_f64 v[96:97], v[99:100], v[96:97]
	s_cbranch_execz .LBB14_39
	s_branch .LBB14_40
.LBB14_38:
                                        ; implicit-def: $vgpr96_vgpr97
.LBB14_39:
	ds_load_b64 v[96:97], v98
.LBB14_40:
	s_and_saveexec_b32 s5, s1
	s_cbranch_execz .LBB14_50
; %bb.41:
	v_dual_mov_b32 v101, 11 :: v_dual_add_nc_u32 v100, -12, v0
	v_add_nc_u32_e32 v99, -11, v0
	s_mov_b32 s1, exec_lo
	s_delay_alu instid0(VALU_DEP_2)
	v_cmpx_lt_u32_e32 6, v100
	s_cbranch_execz .LBB14_45
; %bb.42:
	s_delay_alu instid0(VALU_DEP_2) | instskip(SKIP_3) | instid1(VALU_DEP_1)
	v_and_b32_e32 v100, -8, v99
	s_mov_b32 s6, 0
	s_mov_b64 s[2:3], 18
	s_movk_i32 s7, 0xd8
	v_sub_nc_u32_e32 v100, 0, v100
.LBB14_43:                              ; =>This Inner Loop Header: Depth=1
	v_mov_b32_e32 v111, s7
	s_lshl_b32 s8, s2, 1
	s_delay_alu instid0(SALU_CYCLE_1)
	s_add_i32 m0, s8, -13
	v_movrels_b32_e32 v110, v34
	ds_load_2addr_b64 v[101:104], v111 offset1:1
	ds_load_2addr_b64 v[105:108], v111 offset0:2 offset1:3
	s_add_i32 m0, s8, -14
	v_movrels_b32_e32 v109, v34
	s_add_i32 m0, s8, -11
	s_waitcnt lgkmcnt(1)
	s_delay_alu instid0(VALU_DEP_1) | instskip(SKIP_4) | instid1(VALU_DEP_1)
	v_fma_f64 v[96:97], v[109:110], v[101:102], v[96:97]
	v_movrels_b32_e32 v102, v34
	s_add_i32 m0, s8, -12
	v_movrels_b32_e32 v101, v34
	s_add_i32 m0, s8, -9
	v_fma_f64 v[96:97], v[101:102], v[103:104], v[96:97]
	v_movrels_b32_e32 v102, v34
	s_add_i32 m0, s8, -10
	v_movrels_b32_e32 v101, v34
	s_add_i32 m0, s8, -7
	s_waitcnt lgkmcnt(0)
	s_delay_alu instid0(VALU_DEP_1)
	v_fma_f64 v[96:97], v[101:102], v[105:106], v[96:97]
	v_movrels_b32_e32 v102, v34
	s_add_i32 m0, s8, -8
	v_movrels_b32_e32 v101, v34
	s_add_i32 m0, s8, -5
	;; [unrolled: 2-line block ×4, first 2 shown]
	v_fma_f64 v[96:97], v[101:102], v[107:108], v[96:97]
	ds_load_2addr_b64 v[101:104], v111 offset0:4 offset1:5
	ds_load_2addr_b64 v[105:108], v111 offset0:6 offset1:7
	s_waitcnt lgkmcnt(1)
	v_fma_f64 v[96:97], v[109:110], v[101:102], v[96:97]
	v_movrels_b32_e32 v102, v34
	s_add_i32 m0, s8, -4
	v_movrels_b32_e32 v101, v34
	s_add_i32 m0, s8, -1
	s_delay_alu instid0(VALU_DEP_1)
	v_fma_f64 v[96:97], v[101:102], v[103:104], v[96:97]
	v_movrels_b32_e32 v102, v34
	s_add_i32 m0, s8, -2
	s_add_u32 s2, s2, 8
	v_movrels_b32_e32 v101, v34
	s_mov_b32 m0, s8
	s_addc_u32 s3, s3, 0
	s_add_i32 s8, s2, -7
	s_add_i32 s7, s7, 64
	s_waitcnt lgkmcnt(0)
	s_delay_alu instid0(VALU_DEP_3) | instskip(SKIP_2) | instid1(VALU_DEP_1)
	v_fma_f64 v[96:97], v[101:102], v[105:106], v[96:97]
	v_movrels_b32_e32 v102, v35
	v_movrels_b32_e32 v101, v34
	v_fma_f64 v[96:97], v[101:102], v[107:108], v[96:97]
	v_add_nc_u32_e32 v101, s2, v100
	s_delay_alu instid0(VALU_DEP_1) | instskip(SKIP_2) | instid1(SALU_CYCLE_1)
	v_cmp_eq_u32_e32 vcc_lo, 18, v101
	v_mov_b32_e32 v101, s8
	s_or_b32 s6, vcc_lo, s6
	s_and_not1_b32 exec_lo, exec_lo, s6
	s_cbranch_execnz .LBB14_43
; %bb.44:
	s_or_b32 exec_lo, exec_lo, s6
.LBB14_45:
	s_delay_alu instid0(SALU_CYCLE_1) | instskip(SKIP_3) | instid1(VALU_DEP_1)
	s_or_b32 exec_lo, exec_lo, s1
	v_and_b32_e32 v64, 7, v99
	s_mov_b32 s3, 0
	s_mov_b32 s2, exec_lo
	v_cmpx_ne_u32_e32 0, v64
	s_cbranch_execz .LBB14_49
; %bb.46:
	v_lshl_add_u32 v65, v101, 3, 0x80
	v_mov_b32_e32 v99, 0
.LBB14_47:                              ; =>This Inner Loop Header: Depth=1
	v_cmp_eq_u32_e32 vcc_lo, 1, v101
	v_cmp_eq_u32_e64 s1, 2, v101
	v_add_nc_u32_e32 v64, -1, v64
	v_cndmask_b32_e32 v100, v35, v37, vcc_lo
	v_cndmask_b32_e32 v102, v34, v36, vcc_lo
	v_cmp_eq_u32_e32 vcc_lo, 3, v101
	s_delay_alu instid0(VALU_DEP_3) | instskip(NEXT) | instid1(VALU_DEP_3)
	v_cndmask_b32_e64 v100, v100, v39, s1
	v_cndmask_b32_e64 v102, v102, v38, s1
	v_cmp_eq_u32_e64 s1, 4, v101
	s_delay_alu instid0(VALU_DEP_3) | instskip(NEXT) | instid1(VALU_DEP_3)
	v_cndmask_b32_e32 v100, v100, v41, vcc_lo
	v_cndmask_b32_e32 v102, v102, v40, vcc_lo
	v_cmp_eq_u32_e32 vcc_lo, 5, v101
	s_delay_alu instid0(VALU_DEP_3) | instskip(NEXT) | instid1(VALU_DEP_3)
	v_cndmask_b32_e64 v100, v100, v43, s1
	v_cndmask_b32_e64 v102, v102, v42, s1
	v_cmp_eq_u32_e64 s1, 6, v101
	s_delay_alu instid0(VALU_DEP_3) | instskip(NEXT) | instid1(VALU_DEP_3)
	;; [unrolled: 8-line block ×4, first 2 shown]
	v_cndmask_b32_e32 v100, v100, v53, vcc_lo
	v_cndmask_b32_e32 v102, v102, v52, vcc_lo
	v_cmp_eq_u32_e32 vcc_lo, 11, v101
	s_delay_alu instid0(VALU_DEP_3) | instskip(NEXT) | instid1(VALU_DEP_3)
	v_cndmask_b32_e64 v100, v100, v55, s1
	v_cndmask_b32_e64 v104, v102, v54, s1
	ds_load_b64 v[102:103], v65
	v_add_nc_u32_e32 v65, 8, v65
	v_cmp_eq_u32_e64 s1, 12, v101
	v_cndmask_b32_e32 v100, v100, v57, vcc_lo
	v_cndmask_b32_e32 v104, v104, v56, vcc_lo
	v_cmp_eq_u32_e32 vcc_lo, 13, v101
	s_delay_alu instid0(VALU_DEP_3) | instskip(NEXT) | instid1(VALU_DEP_3)
	v_cndmask_b32_e64 v100, v100, v59, s1
	v_cndmask_b32_e64 v104, v104, v58, s1
	v_cmp_eq_u32_e64 s1, 14, v101
	s_delay_alu instid0(VALU_DEP_3) | instskip(NEXT) | instid1(VALU_DEP_3)
	v_cndmask_b32_e32 v100, v100, v61, vcc_lo
	v_cndmask_b32_e32 v104, v104, v60, vcc_lo
	v_cmp_eq_u32_e32 vcc_lo, 0, v64
	s_delay_alu instid0(VALU_DEP_3) | instskip(NEXT) | instid1(VALU_DEP_3)
	v_cndmask_b32_e64 v105, v100, v63, s1
	v_cndmask_b32_e64 v104, v104, v62, s1
	v_add_co_u32 v101, s1, v101, 1
	s_delay_alu instid0(VALU_DEP_1) | instskip(SKIP_1) | instid1(VALU_DEP_3)
	v_add_co_ci_u32_e64 v99, s1, 0, v99, s1
	s_waitcnt lgkmcnt(0)
	v_fma_f64 v[96:97], v[104:105], v[102:103], v[96:97]
	s_or_b32 s3, vcc_lo, s3
	s_delay_alu instid0(SALU_CYCLE_1)
	s_and_not1_b32 exec_lo, exec_lo, s3
	s_cbranch_execnz .LBB14_47
; %bb.48:
	s_or_b32 exec_lo, exec_lo, s3
.LBB14_49:
	s_delay_alu instid0(SALU_CYCLE_1)
	s_or_b32 exec_lo, exec_lo, s2
.LBB14_50:
	s_delay_alu instid0(SALU_CYCLE_1)
	s_or_b32 exec_lo, exec_lo, s5
	v_mov_b32_e32 v54, 0
	ds_load_b64 v[54:55], v54 offset:80
	s_waitcnt lgkmcnt(0)
	v_mul_f64 v[54:55], v[96:97], v[54:55]
.LBB14_51:
	s_or_b32 exec_lo, exec_lo, s4
	v_cmp_lt_u32_e64 s1, 9, v0
	ds_store_b64 v98, v[52:53]
	s_waitcnt lgkmcnt(0)
	s_barrier
	buffer_gl0_inv
	s_and_saveexec_b32 s4, s1
	s_cbranch_execz .LBB14_67
; %bb.52:
	s_and_not1_b32 vcc_lo, exec_lo, s15
	s_cbranch_vccnz .LBB14_54
; %bb.53:
	v_cmp_eq_u32_e32 vcc_lo, 1, v0
	v_dual_cndmask_b32 v96, v35, v37 :: v_dual_cndmask_b32 v97, v34, v36
	v_cmp_eq_u32_e32 vcc_lo, 2, v0
	s_delay_alu instid0(VALU_DEP_2) | instskip(SKIP_1) | instid1(VALU_DEP_2)
	v_dual_cndmask_b32 v96, v96, v39 :: v_dual_cndmask_b32 v97, v97, v38
	v_cmp_eq_u32_e32 vcc_lo, 3, v0
	v_dual_cndmask_b32 v96, v96, v41 :: v_dual_cndmask_b32 v97, v97, v40
	v_cmp_eq_u32_e32 vcc_lo, 4, v0
	s_delay_alu instid0(VALU_DEP_2) | instskip(SKIP_1) | instid1(VALU_DEP_2)
	v_dual_cndmask_b32 v96, v96, v43 :: v_dual_cndmask_b32 v97, v97, v42
	;; [unrolled: 5-line block ×5, first 2 shown]
	v_cmp_eq_u32_e32 vcc_lo, 11, v0
	v_dual_cndmask_b32 v99, v96, v57 :: v_dual_cndmask_b32 v100, v97, v56
	v_cmp_eq_u32_e32 vcc_lo, 12, v0
	ds_load_b64 v[96:97], v98
	v_dual_cndmask_b32 v99, v99, v59 :: v_dual_cndmask_b32 v100, v100, v58
	v_cmp_eq_u32_e32 vcc_lo, 13, v0
	s_delay_alu instid0(VALU_DEP_2) | instskip(NEXT) | instid1(VALU_DEP_3)
	v_cndmask_b32_e32 v99, v99, v61, vcc_lo
	v_cndmask_b32_e32 v101, v100, v60, vcc_lo
	v_cmp_eq_u32_e32 vcc_lo, 14, v0
	s_delay_alu instid0(VALU_DEP_2) | instskip(SKIP_1) | instid1(VALU_DEP_1)
	v_dual_cndmask_b32 v100, v99, v63 :: v_dual_cndmask_b32 v99, v101, v62
	s_waitcnt lgkmcnt(0)
	v_mul_f64 v[96:97], v[99:100], v[96:97]
	s_cbranch_execz .LBB14_55
	s_branch .LBB14_56
.LBB14_54:
                                        ; implicit-def: $vgpr96_vgpr97
.LBB14_55:
	ds_load_b64 v[96:97], v98
.LBB14_56:
	s_and_saveexec_b32 s5, s0
	s_cbranch_execz .LBB14_66
; %bb.57:
	v_add_nc_u32_e32 v100, -11, v0
	v_add_nc_u32_e32 v99, -10, v0
	s_delay_alu instid0(VALU_DEP_2)
	v_cmp_lt_u32_e32 vcc_lo, 6, v100
	v_mov_b32_e32 v100, 10
	s_and_saveexec_b32 s0, vcc_lo
	s_cbranch_execz .LBB14_61
; %bb.58:
	v_and_b32_e32 v100, -8, v99
	s_mov_b32 s6, 0
	s_mov_b64 s[2:3], 17
	s_movk_i32 s7, 0xd0
	s_delay_alu instid0(VALU_DEP_1)
	v_sub_nc_u32_e32 v101, 0, v100
.LBB14_59:                              ; =>This Inner Loop Header: Depth=1
	v_mov_b32_e32 v100, s7
	s_lshl_b32 s8, s2, 1
	s_delay_alu instid0(SALU_CYCLE_1)
	s_add_i32 m0, s8, -13
	v_movrels_b32_e32 v111, v34
	ds_load_b128 v[102:105], v100
	ds_load_b128 v[106:109], v100 offset:16
	s_add_i32 m0, s8, -14
	v_movrels_b32_e32 v110, v34
	s_add_i32 m0, s8, -11
	s_waitcnt lgkmcnt(1)
	s_delay_alu instid0(VALU_DEP_1) | instskip(SKIP_4) | instid1(VALU_DEP_1)
	v_fma_f64 v[96:97], v[110:111], v[102:103], v[96:97]
	v_movrels_b32_e32 v103, v34
	s_add_i32 m0, s8, -12
	v_movrels_b32_e32 v102, v34
	s_add_i32 m0, s8, -9
	v_fma_f64 v[96:97], v[102:103], v[104:105], v[96:97]
	v_movrels_b32_e32 v103, v34
	s_add_i32 m0, s8, -10
	v_movrels_b32_e32 v102, v34
	s_add_i32 m0, s8, -7
	s_waitcnt lgkmcnt(0)
	s_delay_alu instid0(VALU_DEP_1)
	v_fma_f64 v[96:97], v[102:103], v[106:107], v[96:97]
	v_movrels_b32_e32 v103, v34
	s_add_i32 m0, s8, -8
	v_movrels_b32_e32 v102, v34
	s_add_i32 m0, s8, -5
	;; [unrolled: 2-line block ×4, first 2 shown]
	v_fma_f64 v[96:97], v[102:103], v[108:109], v[96:97]
	ds_load_b128 v[102:105], v100 offset:32
	ds_load_b128 v[106:109], v100 offset:48
	s_waitcnt lgkmcnt(1)
	v_fma_f64 v[96:97], v[110:111], v[102:103], v[96:97]
	v_movrels_b32_e32 v103, v34
	s_add_i32 m0, s8, -4
	v_movrels_b32_e32 v102, v34
	s_add_i32 m0, s8, -1
	s_delay_alu instid0(VALU_DEP_1)
	v_fma_f64 v[96:97], v[102:103], v[104:105], v[96:97]
	v_movrels_b32_e32 v103, v34
	s_add_i32 m0, s8, -2
	s_add_u32 s2, s2, 8
	v_movrels_b32_e32 v102, v34
	s_mov_b32 m0, s8
	v_add_nc_u32_e32 v100, s2, v101
	s_addc_u32 s3, s3, 0
	s_add_i32 s8, s2, -7
	s_add_i32 s7, s7, 64
	s_delay_alu instid0(VALU_DEP_1)
	v_cmp_eq_u32_e32 vcc_lo, 17, v100
	v_mov_b32_e32 v100, s8
	s_or_b32 s6, vcc_lo, s6
	s_waitcnt lgkmcnt(0)
	v_fma_f64 v[96:97], v[102:103], v[106:107], v[96:97]
	v_movrels_b32_e32 v103, v35
	v_movrels_b32_e32 v102, v34
	s_delay_alu instid0(VALU_DEP_1)
	v_fma_f64 v[96:97], v[102:103], v[108:109], v[96:97]
	s_and_not1_b32 exec_lo, exec_lo, s6
	s_cbranch_execnz .LBB14_59
; %bb.60:
	s_or_b32 exec_lo, exec_lo, s6
.LBB14_61:
	s_delay_alu instid0(SALU_CYCLE_1) | instskip(SKIP_3) | instid1(VALU_DEP_1)
	s_or_b32 exec_lo, exec_lo, s0
	v_and_b32_e32 v64, 7, v99
	s_mov_b32 s3, 0
	s_mov_b32 s2, exec_lo
	v_cmpx_ne_u32_e32 0, v64
	s_cbranch_execz .LBB14_65
; %bb.62:
	v_lshl_add_u32 v65, v100, 3, 0x80
	v_mov_b32_e32 v99, 0
.LBB14_63:                              ; =>This Inner Loop Header: Depth=1
	v_cmp_eq_u32_e32 vcc_lo, 1, v100
	v_cmp_eq_u32_e64 s0, 2, v100
	v_dual_cndmask_b32 v101, v35, v37 :: v_dual_add_nc_u32 v64, -1, v64
	v_cndmask_b32_e32 v102, v34, v36, vcc_lo
	v_cmp_eq_u32_e32 vcc_lo, 3, v100
	s_delay_alu instid0(VALU_DEP_3) | instskip(NEXT) | instid1(VALU_DEP_3)
	v_cndmask_b32_e64 v101, v101, v39, s0
	v_cndmask_b32_e64 v102, v102, v38, s0
	v_cmp_eq_u32_e64 s0, 4, v100
	s_delay_alu instid0(VALU_DEP_2) | instskip(SKIP_1) | instid1(VALU_DEP_2)
	v_dual_cndmask_b32 v101, v101, v41 :: v_dual_cndmask_b32 v102, v102, v40
	v_cmp_eq_u32_e32 vcc_lo, 5, v100
	v_cndmask_b32_e64 v101, v101, v43, s0
	s_delay_alu instid0(VALU_DEP_3) | instskip(SKIP_1) | instid1(VALU_DEP_2)
	v_cndmask_b32_e64 v102, v102, v42, s0
	v_cmp_eq_u32_e64 s0, 6, v100
	v_dual_cndmask_b32 v101, v101, v45 :: v_dual_cndmask_b32 v102, v102, v44
	v_cmp_eq_u32_e32 vcc_lo, 7, v100
	s_delay_alu instid0(VALU_DEP_2) | instskip(NEXT) | instid1(VALU_DEP_3)
	v_cndmask_b32_e64 v101, v101, v47, s0
	v_cndmask_b32_e64 v102, v102, v46, s0
	v_cmp_eq_u32_e64 s0, 8, v100
	s_delay_alu instid0(VALU_DEP_2) | instskip(SKIP_1) | instid1(VALU_DEP_2)
	v_dual_cndmask_b32 v101, v101, v49 :: v_dual_cndmask_b32 v102, v102, v48
	v_cmp_eq_u32_e32 vcc_lo, 9, v100
	v_cndmask_b32_e64 v101, v101, v51, s0
	s_delay_alu instid0(VALU_DEP_3) | instskip(SKIP_1) | instid1(VALU_DEP_2)
	v_cndmask_b32_e64 v102, v102, v50, s0
	v_cmp_eq_u32_e64 s0, 10, v100
	v_dual_cndmask_b32 v101, v101, v53 :: v_dual_cndmask_b32 v102, v102, v52
	v_cmp_eq_u32_e32 vcc_lo, 11, v100
	s_delay_alu instid0(VALU_DEP_2) | instskip(NEXT) | instid1(VALU_DEP_3)
	v_cndmask_b32_e64 v103, v101, v55, s0
	v_cndmask_b32_e64 v104, v102, v54, s0
	ds_load_b64 v[101:102], v65
	v_cmp_eq_u32_e64 s0, 12, v100
	v_add_nc_u32_e32 v65, 8, v65
	v_dual_cndmask_b32 v103, v103, v57 :: v_dual_cndmask_b32 v104, v104, v56
	v_cmp_eq_u32_e32 vcc_lo, 13, v100
	s_delay_alu instid0(VALU_DEP_2) | instskip(NEXT) | instid1(VALU_DEP_3)
	v_cndmask_b32_e64 v103, v103, v59, s0
	v_cndmask_b32_e64 v104, v104, v58, s0
	v_cmp_eq_u32_e64 s0, 14, v100
	s_delay_alu instid0(VALU_DEP_3) | instskip(NEXT) | instid1(VALU_DEP_3)
	v_cndmask_b32_e32 v103, v103, v61, vcc_lo
	v_cndmask_b32_e32 v105, v104, v60, vcc_lo
	v_cmp_eq_u32_e32 vcc_lo, 0, v64
	s_delay_alu instid0(VALU_DEP_3) | instskip(NEXT) | instid1(VALU_DEP_3)
	v_cndmask_b32_e64 v104, v103, v63, s0
	v_cndmask_b32_e64 v103, v105, v62, s0
	v_add_co_u32 v100, s0, v100, 1
	s_delay_alu instid0(VALU_DEP_1) | instskip(SKIP_1) | instid1(VALU_DEP_3)
	v_add_co_ci_u32_e64 v99, s0, 0, v99, s0
	s_waitcnt lgkmcnt(0)
	v_fma_f64 v[96:97], v[103:104], v[101:102], v[96:97]
	s_or_b32 s3, vcc_lo, s3
	s_delay_alu instid0(SALU_CYCLE_1)
	s_and_not1_b32 exec_lo, exec_lo, s3
	s_cbranch_execnz .LBB14_63
; %bb.64:
	s_or_b32 exec_lo, exec_lo, s3
.LBB14_65:
	s_delay_alu instid0(SALU_CYCLE_1)
	s_or_b32 exec_lo, exec_lo, s2
.LBB14_66:
	s_delay_alu instid0(SALU_CYCLE_1)
	s_or_b32 exec_lo, exec_lo, s5
	v_mov_b32_e32 v52, 0
	ds_load_b64 v[52:53], v52 offset:72
	s_waitcnt lgkmcnt(0)
	v_mul_f64 v[52:53], v[96:97], v[52:53]
.LBB14_67:
	s_or_b32 exec_lo, exec_lo, s4
	v_cmp_lt_u32_e64 s0, 8, v0
	ds_store_b64 v98, v[50:51]
	s_waitcnt lgkmcnt(0)
	s_barrier
	buffer_gl0_inv
	s_and_saveexec_b32 s4, s0
	s_cbranch_execz .LBB14_83
; %bb.68:
	s_and_not1_b32 vcc_lo, exec_lo, s15
	s_cbranch_vccnz .LBB14_70
; %bb.69:
	v_cmp_eq_u32_e32 vcc_lo, 1, v0
	v_dual_cndmask_b32 v96, v35, v37 :: v_dual_cndmask_b32 v97, v34, v36
	v_cmp_eq_u32_e32 vcc_lo, 2, v0
	s_delay_alu instid0(VALU_DEP_2) | instskip(SKIP_1) | instid1(VALU_DEP_2)
	v_dual_cndmask_b32 v96, v96, v39 :: v_dual_cndmask_b32 v97, v97, v38
	v_cmp_eq_u32_e32 vcc_lo, 3, v0
	v_dual_cndmask_b32 v96, v96, v41 :: v_dual_cndmask_b32 v97, v97, v40
	v_cmp_eq_u32_e32 vcc_lo, 4, v0
	s_delay_alu instid0(VALU_DEP_2) | instskip(SKIP_1) | instid1(VALU_DEP_2)
	v_dual_cndmask_b32 v96, v96, v43 :: v_dual_cndmask_b32 v97, v97, v42
	;; [unrolled: 5-line block ×5, first 2 shown]
	v_cmp_eq_u32_e32 vcc_lo, 11, v0
	v_dual_cndmask_b32 v99, v96, v57 :: v_dual_cndmask_b32 v100, v97, v56
	v_cmp_eq_u32_e32 vcc_lo, 12, v0
	ds_load_b64 v[96:97], v98
	v_dual_cndmask_b32 v99, v99, v59 :: v_dual_cndmask_b32 v100, v100, v58
	v_cmp_eq_u32_e32 vcc_lo, 13, v0
	s_delay_alu instid0(VALU_DEP_2) | instskip(NEXT) | instid1(VALU_DEP_3)
	v_cndmask_b32_e32 v99, v99, v61, vcc_lo
	v_cndmask_b32_e32 v101, v100, v60, vcc_lo
	v_cmp_eq_u32_e32 vcc_lo, 14, v0
	s_delay_alu instid0(VALU_DEP_2) | instskip(SKIP_1) | instid1(VALU_DEP_1)
	v_dual_cndmask_b32 v100, v99, v63 :: v_dual_cndmask_b32 v99, v101, v62
	s_waitcnt lgkmcnt(0)
	v_mul_f64 v[96:97], v[99:100], v[96:97]
	s_cbranch_execz .LBB14_71
	s_branch .LBB14_72
.LBB14_70:
                                        ; implicit-def: $vgpr96_vgpr97
.LBB14_71:
	ds_load_b64 v[96:97], v98
.LBB14_72:
	s_and_saveexec_b32 s5, s1
	s_cbranch_execz .LBB14_82
; %bb.73:
	v_dual_mov_b32 v101, 9 :: v_dual_add_nc_u32 v100, -10, v0
	v_add_nc_u32_e32 v99, -9, v0
	s_mov_b32 s1, exec_lo
	s_delay_alu instid0(VALU_DEP_2)
	v_cmpx_lt_u32_e32 6, v100
	s_cbranch_execz .LBB14_77
; %bb.74:
	s_delay_alu instid0(VALU_DEP_2) | instskip(SKIP_3) | instid1(VALU_DEP_1)
	v_and_b32_e32 v100, -8, v99
	s_mov_b32 s6, 0
	s_mov_b64 s[2:3], 16
	s_movk_i32 s7, 0xc8
	v_sub_nc_u32_e32 v100, 0, v100
.LBB14_75:                              ; =>This Inner Loop Header: Depth=1
	v_mov_b32_e32 v111, s7
	s_lshl_b32 s8, s2, 1
	s_delay_alu instid0(SALU_CYCLE_1)
	s_add_i32 m0, s8, -13
	v_movrels_b32_e32 v110, v34
	ds_load_2addr_b64 v[101:104], v111 offset1:1
	ds_load_2addr_b64 v[105:108], v111 offset0:2 offset1:3
	s_add_i32 m0, s8, -14
	v_movrels_b32_e32 v109, v34
	s_add_i32 m0, s8, -11
	s_waitcnt lgkmcnt(1)
	s_delay_alu instid0(VALU_DEP_1) | instskip(SKIP_4) | instid1(VALU_DEP_1)
	v_fma_f64 v[96:97], v[109:110], v[101:102], v[96:97]
	v_movrels_b32_e32 v102, v34
	s_add_i32 m0, s8, -12
	v_movrels_b32_e32 v101, v34
	s_add_i32 m0, s8, -9
	v_fma_f64 v[96:97], v[101:102], v[103:104], v[96:97]
	v_movrels_b32_e32 v102, v34
	s_add_i32 m0, s8, -10
	v_movrels_b32_e32 v101, v34
	s_add_i32 m0, s8, -7
	s_waitcnt lgkmcnt(0)
	s_delay_alu instid0(VALU_DEP_1)
	v_fma_f64 v[96:97], v[101:102], v[105:106], v[96:97]
	v_movrels_b32_e32 v102, v34
	s_add_i32 m0, s8, -8
	v_movrels_b32_e32 v101, v34
	s_add_i32 m0, s8, -5
	;; [unrolled: 2-line block ×4, first 2 shown]
	v_fma_f64 v[96:97], v[101:102], v[107:108], v[96:97]
	ds_load_2addr_b64 v[101:104], v111 offset0:4 offset1:5
	ds_load_2addr_b64 v[105:108], v111 offset0:6 offset1:7
	s_waitcnt lgkmcnt(1)
	v_fma_f64 v[96:97], v[109:110], v[101:102], v[96:97]
	v_movrels_b32_e32 v102, v34
	s_add_i32 m0, s8, -4
	v_movrels_b32_e32 v101, v34
	s_add_i32 m0, s8, -1
	s_delay_alu instid0(VALU_DEP_1)
	v_fma_f64 v[96:97], v[101:102], v[103:104], v[96:97]
	v_movrels_b32_e32 v102, v34
	s_add_i32 m0, s8, -2
	s_add_u32 s2, s2, 8
	v_movrels_b32_e32 v101, v34
	s_mov_b32 m0, s8
	s_addc_u32 s3, s3, 0
	s_add_i32 s8, s2, -7
	s_add_i32 s7, s7, 64
	s_waitcnt lgkmcnt(0)
	s_delay_alu instid0(VALU_DEP_3) | instskip(SKIP_2) | instid1(VALU_DEP_1)
	v_fma_f64 v[96:97], v[101:102], v[105:106], v[96:97]
	v_movrels_b32_e32 v102, v35
	v_movrels_b32_e32 v101, v34
	v_fma_f64 v[96:97], v[101:102], v[107:108], v[96:97]
	v_add_nc_u32_e32 v101, s2, v100
	s_delay_alu instid0(VALU_DEP_1) | instskip(SKIP_2) | instid1(SALU_CYCLE_1)
	v_cmp_eq_u32_e32 vcc_lo, 16, v101
	v_mov_b32_e32 v101, s8
	s_or_b32 s6, vcc_lo, s6
	s_and_not1_b32 exec_lo, exec_lo, s6
	s_cbranch_execnz .LBB14_75
; %bb.76:
	s_or_b32 exec_lo, exec_lo, s6
.LBB14_77:
	s_delay_alu instid0(SALU_CYCLE_1) | instskip(SKIP_3) | instid1(VALU_DEP_1)
	s_or_b32 exec_lo, exec_lo, s1
	v_and_b32_e32 v64, 7, v99
	s_mov_b32 s3, 0
	s_mov_b32 s2, exec_lo
	v_cmpx_ne_u32_e32 0, v64
	s_cbranch_execz .LBB14_81
; %bb.78:
	v_lshl_add_u32 v65, v101, 3, 0x80
	v_mov_b32_e32 v99, 0
.LBB14_79:                              ; =>This Inner Loop Header: Depth=1
	v_cmp_eq_u32_e32 vcc_lo, 1, v101
	v_cmp_eq_u32_e64 s1, 2, v101
	v_add_nc_u32_e32 v64, -1, v64
	v_cndmask_b32_e32 v100, v35, v37, vcc_lo
	v_cndmask_b32_e32 v102, v34, v36, vcc_lo
	v_cmp_eq_u32_e32 vcc_lo, 3, v101
	s_delay_alu instid0(VALU_DEP_3) | instskip(NEXT) | instid1(VALU_DEP_3)
	v_cndmask_b32_e64 v100, v100, v39, s1
	v_cndmask_b32_e64 v102, v102, v38, s1
	v_cmp_eq_u32_e64 s1, 4, v101
	s_delay_alu instid0(VALU_DEP_3) | instskip(NEXT) | instid1(VALU_DEP_3)
	v_cndmask_b32_e32 v100, v100, v41, vcc_lo
	v_cndmask_b32_e32 v102, v102, v40, vcc_lo
	v_cmp_eq_u32_e32 vcc_lo, 5, v101
	s_delay_alu instid0(VALU_DEP_3) | instskip(NEXT) | instid1(VALU_DEP_3)
	v_cndmask_b32_e64 v100, v100, v43, s1
	v_cndmask_b32_e64 v102, v102, v42, s1
	v_cmp_eq_u32_e64 s1, 6, v101
	s_delay_alu instid0(VALU_DEP_3) | instskip(NEXT) | instid1(VALU_DEP_3)
	v_cndmask_b32_e32 v100, v100, v45, vcc_lo
	v_cndmask_b32_e32 v102, v102, v44, vcc_lo
	v_cmp_eq_u32_e32 vcc_lo, 7, v101
	s_delay_alu instid0(VALU_DEP_3) | instskip(NEXT) | instid1(VALU_DEP_3)
	v_cndmask_b32_e64 v100, v100, v47, s1
	v_cndmask_b32_e64 v102, v102, v46, s1
	v_cmp_eq_u32_e64 s1, 8, v101
	s_delay_alu instid0(VALU_DEP_3) | instskip(NEXT) | instid1(VALU_DEP_3)
	v_cndmask_b32_e32 v100, v100, v49, vcc_lo
	v_cndmask_b32_e32 v102, v102, v48, vcc_lo
	v_cmp_eq_u32_e32 vcc_lo, 9, v101
	s_delay_alu instid0(VALU_DEP_3) | instskip(NEXT) | instid1(VALU_DEP_3)
	v_cndmask_b32_e64 v100, v100, v51, s1
	v_cndmask_b32_e64 v102, v102, v50, s1
	v_cmp_eq_u32_e64 s1, 10, v101
	s_delay_alu instid0(VALU_DEP_3) | instskip(NEXT) | instid1(VALU_DEP_3)
	v_cndmask_b32_e32 v100, v100, v53, vcc_lo
	v_cndmask_b32_e32 v102, v102, v52, vcc_lo
	v_cmp_eq_u32_e32 vcc_lo, 11, v101
	s_delay_alu instid0(VALU_DEP_3) | instskip(NEXT) | instid1(VALU_DEP_3)
	v_cndmask_b32_e64 v100, v100, v55, s1
	v_cndmask_b32_e64 v104, v102, v54, s1
	ds_load_b64 v[102:103], v65
	v_add_nc_u32_e32 v65, 8, v65
	v_cmp_eq_u32_e64 s1, 12, v101
	v_cndmask_b32_e32 v100, v100, v57, vcc_lo
	v_cndmask_b32_e32 v104, v104, v56, vcc_lo
	v_cmp_eq_u32_e32 vcc_lo, 13, v101
	s_delay_alu instid0(VALU_DEP_3) | instskip(NEXT) | instid1(VALU_DEP_3)
	v_cndmask_b32_e64 v100, v100, v59, s1
	v_cndmask_b32_e64 v104, v104, v58, s1
	v_cmp_eq_u32_e64 s1, 14, v101
	s_delay_alu instid0(VALU_DEP_3) | instskip(NEXT) | instid1(VALU_DEP_3)
	v_cndmask_b32_e32 v100, v100, v61, vcc_lo
	v_cndmask_b32_e32 v104, v104, v60, vcc_lo
	v_cmp_eq_u32_e32 vcc_lo, 0, v64
	s_delay_alu instid0(VALU_DEP_3) | instskip(NEXT) | instid1(VALU_DEP_3)
	v_cndmask_b32_e64 v105, v100, v63, s1
	v_cndmask_b32_e64 v104, v104, v62, s1
	v_add_co_u32 v101, s1, v101, 1
	s_delay_alu instid0(VALU_DEP_1) | instskip(SKIP_1) | instid1(VALU_DEP_3)
	v_add_co_ci_u32_e64 v99, s1, 0, v99, s1
	s_waitcnt lgkmcnt(0)
	v_fma_f64 v[96:97], v[104:105], v[102:103], v[96:97]
	s_or_b32 s3, vcc_lo, s3
	s_delay_alu instid0(SALU_CYCLE_1)
	s_and_not1_b32 exec_lo, exec_lo, s3
	s_cbranch_execnz .LBB14_79
; %bb.80:
	s_or_b32 exec_lo, exec_lo, s3
.LBB14_81:
	s_delay_alu instid0(SALU_CYCLE_1)
	s_or_b32 exec_lo, exec_lo, s2
.LBB14_82:
	s_delay_alu instid0(SALU_CYCLE_1)
	s_or_b32 exec_lo, exec_lo, s5
	v_mov_b32_e32 v50, 0
	ds_load_b64 v[50:51], v50 offset:64
	s_waitcnt lgkmcnt(0)
	v_mul_f64 v[50:51], v[96:97], v[50:51]
.LBB14_83:
	s_or_b32 exec_lo, exec_lo, s4
	v_cmp_lt_u32_e64 s1, 7, v0
	ds_store_b64 v98, v[48:49]
	s_waitcnt lgkmcnt(0)
	s_barrier
	buffer_gl0_inv
	s_and_saveexec_b32 s4, s1
	s_cbranch_execz .LBB14_99
; %bb.84:
	s_and_not1_b32 vcc_lo, exec_lo, s15
	s_cbranch_vccnz .LBB14_86
; %bb.85:
	v_cmp_eq_u32_e32 vcc_lo, 1, v0
	v_dual_cndmask_b32 v96, v35, v37 :: v_dual_cndmask_b32 v97, v34, v36
	v_cmp_eq_u32_e32 vcc_lo, 2, v0
	s_delay_alu instid0(VALU_DEP_2) | instskip(SKIP_1) | instid1(VALU_DEP_2)
	v_dual_cndmask_b32 v96, v96, v39 :: v_dual_cndmask_b32 v97, v97, v38
	v_cmp_eq_u32_e32 vcc_lo, 3, v0
	v_dual_cndmask_b32 v96, v96, v41 :: v_dual_cndmask_b32 v97, v97, v40
	v_cmp_eq_u32_e32 vcc_lo, 4, v0
	s_delay_alu instid0(VALU_DEP_2) | instskip(SKIP_1) | instid1(VALU_DEP_2)
	v_dual_cndmask_b32 v96, v96, v43 :: v_dual_cndmask_b32 v97, v97, v42
	;; [unrolled: 5-line block ×5, first 2 shown]
	v_cmp_eq_u32_e32 vcc_lo, 11, v0
	v_dual_cndmask_b32 v99, v96, v57 :: v_dual_cndmask_b32 v100, v97, v56
	v_cmp_eq_u32_e32 vcc_lo, 12, v0
	ds_load_b64 v[96:97], v98
	v_dual_cndmask_b32 v99, v99, v59 :: v_dual_cndmask_b32 v100, v100, v58
	v_cmp_eq_u32_e32 vcc_lo, 13, v0
	s_delay_alu instid0(VALU_DEP_2) | instskip(NEXT) | instid1(VALU_DEP_3)
	v_cndmask_b32_e32 v99, v99, v61, vcc_lo
	v_cndmask_b32_e32 v101, v100, v60, vcc_lo
	v_cmp_eq_u32_e32 vcc_lo, 14, v0
	s_delay_alu instid0(VALU_DEP_2) | instskip(SKIP_1) | instid1(VALU_DEP_1)
	v_dual_cndmask_b32 v100, v99, v63 :: v_dual_cndmask_b32 v99, v101, v62
	s_waitcnt lgkmcnt(0)
	v_mul_f64 v[96:97], v[99:100], v[96:97]
	s_cbranch_execz .LBB14_87
	s_branch .LBB14_88
.LBB14_86:
                                        ; implicit-def: $vgpr96_vgpr97
.LBB14_87:
	ds_load_b64 v[96:97], v98
.LBB14_88:
	s_and_saveexec_b32 s5, s0
	s_cbranch_execz .LBB14_98
; %bb.89:
	v_add_nc_u32_e32 v99, -9, v0
	s_delay_alu instid0(VALU_DEP_1)
	v_cmp_lt_u32_e32 vcc_lo, 6, v99
	v_mov_b32_e32 v99, 8
	s_and_saveexec_b32 s0, vcc_lo
	s_cbranch_execz .LBB14_93
; %bb.90:
	v_and_b32_e32 v99, 8, v0
	s_mov_b32 s6, 0
	s_mov_b64 s[2:3], 15
	s_movk_i32 s7, 0xc0
	s_delay_alu instid0(VALU_DEP_1)
	v_sub_nc_u32_e32 v100, 0, v99
.LBB14_91:                              ; =>This Inner Loop Header: Depth=1
	v_mov_b32_e32 v99, s7
	s_lshl_b32 s8, s2, 1
	s_delay_alu instid0(SALU_CYCLE_1)
	s_add_i32 m0, s8, -13
	v_movrels_b32_e32 v110, v34
	ds_load_b128 v[101:104], v99
	ds_load_b128 v[105:108], v99 offset:16
	s_add_i32 m0, s8, -14
	v_movrels_b32_e32 v109, v34
	s_add_i32 m0, s8, -11
	s_waitcnt lgkmcnt(1)
	s_delay_alu instid0(VALU_DEP_1) | instskip(SKIP_4) | instid1(VALU_DEP_1)
	v_fma_f64 v[96:97], v[109:110], v[101:102], v[96:97]
	v_movrels_b32_e32 v102, v34
	s_add_i32 m0, s8, -12
	v_movrels_b32_e32 v101, v34
	s_add_i32 m0, s8, -9
	v_fma_f64 v[96:97], v[101:102], v[103:104], v[96:97]
	v_movrels_b32_e32 v102, v34
	s_add_i32 m0, s8, -10
	v_movrels_b32_e32 v101, v34
	s_add_i32 m0, s8, -7
	s_waitcnt lgkmcnt(0)
	s_delay_alu instid0(VALU_DEP_1)
	v_fma_f64 v[96:97], v[101:102], v[105:106], v[96:97]
	v_movrels_b32_e32 v102, v34
	s_add_i32 m0, s8, -8
	v_movrels_b32_e32 v101, v34
	s_add_i32 m0, s8, -5
	;; [unrolled: 2-line block ×4, first 2 shown]
	v_fma_f64 v[96:97], v[101:102], v[107:108], v[96:97]
	ds_load_b128 v[101:104], v99 offset:32
	ds_load_b128 v[105:108], v99 offset:48
	s_waitcnt lgkmcnt(1)
	v_fma_f64 v[96:97], v[109:110], v[101:102], v[96:97]
	v_movrels_b32_e32 v102, v34
	s_add_i32 m0, s8, -4
	v_movrels_b32_e32 v101, v34
	s_add_i32 m0, s8, -1
	s_delay_alu instid0(VALU_DEP_1)
	v_fma_f64 v[96:97], v[101:102], v[103:104], v[96:97]
	v_movrels_b32_e32 v102, v34
	s_add_i32 m0, s8, -2
	s_add_u32 s2, s2, 8
	v_movrels_b32_e32 v101, v34
	s_mov_b32 m0, s8
	v_add_nc_u32_e32 v99, s2, v100
	s_addc_u32 s3, s3, 0
	s_add_i32 s8, s2, -7
	s_add_i32 s7, s7, 64
	s_delay_alu instid0(VALU_DEP_1)
	v_cmp_eq_u32_e32 vcc_lo, 7, v99
	v_mov_b32_e32 v99, s8
	s_or_b32 s6, vcc_lo, s6
	s_waitcnt lgkmcnt(0)
	v_fma_f64 v[96:97], v[101:102], v[105:106], v[96:97]
	v_movrels_b32_e32 v102, v35
	v_movrels_b32_e32 v101, v34
	s_delay_alu instid0(VALU_DEP_1)
	v_fma_f64 v[96:97], v[101:102], v[107:108], v[96:97]
	s_and_not1_b32 exec_lo, exec_lo, s6
	s_cbranch_execnz .LBB14_91
; %bb.92:
	s_or_b32 exec_lo, exec_lo, s6
.LBB14_93:
	s_delay_alu instid0(SALU_CYCLE_1) | instskip(SKIP_3) | instid1(VALU_DEP_1)
	s_or_b32 exec_lo, exec_lo, s0
	v_and_b32_e32 v64, 7, v0
	s_mov_b32 s3, 0
	s_mov_b32 s2, exec_lo
	v_cmpx_ne_u32_e32 0, v64
	s_cbranch_execz .LBB14_97
; %bb.94:
	v_lshl_add_u32 v65, v99, 3, 0x80
	v_mov_b32_e32 v100, 0
.LBB14_95:                              ; =>This Inner Loop Header: Depth=1
	v_cmp_eq_u32_e32 vcc_lo, 1, v99
	v_cmp_eq_u32_e64 s0, 2, v99
	v_dual_cndmask_b32 v101, v35, v37 :: v_dual_add_nc_u32 v64, -1, v64
	v_cndmask_b32_e32 v102, v34, v36, vcc_lo
	v_cmp_eq_u32_e32 vcc_lo, 3, v99
	s_delay_alu instid0(VALU_DEP_3) | instskip(NEXT) | instid1(VALU_DEP_3)
	v_cndmask_b32_e64 v101, v101, v39, s0
	v_cndmask_b32_e64 v102, v102, v38, s0
	v_cmp_eq_u32_e64 s0, 4, v99
	s_delay_alu instid0(VALU_DEP_2) | instskip(SKIP_1) | instid1(VALU_DEP_2)
	v_dual_cndmask_b32 v101, v101, v41 :: v_dual_cndmask_b32 v102, v102, v40
	v_cmp_eq_u32_e32 vcc_lo, 5, v99
	v_cndmask_b32_e64 v101, v101, v43, s0
	s_delay_alu instid0(VALU_DEP_3) | instskip(SKIP_1) | instid1(VALU_DEP_2)
	v_cndmask_b32_e64 v102, v102, v42, s0
	v_cmp_eq_u32_e64 s0, 6, v99
	v_dual_cndmask_b32 v101, v101, v45 :: v_dual_cndmask_b32 v102, v102, v44
	v_cmp_eq_u32_e32 vcc_lo, 7, v99
	s_delay_alu instid0(VALU_DEP_2) | instskip(NEXT) | instid1(VALU_DEP_3)
	v_cndmask_b32_e64 v101, v101, v47, s0
	v_cndmask_b32_e64 v102, v102, v46, s0
	v_cmp_eq_u32_e64 s0, 8, v99
	s_delay_alu instid0(VALU_DEP_2) | instskip(SKIP_1) | instid1(VALU_DEP_2)
	v_dual_cndmask_b32 v101, v101, v49 :: v_dual_cndmask_b32 v102, v102, v48
	v_cmp_eq_u32_e32 vcc_lo, 9, v99
	v_cndmask_b32_e64 v101, v101, v51, s0
	s_delay_alu instid0(VALU_DEP_3) | instskip(SKIP_1) | instid1(VALU_DEP_2)
	v_cndmask_b32_e64 v102, v102, v50, s0
	v_cmp_eq_u32_e64 s0, 10, v99
	v_dual_cndmask_b32 v101, v101, v53 :: v_dual_cndmask_b32 v102, v102, v52
	v_cmp_eq_u32_e32 vcc_lo, 11, v99
	s_delay_alu instid0(VALU_DEP_2) | instskip(NEXT) | instid1(VALU_DEP_3)
	v_cndmask_b32_e64 v103, v101, v55, s0
	v_cndmask_b32_e64 v104, v102, v54, s0
	ds_load_b64 v[101:102], v65
	v_cmp_eq_u32_e64 s0, 12, v99
	v_add_nc_u32_e32 v65, 8, v65
	v_dual_cndmask_b32 v103, v103, v57 :: v_dual_cndmask_b32 v104, v104, v56
	v_cmp_eq_u32_e32 vcc_lo, 13, v99
	s_delay_alu instid0(VALU_DEP_2) | instskip(NEXT) | instid1(VALU_DEP_3)
	v_cndmask_b32_e64 v103, v103, v59, s0
	v_cndmask_b32_e64 v104, v104, v58, s0
	v_cmp_eq_u32_e64 s0, 14, v99
	s_delay_alu instid0(VALU_DEP_3) | instskip(NEXT) | instid1(VALU_DEP_3)
	v_cndmask_b32_e32 v103, v103, v61, vcc_lo
	v_cndmask_b32_e32 v105, v104, v60, vcc_lo
	v_cmp_eq_u32_e32 vcc_lo, 0, v64
	s_delay_alu instid0(VALU_DEP_3) | instskip(NEXT) | instid1(VALU_DEP_3)
	v_cndmask_b32_e64 v104, v103, v63, s0
	v_cndmask_b32_e64 v103, v105, v62, s0
	v_add_co_u32 v99, s0, v99, 1
	s_delay_alu instid0(VALU_DEP_1) | instskip(SKIP_1) | instid1(VALU_DEP_3)
	v_add_co_ci_u32_e64 v100, s0, 0, v100, s0
	s_waitcnt lgkmcnt(0)
	v_fma_f64 v[96:97], v[103:104], v[101:102], v[96:97]
	s_or_b32 s3, vcc_lo, s3
	s_delay_alu instid0(SALU_CYCLE_1)
	s_and_not1_b32 exec_lo, exec_lo, s3
	s_cbranch_execnz .LBB14_95
; %bb.96:
	s_or_b32 exec_lo, exec_lo, s3
.LBB14_97:
	s_delay_alu instid0(SALU_CYCLE_1)
	s_or_b32 exec_lo, exec_lo, s2
.LBB14_98:
	s_delay_alu instid0(SALU_CYCLE_1)
	s_or_b32 exec_lo, exec_lo, s5
	v_mov_b32_e32 v48, 0
	ds_load_b64 v[48:49], v48 offset:56
	s_waitcnt lgkmcnt(0)
	v_mul_f64 v[48:49], v[96:97], v[48:49]
.LBB14_99:
	s_or_b32 exec_lo, exec_lo, s4
	v_cmp_lt_u32_e64 s0, 6, v0
	ds_store_b64 v98, v[46:47]
	s_waitcnt lgkmcnt(0)
	s_barrier
	buffer_gl0_inv
	s_and_saveexec_b32 s4, s0
	s_cbranch_execz .LBB14_115
; %bb.100:
	s_and_not1_b32 vcc_lo, exec_lo, s15
	s_cbranch_vccnz .LBB14_102
; %bb.101:
	v_cmp_eq_u32_e32 vcc_lo, 1, v0
	v_dual_cndmask_b32 v96, v35, v37 :: v_dual_cndmask_b32 v97, v34, v36
	v_cmp_eq_u32_e32 vcc_lo, 2, v0
	s_delay_alu instid0(VALU_DEP_2) | instskip(SKIP_1) | instid1(VALU_DEP_2)
	v_dual_cndmask_b32 v96, v96, v39 :: v_dual_cndmask_b32 v97, v97, v38
	v_cmp_eq_u32_e32 vcc_lo, 3, v0
	v_dual_cndmask_b32 v96, v96, v41 :: v_dual_cndmask_b32 v97, v97, v40
	v_cmp_eq_u32_e32 vcc_lo, 4, v0
	s_delay_alu instid0(VALU_DEP_2) | instskip(SKIP_1) | instid1(VALU_DEP_2)
	v_dual_cndmask_b32 v96, v96, v43 :: v_dual_cndmask_b32 v97, v97, v42
	;; [unrolled: 5-line block ×5, first 2 shown]
	v_cmp_eq_u32_e32 vcc_lo, 11, v0
	v_dual_cndmask_b32 v99, v96, v57 :: v_dual_cndmask_b32 v100, v97, v56
	v_cmp_eq_u32_e32 vcc_lo, 12, v0
	ds_load_b64 v[96:97], v98
	v_dual_cndmask_b32 v99, v99, v59 :: v_dual_cndmask_b32 v100, v100, v58
	v_cmp_eq_u32_e32 vcc_lo, 13, v0
	s_delay_alu instid0(VALU_DEP_2) | instskip(NEXT) | instid1(VALU_DEP_3)
	v_cndmask_b32_e32 v99, v99, v61, vcc_lo
	v_cndmask_b32_e32 v101, v100, v60, vcc_lo
	v_cmp_eq_u32_e32 vcc_lo, 14, v0
	s_delay_alu instid0(VALU_DEP_2) | instskip(SKIP_1) | instid1(VALU_DEP_1)
	v_dual_cndmask_b32 v100, v99, v63 :: v_dual_cndmask_b32 v99, v101, v62
	s_waitcnt lgkmcnt(0)
	v_mul_f64 v[96:97], v[99:100], v[96:97]
	s_cbranch_execz .LBB14_103
	s_branch .LBB14_104
.LBB14_102:
                                        ; implicit-def: $vgpr96_vgpr97
.LBB14_103:
	ds_load_b64 v[96:97], v98
.LBB14_104:
	s_and_saveexec_b32 s5, s1
	s_cbranch_execz .LBB14_114
; %bb.105:
	v_dual_mov_b32 v101, 7 :: v_dual_add_nc_u32 v100, -8, v0
	v_add_nc_u32_e32 v99, -7, v0
	s_mov_b32 s1, exec_lo
	s_delay_alu instid0(VALU_DEP_2)
	v_cmpx_lt_u32_e32 6, v100
	s_cbranch_execz .LBB14_109
; %bb.106:
	s_delay_alu instid0(VALU_DEP_2) | instskip(SKIP_3) | instid1(VALU_DEP_1)
	v_and_b32_e32 v100, -8, v99
	s_mov_b32 s6, 0
	s_mov_b64 s[2:3], 14
	s_movk_i32 s7, 0xb8
	v_sub_nc_u32_e32 v100, 0, v100
.LBB14_107:                             ; =>This Inner Loop Header: Depth=1
	v_mov_b32_e32 v111, s7
	s_lshl_b32 s8, s2, 1
	s_delay_alu instid0(SALU_CYCLE_1)
	s_add_i32 m0, s8, -13
	v_movrels_b32_e32 v110, v34
	ds_load_2addr_b64 v[101:104], v111 offset1:1
	ds_load_2addr_b64 v[105:108], v111 offset0:2 offset1:3
	s_add_i32 m0, s8, -14
	v_movrels_b32_e32 v109, v34
	s_add_i32 m0, s8, -11
	s_waitcnt lgkmcnt(1)
	s_delay_alu instid0(VALU_DEP_1) | instskip(SKIP_4) | instid1(VALU_DEP_1)
	v_fma_f64 v[96:97], v[109:110], v[101:102], v[96:97]
	v_movrels_b32_e32 v102, v34
	s_add_i32 m0, s8, -12
	v_movrels_b32_e32 v101, v34
	s_add_i32 m0, s8, -9
	v_fma_f64 v[96:97], v[101:102], v[103:104], v[96:97]
	v_movrels_b32_e32 v102, v34
	s_add_i32 m0, s8, -10
	v_movrels_b32_e32 v101, v34
	s_add_i32 m0, s8, -7
	s_waitcnt lgkmcnt(0)
	s_delay_alu instid0(VALU_DEP_1)
	v_fma_f64 v[96:97], v[101:102], v[105:106], v[96:97]
	v_movrels_b32_e32 v102, v34
	s_add_i32 m0, s8, -8
	v_movrels_b32_e32 v101, v34
	s_add_i32 m0, s8, -5
	;; [unrolled: 2-line block ×4, first 2 shown]
	v_fma_f64 v[96:97], v[101:102], v[107:108], v[96:97]
	ds_load_2addr_b64 v[101:104], v111 offset0:4 offset1:5
	ds_load_2addr_b64 v[105:108], v111 offset0:6 offset1:7
	s_waitcnt lgkmcnt(1)
	v_fma_f64 v[96:97], v[109:110], v[101:102], v[96:97]
	v_movrels_b32_e32 v102, v34
	s_add_i32 m0, s8, -4
	v_movrels_b32_e32 v101, v34
	s_add_i32 m0, s8, -1
	s_delay_alu instid0(VALU_DEP_1)
	v_fma_f64 v[96:97], v[101:102], v[103:104], v[96:97]
	v_movrels_b32_e32 v102, v34
	s_add_i32 m0, s8, -2
	s_add_u32 s2, s2, 8
	v_movrels_b32_e32 v101, v34
	s_mov_b32 m0, s8
	s_addc_u32 s3, s3, 0
	s_add_i32 s8, s2, -7
	s_add_i32 s7, s7, 64
	s_waitcnt lgkmcnt(0)
	s_delay_alu instid0(VALU_DEP_3) | instskip(SKIP_2) | instid1(VALU_DEP_1)
	v_fma_f64 v[96:97], v[101:102], v[105:106], v[96:97]
	v_movrels_b32_e32 v102, v35
	v_movrels_b32_e32 v101, v34
	v_fma_f64 v[96:97], v[101:102], v[107:108], v[96:97]
	v_add_nc_u32_e32 v101, s2, v100
	s_delay_alu instid0(VALU_DEP_1) | instskip(SKIP_2) | instid1(SALU_CYCLE_1)
	v_cmp_eq_u32_e32 vcc_lo, 14, v101
	v_mov_b32_e32 v101, s8
	s_or_b32 s6, vcc_lo, s6
	s_and_not1_b32 exec_lo, exec_lo, s6
	s_cbranch_execnz .LBB14_107
; %bb.108:
	s_or_b32 exec_lo, exec_lo, s6
.LBB14_109:
	s_delay_alu instid0(SALU_CYCLE_1) | instskip(SKIP_3) | instid1(VALU_DEP_1)
	s_or_b32 exec_lo, exec_lo, s1
	v_and_b32_e32 v64, 7, v99
	s_mov_b32 s3, 0
	s_mov_b32 s2, exec_lo
	v_cmpx_ne_u32_e32 0, v64
	s_cbranch_execz .LBB14_113
; %bb.110:
	v_lshl_add_u32 v65, v101, 3, 0x80
	v_mov_b32_e32 v99, 0
.LBB14_111:                             ; =>This Inner Loop Header: Depth=1
	v_cmp_eq_u32_e32 vcc_lo, 1, v101
	v_cmp_eq_u32_e64 s1, 2, v101
	v_add_nc_u32_e32 v64, -1, v64
	v_cndmask_b32_e32 v100, v35, v37, vcc_lo
	v_cndmask_b32_e32 v102, v34, v36, vcc_lo
	v_cmp_eq_u32_e32 vcc_lo, 3, v101
	s_delay_alu instid0(VALU_DEP_3) | instskip(NEXT) | instid1(VALU_DEP_3)
	v_cndmask_b32_e64 v100, v100, v39, s1
	v_cndmask_b32_e64 v102, v102, v38, s1
	v_cmp_eq_u32_e64 s1, 4, v101
	s_delay_alu instid0(VALU_DEP_3) | instskip(NEXT) | instid1(VALU_DEP_3)
	v_cndmask_b32_e32 v100, v100, v41, vcc_lo
	v_cndmask_b32_e32 v102, v102, v40, vcc_lo
	v_cmp_eq_u32_e32 vcc_lo, 5, v101
	s_delay_alu instid0(VALU_DEP_3) | instskip(NEXT) | instid1(VALU_DEP_3)
	v_cndmask_b32_e64 v100, v100, v43, s1
	v_cndmask_b32_e64 v102, v102, v42, s1
	v_cmp_eq_u32_e64 s1, 6, v101
	s_delay_alu instid0(VALU_DEP_3) | instskip(NEXT) | instid1(VALU_DEP_3)
	;; [unrolled: 8-line block ×4, first 2 shown]
	v_cndmask_b32_e32 v100, v100, v53, vcc_lo
	v_cndmask_b32_e32 v102, v102, v52, vcc_lo
	v_cmp_eq_u32_e32 vcc_lo, 11, v101
	s_delay_alu instid0(VALU_DEP_3) | instskip(NEXT) | instid1(VALU_DEP_3)
	v_cndmask_b32_e64 v100, v100, v55, s1
	v_cndmask_b32_e64 v104, v102, v54, s1
	ds_load_b64 v[102:103], v65
	v_add_nc_u32_e32 v65, 8, v65
	v_cmp_eq_u32_e64 s1, 12, v101
	v_cndmask_b32_e32 v100, v100, v57, vcc_lo
	v_cndmask_b32_e32 v104, v104, v56, vcc_lo
	v_cmp_eq_u32_e32 vcc_lo, 13, v101
	s_delay_alu instid0(VALU_DEP_3) | instskip(NEXT) | instid1(VALU_DEP_3)
	v_cndmask_b32_e64 v100, v100, v59, s1
	v_cndmask_b32_e64 v104, v104, v58, s1
	v_cmp_eq_u32_e64 s1, 14, v101
	s_delay_alu instid0(VALU_DEP_3) | instskip(NEXT) | instid1(VALU_DEP_3)
	v_cndmask_b32_e32 v100, v100, v61, vcc_lo
	v_cndmask_b32_e32 v104, v104, v60, vcc_lo
	v_cmp_eq_u32_e32 vcc_lo, 0, v64
	s_delay_alu instid0(VALU_DEP_3) | instskip(NEXT) | instid1(VALU_DEP_3)
	v_cndmask_b32_e64 v105, v100, v63, s1
	v_cndmask_b32_e64 v104, v104, v62, s1
	v_add_co_u32 v101, s1, v101, 1
	s_delay_alu instid0(VALU_DEP_1) | instskip(SKIP_1) | instid1(VALU_DEP_3)
	v_add_co_ci_u32_e64 v99, s1, 0, v99, s1
	s_waitcnt lgkmcnt(0)
	v_fma_f64 v[96:97], v[104:105], v[102:103], v[96:97]
	s_or_b32 s3, vcc_lo, s3
	s_delay_alu instid0(SALU_CYCLE_1)
	s_and_not1_b32 exec_lo, exec_lo, s3
	s_cbranch_execnz .LBB14_111
; %bb.112:
	s_or_b32 exec_lo, exec_lo, s3
.LBB14_113:
	s_delay_alu instid0(SALU_CYCLE_1)
	s_or_b32 exec_lo, exec_lo, s2
.LBB14_114:
	s_delay_alu instid0(SALU_CYCLE_1)
	s_or_b32 exec_lo, exec_lo, s5
	v_mov_b32_e32 v46, 0
	ds_load_b64 v[46:47], v46 offset:48
	s_waitcnt lgkmcnt(0)
	v_mul_f64 v[46:47], v[96:97], v[46:47]
.LBB14_115:
	s_or_b32 exec_lo, exec_lo, s4
	v_cmp_lt_u32_e64 s2, 5, v0
	ds_store_b64 v98, v[44:45]
	s_waitcnt lgkmcnt(0)
	s_barrier
	buffer_gl0_inv
	s_and_saveexec_b32 s3, s2
	s_cbranch_execz .LBB14_131
; %bb.116:
	s_and_not1_b32 vcc_lo, exec_lo, s15
	s_cbranch_vccnz .LBB14_118
; %bb.117:
	v_cmp_eq_u32_e32 vcc_lo, 1, v0
	v_dual_cndmask_b32 v96, v35, v37 :: v_dual_cndmask_b32 v97, v34, v36
	v_cmp_eq_u32_e32 vcc_lo, 2, v0
	s_delay_alu instid0(VALU_DEP_2) | instskip(SKIP_1) | instid1(VALU_DEP_2)
	v_dual_cndmask_b32 v96, v96, v39 :: v_dual_cndmask_b32 v97, v97, v38
	v_cmp_eq_u32_e32 vcc_lo, 3, v0
	v_dual_cndmask_b32 v96, v96, v41 :: v_dual_cndmask_b32 v97, v97, v40
	v_cmp_eq_u32_e32 vcc_lo, 4, v0
	s_delay_alu instid0(VALU_DEP_2) | instskip(SKIP_1) | instid1(VALU_DEP_2)
	v_dual_cndmask_b32 v96, v96, v43 :: v_dual_cndmask_b32 v97, v97, v42
	;; [unrolled: 5-line block ×5, first 2 shown]
	v_cmp_eq_u32_e32 vcc_lo, 11, v0
	v_dual_cndmask_b32 v99, v96, v57 :: v_dual_cndmask_b32 v100, v97, v56
	v_cmp_eq_u32_e32 vcc_lo, 12, v0
	ds_load_b64 v[96:97], v98
	v_dual_cndmask_b32 v99, v99, v59 :: v_dual_cndmask_b32 v100, v100, v58
	v_cmp_eq_u32_e32 vcc_lo, 13, v0
	s_delay_alu instid0(VALU_DEP_2) | instskip(NEXT) | instid1(VALU_DEP_3)
	v_cndmask_b32_e32 v99, v99, v61, vcc_lo
	v_cndmask_b32_e32 v101, v100, v60, vcc_lo
	v_cmp_eq_u32_e32 vcc_lo, 14, v0
	s_delay_alu instid0(VALU_DEP_2) | instskip(SKIP_1) | instid1(VALU_DEP_1)
	v_dual_cndmask_b32 v100, v99, v63 :: v_dual_cndmask_b32 v99, v101, v62
	s_waitcnt lgkmcnt(0)
	v_mul_f64 v[96:97], v[99:100], v[96:97]
	s_cbranch_execz .LBB14_119
	s_branch .LBB14_120
.LBB14_118:
                                        ; implicit-def: $vgpr96_vgpr97
.LBB14_119:
	ds_load_b64 v[96:97], v98
.LBB14_120:
	s_and_saveexec_b32 s4, s0
	s_cbranch_execz .LBB14_130
; %bb.121:
	v_add_nc_u32_e32 v100, -7, v0
	v_add_nc_u32_e32 v99, -6, v0
	s_delay_alu instid0(VALU_DEP_2)
	v_cmp_lt_u32_e32 vcc_lo, 6, v100
	v_mov_b32_e32 v100, 6
	s_and_saveexec_b32 s5, vcc_lo
	s_cbranch_execz .LBB14_125
; %bb.122:
	v_and_b32_e32 v100, -8, v99
	s_mov_b32 s6, 0
	s_mov_b64 s[0:1], 13
	s_movk_i32 s7, 0xb0
	s_delay_alu instid0(VALU_DEP_1)
	v_sub_nc_u32_e32 v101, 0, v100
.LBB14_123:                             ; =>This Inner Loop Header: Depth=1
	v_mov_b32_e32 v100, s7
	s_lshl_b32 s8, s0, 1
	s_delay_alu instid0(SALU_CYCLE_1)
	s_add_i32 m0, s8, -13
	v_movrels_b32_e32 v111, v34
	ds_load_b128 v[102:105], v100
	ds_load_b128 v[106:109], v100 offset:16
	s_add_i32 m0, s8, -14
	v_movrels_b32_e32 v110, v34
	s_add_i32 m0, s8, -11
	s_waitcnt lgkmcnt(1)
	s_delay_alu instid0(VALU_DEP_1) | instskip(SKIP_4) | instid1(VALU_DEP_1)
	v_fma_f64 v[96:97], v[110:111], v[102:103], v[96:97]
	v_movrels_b32_e32 v103, v34
	s_add_i32 m0, s8, -12
	v_movrels_b32_e32 v102, v34
	s_add_i32 m0, s8, -9
	v_fma_f64 v[96:97], v[102:103], v[104:105], v[96:97]
	v_movrels_b32_e32 v103, v34
	s_add_i32 m0, s8, -10
	v_movrels_b32_e32 v102, v34
	s_add_i32 m0, s8, -7
	s_waitcnt lgkmcnt(0)
	s_delay_alu instid0(VALU_DEP_1)
	v_fma_f64 v[96:97], v[102:103], v[106:107], v[96:97]
	v_movrels_b32_e32 v103, v34
	s_add_i32 m0, s8, -8
	v_movrels_b32_e32 v102, v34
	s_add_i32 m0, s8, -5
	v_movrels_b32_e32 v111, v34
	s_add_i32 m0, s8, -6
	v_movrels_b32_e32 v110, v34
	s_add_i32 m0, s8, -3
	v_fma_f64 v[96:97], v[102:103], v[108:109], v[96:97]
	ds_load_b128 v[102:105], v100 offset:32
	ds_load_b128 v[106:109], v100 offset:48
	s_waitcnt lgkmcnt(1)
	v_fma_f64 v[96:97], v[110:111], v[102:103], v[96:97]
	v_movrels_b32_e32 v103, v34
	s_add_i32 m0, s8, -4
	v_movrels_b32_e32 v102, v34
	s_add_i32 m0, s8, -1
	s_delay_alu instid0(VALU_DEP_1)
	v_fma_f64 v[96:97], v[102:103], v[104:105], v[96:97]
	v_movrels_b32_e32 v103, v34
	s_add_i32 m0, s8, -2
	s_add_u32 s0, s0, 8
	v_movrels_b32_e32 v102, v34
	s_mov_b32 m0, s8
	v_add_nc_u32_e32 v100, s0, v101
	s_addc_u32 s1, s1, 0
	s_add_i32 s8, s0, -7
	s_add_i32 s7, s7, 64
	s_delay_alu instid0(VALU_DEP_1)
	v_cmp_eq_u32_e32 vcc_lo, 13, v100
	v_mov_b32_e32 v100, s8
	s_or_b32 s6, vcc_lo, s6
	s_waitcnt lgkmcnt(0)
	v_fma_f64 v[96:97], v[102:103], v[106:107], v[96:97]
	v_movrels_b32_e32 v103, v35
	v_movrels_b32_e32 v102, v34
	s_delay_alu instid0(VALU_DEP_1)
	v_fma_f64 v[96:97], v[102:103], v[108:109], v[96:97]
	s_and_not1_b32 exec_lo, exec_lo, s6
	s_cbranch_execnz .LBB14_123
; %bb.124:
	s_or_b32 exec_lo, exec_lo, s6
.LBB14_125:
	s_delay_alu instid0(SALU_CYCLE_1) | instskip(SKIP_3) | instid1(VALU_DEP_1)
	s_or_b32 exec_lo, exec_lo, s5
	v_and_b32_e32 v64, 7, v99
	s_mov_b32 s5, 0
	s_mov_b32 s1, exec_lo
	v_cmpx_ne_u32_e32 0, v64
	s_cbranch_execz .LBB14_129
; %bb.126:
	v_lshl_add_u32 v65, v100, 3, 0x80
	v_mov_b32_e32 v99, 0
.LBB14_127:                             ; =>This Inner Loop Header: Depth=1
	v_cmp_eq_u32_e32 vcc_lo, 1, v100
	v_cmp_eq_u32_e64 s0, 2, v100
	v_dual_cndmask_b32 v101, v35, v37 :: v_dual_add_nc_u32 v64, -1, v64
	v_cndmask_b32_e32 v102, v34, v36, vcc_lo
	v_cmp_eq_u32_e32 vcc_lo, 3, v100
	s_delay_alu instid0(VALU_DEP_3) | instskip(NEXT) | instid1(VALU_DEP_3)
	v_cndmask_b32_e64 v101, v101, v39, s0
	v_cndmask_b32_e64 v102, v102, v38, s0
	v_cmp_eq_u32_e64 s0, 4, v100
	s_delay_alu instid0(VALU_DEP_2) | instskip(SKIP_1) | instid1(VALU_DEP_2)
	v_dual_cndmask_b32 v101, v101, v41 :: v_dual_cndmask_b32 v102, v102, v40
	v_cmp_eq_u32_e32 vcc_lo, 5, v100
	v_cndmask_b32_e64 v101, v101, v43, s0
	s_delay_alu instid0(VALU_DEP_3) | instskip(SKIP_1) | instid1(VALU_DEP_2)
	v_cndmask_b32_e64 v102, v102, v42, s0
	v_cmp_eq_u32_e64 s0, 6, v100
	v_dual_cndmask_b32 v101, v101, v45 :: v_dual_cndmask_b32 v102, v102, v44
	v_cmp_eq_u32_e32 vcc_lo, 7, v100
	s_delay_alu instid0(VALU_DEP_2) | instskip(NEXT) | instid1(VALU_DEP_3)
	v_cndmask_b32_e64 v101, v101, v47, s0
	v_cndmask_b32_e64 v102, v102, v46, s0
	v_cmp_eq_u32_e64 s0, 8, v100
	s_delay_alu instid0(VALU_DEP_2) | instskip(SKIP_1) | instid1(VALU_DEP_2)
	v_dual_cndmask_b32 v101, v101, v49 :: v_dual_cndmask_b32 v102, v102, v48
	v_cmp_eq_u32_e32 vcc_lo, 9, v100
	v_cndmask_b32_e64 v101, v101, v51, s0
	s_delay_alu instid0(VALU_DEP_3) | instskip(SKIP_1) | instid1(VALU_DEP_2)
	v_cndmask_b32_e64 v102, v102, v50, s0
	v_cmp_eq_u32_e64 s0, 10, v100
	v_dual_cndmask_b32 v101, v101, v53 :: v_dual_cndmask_b32 v102, v102, v52
	v_cmp_eq_u32_e32 vcc_lo, 11, v100
	s_delay_alu instid0(VALU_DEP_2) | instskip(NEXT) | instid1(VALU_DEP_3)
	v_cndmask_b32_e64 v103, v101, v55, s0
	v_cndmask_b32_e64 v104, v102, v54, s0
	ds_load_b64 v[101:102], v65
	v_cmp_eq_u32_e64 s0, 12, v100
	v_add_nc_u32_e32 v65, 8, v65
	v_dual_cndmask_b32 v103, v103, v57 :: v_dual_cndmask_b32 v104, v104, v56
	v_cmp_eq_u32_e32 vcc_lo, 13, v100
	s_delay_alu instid0(VALU_DEP_2) | instskip(NEXT) | instid1(VALU_DEP_3)
	v_cndmask_b32_e64 v103, v103, v59, s0
	v_cndmask_b32_e64 v104, v104, v58, s0
	v_cmp_eq_u32_e64 s0, 14, v100
	s_delay_alu instid0(VALU_DEP_3) | instskip(NEXT) | instid1(VALU_DEP_3)
	v_cndmask_b32_e32 v103, v103, v61, vcc_lo
	v_cndmask_b32_e32 v105, v104, v60, vcc_lo
	v_cmp_eq_u32_e32 vcc_lo, 0, v64
	s_delay_alu instid0(VALU_DEP_3) | instskip(NEXT) | instid1(VALU_DEP_3)
	v_cndmask_b32_e64 v104, v103, v63, s0
	v_cndmask_b32_e64 v103, v105, v62, s0
	v_add_co_u32 v100, s0, v100, 1
	s_delay_alu instid0(VALU_DEP_1) | instskip(SKIP_1) | instid1(VALU_DEP_3)
	v_add_co_ci_u32_e64 v99, s0, 0, v99, s0
	s_waitcnt lgkmcnt(0)
	v_fma_f64 v[96:97], v[103:104], v[101:102], v[96:97]
	s_or_b32 s5, vcc_lo, s5
	s_delay_alu instid0(SALU_CYCLE_1)
	s_and_not1_b32 exec_lo, exec_lo, s5
	s_cbranch_execnz .LBB14_127
; %bb.128:
	s_or_b32 exec_lo, exec_lo, s5
.LBB14_129:
	s_delay_alu instid0(SALU_CYCLE_1)
	s_or_b32 exec_lo, exec_lo, s1
.LBB14_130:
	s_delay_alu instid0(SALU_CYCLE_1)
	s_or_b32 exec_lo, exec_lo, s4
	v_mov_b32_e32 v44, 0
	ds_load_b64 v[44:45], v44 offset:40
	s_waitcnt lgkmcnt(0)
	v_mul_f64 v[44:45], v[96:97], v[44:45]
.LBB14_131:
	s_or_b32 exec_lo, exec_lo, s3
	v_cmp_lt_u32_e64 s1, 4, v0
	ds_store_b64 v98, v[42:43]
	s_waitcnt lgkmcnt(0)
	s_barrier
	buffer_gl0_inv
	s_and_saveexec_b32 s4, s1
	s_cbranch_execz .LBB14_147
; %bb.132:
	s_and_not1_b32 vcc_lo, exec_lo, s15
	s_cbranch_vccnz .LBB14_134
; %bb.133:
	v_cmp_eq_u32_e32 vcc_lo, 1, v0
	v_dual_cndmask_b32 v96, v35, v37 :: v_dual_cndmask_b32 v97, v34, v36
	v_cmp_eq_u32_e32 vcc_lo, 2, v0
	s_delay_alu instid0(VALU_DEP_2) | instskip(SKIP_1) | instid1(VALU_DEP_2)
	v_dual_cndmask_b32 v96, v96, v39 :: v_dual_cndmask_b32 v97, v97, v38
	v_cmp_eq_u32_e32 vcc_lo, 3, v0
	v_dual_cndmask_b32 v96, v96, v41 :: v_dual_cndmask_b32 v97, v97, v40
	v_cmp_eq_u32_e32 vcc_lo, 4, v0
	s_delay_alu instid0(VALU_DEP_2) | instskip(SKIP_1) | instid1(VALU_DEP_2)
	v_dual_cndmask_b32 v96, v96, v43 :: v_dual_cndmask_b32 v97, v97, v42
	;; [unrolled: 5-line block ×5, first 2 shown]
	v_cmp_eq_u32_e32 vcc_lo, 11, v0
	v_dual_cndmask_b32 v99, v96, v57 :: v_dual_cndmask_b32 v100, v97, v56
	v_cmp_eq_u32_e32 vcc_lo, 12, v0
	ds_load_b64 v[96:97], v98
	v_dual_cndmask_b32 v99, v99, v59 :: v_dual_cndmask_b32 v100, v100, v58
	v_cmp_eq_u32_e32 vcc_lo, 13, v0
	s_delay_alu instid0(VALU_DEP_2) | instskip(NEXT) | instid1(VALU_DEP_3)
	v_cndmask_b32_e32 v99, v99, v61, vcc_lo
	v_cndmask_b32_e32 v101, v100, v60, vcc_lo
	v_cmp_eq_u32_e32 vcc_lo, 14, v0
	s_delay_alu instid0(VALU_DEP_2) | instskip(SKIP_1) | instid1(VALU_DEP_1)
	v_dual_cndmask_b32 v100, v99, v63 :: v_dual_cndmask_b32 v99, v101, v62
	s_waitcnt lgkmcnt(0)
	v_mul_f64 v[96:97], v[99:100], v[96:97]
	s_cbranch_execz .LBB14_135
	s_branch .LBB14_136
.LBB14_134:
                                        ; implicit-def: $vgpr96_vgpr97
.LBB14_135:
	ds_load_b64 v[96:97], v98
.LBB14_136:
	s_and_saveexec_b32 s5, s2
	s_cbranch_execz .LBB14_146
; %bb.137:
	v_dual_mov_b32 v101, 5 :: v_dual_add_nc_u32 v100, -6, v0
	v_add_nc_u32_e32 v99, -5, v0
	s_mov_b32 s0, exec_lo
	s_delay_alu instid0(VALU_DEP_2)
	v_cmpx_lt_u32_e32 6, v100
	s_cbranch_execz .LBB14_141
; %bb.138:
	s_delay_alu instid0(VALU_DEP_2) | instskip(SKIP_3) | instid1(VALU_DEP_1)
	v_and_b32_e32 v100, -8, v99
	s_mov_b32 s6, 0
	s_mov_b64 s[2:3], 12
	s_movk_i32 s7, 0xa8
	v_sub_nc_u32_e32 v100, 0, v100
.LBB14_139:                             ; =>This Inner Loop Header: Depth=1
	v_mov_b32_e32 v111, s7
	s_lshl_b32 s8, s2, 1
	s_delay_alu instid0(SALU_CYCLE_1)
	s_add_i32 m0, s8, -13
	v_movrels_b32_e32 v110, v34
	ds_load_2addr_b64 v[101:104], v111 offset1:1
	ds_load_2addr_b64 v[105:108], v111 offset0:2 offset1:3
	s_add_i32 m0, s8, -14
	v_movrels_b32_e32 v109, v34
	s_add_i32 m0, s8, -11
	s_waitcnt lgkmcnt(1)
	s_delay_alu instid0(VALU_DEP_1) | instskip(SKIP_4) | instid1(VALU_DEP_1)
	v_fma_f64 v[96:97], v[109:110], v[101:102], v[96:97]
	v_movrels_b32_e32 v102, v34
	s_add_i32 m0, s8, -12
	v_movrels_b32_e32 v101, v34
	s_add_i32 m0, s8, -9
	v_fma_f64 v[96:97], v[101:102], v[103:104], v[96:97]
	v_movrels_b32_e32 v102, v34
	s_add_i32 m0, s8, -10
	v_movrels_b32_e32 v101, v34
	s_add_i32 m0, s8, -7
	s_waitcnt lgkmcnt(0)
	s_delay_alu instid0(VALU_DEP_1)
	v_fma_f64 v[96:97], v[101:102], v[105:106], v[96:97]
	v_movrels_b32_e32 v102, v34
	s_add_i32 m0, s8, -8
	v_movrels_b32_e32 v101, v34
	s_add_i32 m0, s8, -5
	;; [unrolled: 2-line block ×4, first 2 shown]
	v_fma_f64 v[96:97], v[101:102], v[107:108], v[96:97]
	ds_load_2addr_b64 v[101:104], v111 offset0:4 offset1:5
	ds_load_2addr_b64 v[105:108], v111 offset0:6 offset1:7
	s_waitcnt lgkmcnt(1)
	v_fma_f64 v[96:97], v[109:110], v[101:102], v[96:97]
	v_movrels_b32_e32 v102, v34
	s_add_i32 m0, s8, -4
	v_movrels_b32_e32 v101, v34
	s_add_i32 m0, s8, -1
	s_delay_alu instid0(VALU_DEP_1)
	v_fma_f64 v[96:97], v[101:102], v[103:104], v[96:97]
	v_movrels_b32_e32 v102, v34
	s_add_i32 m0, s8, -2
	s_add_u32 s2, s2, 8
	v_movrels_b32_e32 v101, v34
	s_mov_b32 m0, s8
	s_addc_u32 s3, s3, 0
	s_add_i32 s8, s2, -7
	s_add_i32 s7, s7, 64
	s_waitcnt lgkmcnt(0)
	s_delay_alu instid0(VALU_DEP_3) | instskip(SKIP_2) | instid1(VALU_DEP_1)
	v_fma_f64 v[96:97], v[101:102], v[105:106], v[96:97]
	v_movrels_b32_e32 v102, v35
	v_movrels_b32_e32 v101, v34
	v_fma_f64 v[96:97], v[101:102], v[107:108], v[96:97]
	v_add_nc_u32_e32 v101, s2, v100
	s_delay_alu instid0(VALU_DEP_1) | instskip(SKIP_2) | instid1(SALU_CYCLE_1)
	v_cmp_eq_u32_e32 vcc_lo, 12, v101
	v_mov_b32_e32 v101, s8
	s_or_b32 s6, vcc_lo, s6
	s_and_not1_b32 exec_lo, exec_lo, s6
	s_cbranch_execnz .LBB14_139
; %bb.140:
	s_or_b32 exec_lo, exec_lo, s6
.LBB14_141:
	s_delay_alu instid0(SALU_CYCLE_1) | instskip(SKIP_3) | instid1(VALU_DEP_1)
	s_or_b32 exec_lo, exec_lo, s0
	v_and_b32_e32 v64, 7, v99
	s_mov_b32 s3, 0
	s_mov_b32 s2, exec_lo
	v_cmpx_ne_u32_e32 0, v64
	s_cbranch_execz .LBB14_145
; %bb.142:
	v_lshl_add_u32 v65, v101, 3, 0x80
	v_mov_b32_e32 v99, 0
.LBB14_143:                             ; =>This Inner Loop Header: Depth=1
	v_cmp_eq_u32_e32 vcc_lo, 1, v101
	v_cmp_eq_u32_e64 s0, 2, v101
	v_add_nc_u32_e32 v64, -1, v64
	v_cndmask_b32_e32 v100, v35, v37, vcc_lo
	v_cndmask_b32_e32 v102, v34, v36, vcc_lo
	v_cmp_eq_u32_e32 vcc_lo, 3, v101
	s_delay_alu instid0(VALU_DEP_3) | instskip(NEXT) | instid1(VALU_DEP_3)
	v_cndmask_b32_e64 v100, v100, v39, s0
	v_cndmask_b32_e64 v102, v102, v38, s0
	v_cmp_eq_u32_e64 s0, 4, v101
	s_delay_alu instid0(VALU_DEP_3) | instskip(NEXT) | instid1(VALU_DEP_3)
	v_cndmask_b32_e32 v100, v100, v41, vcc_lo
	v_cndmask_b32_e32 v102, v102, v40, vcc_lo
	v_cmp_eq_u32_e32 vcc_lo, 5, v101
	s_delay_alu instid0(VALU_DEP_3) | instskip(NEXT) | instid1(VALU_DEP_3)
	v_cndmask_b32_e64 v100, v100, v43, s0
	v_cndmask_b32_e64 v102, v102, v42, s0
	v_cmp_eq_u32_e64 s0, 6, v101
	s_delay_alu instid0(VALU_DEP_3) | instskip(NEXT) | instid1(VALU_DEP_3)
	;; [unrolled: 8-line block ×4, first 2 shown]
	v_cndmask_b32_e32 v100, v100, v53, vcc_lo
	v_cndmask_b32_e32 v102, v102, v52, vcc_lo
	v_cmp_eq_u32_e32 vcc_lo, 11, v101
	s_delay_alu instid0(VALU_DEP_3) | instskip(NEXT) | instid1(VALU_DEP_3)
	v_cndmask_b32_e64 v100, v100, v55, s0
	v_cndmask_b32_e64 v104, v102, v54, s0
	ds_load_b64 v[102:103], v65
	v_add_nc_u32_e32 v65, 8, v65
	v_cmp_eq_u32_e64 s0, 12, v101
	v_cndmask_b32_e32 v100, v100, v57, vcc_lo
	v_cndmask_b32_e32 v104, v104, v56, vcc_lo
	v_cmp_eq_u32_e32 vcc_lo, 13, v101
	s_delay_alu instid0(VALU_DEP_3) | instskip(NEXT) | instid1(VALU_DEP_3)
	v_cndmask_b32_e64 v100, v100, v59, s0
	v_cndmask_b32_e64 v104, v104, v58, s0
	v_cmp_eq_u32_e64 s0, 14, v101
	s_delay_alu instid0(VALU_DEP_3) | instskip(NEXT) | instid1(VALU_DEP_3)
	v_cndmask_b32_e32 v100, v100, v61, vcc_lo
	v_cndmask_b32_e32 v104, v104, v60, vcc_lo
	v_cmp_eq_u32_e32 vcc_lo, 0, v64
	s_delay_alu instid0(VALU_DEP_3) | instskip(NEXT) | instid1(VALU_DEP_3)
	v_cndmask_b32_e64 v105, v100, v63, s0
	v_cndmask_b32_e64 v104, v104, v62, s0
	v_add_co_u32 v101, s0, v101, 1
	s_delay_alu instid0(VALU_DEP_1) | instskip(SKIP_1) | instid1(VALU_DEP_3)
	v_add_co_ci_u32_e64 v99, s0, 0, v99, s0
	s_waitcnt lgkmcnt(0)
	v_fma_f64 v[96:97], v[104:105], v[102:103], v[96:97]
	s_or_b32 s3, vcc_lo, s3
	s_delay_alu instid0(SALU_CYCLE_1)
	s_and_not1_b32 exec_lo, exec_lo, s3
	s_cbranch_execnz .LBB14_143
; %bb.144:
	s_or_b32 exec_lo, exec_lo, s3
.LBB14_145:
	s_delay_alu instid0(SALU_CYCLE_1)
	s_or_b32 exec_lo, exec_lo, s2
.LBB14_146:
	s_delay_alu instid0(SALU_CYCLE_1)
	s_or_b32 exec_lo, exec_lo, s5
	v_mov_b32_e32 v42, 0
	ds_load_b64 v[42:43], v42 offset:32
	s_waitcnt lgkmcnt(0)
	v_mul_f64 v[42:43], v[96:97], v[42:43]
.LBB14_147:
	s_or_b32 exec_lo, exec_lo, s4
	v_cmp_lt_u32_e64 s0, 3, v0
	ds_store_b64 v98, v[40:41]
	s_waitcnt lgkmcnt(0)
	s_barrier
	buffer_gl0_inv
	s_and_saveexec_b32 s4, s0
	s_cbranch_execz .LBB14_163
; %bb.148:
	s_and_not1_b32 vcc_lo, exec_lo, s15
	s_cbranch_vccnz .LBB14_150
; %bb.149:
	v_cmp_eq_u32_e32 vcc_lo, 1, v0
	v_dual_cndmask_b32 v96, v35, v37 :: v_dual_cndmask_b32 v97, v34, v36
	v_cmp_eq_u32_e32 vcc_lo, 2, v0
	s_delay_alu instid0(VALU_DEP_2) | instskip(SKIP_1) | instid1(VALU_DEP_2)
	v_dual_cndmask_b32 v96, v96, v39 :: v_dual_cndmask_b32 v97, v97, v38
	v_cmp_eq_u32_e32 vcc_lo, 3, v0
	v_dual_cndmask_b32 v96, v96, v41 :: v_dual_cndmask_b32 v97, v97, v40
	v_cmp_eq_u32_e32 vcc_lo, 4, v0
	s_delay_alu instid0(VALU_DEP_2) | instskip(SKIP_1) | instid1(VALU_DEP_2)
	v_dual_cndmask_b32 v96, v96, v43 :: v_dual_cndmask_b32 v97, v97, v42
	;; [unrolled: 5-line block ×5, first 2 shown]
	v_cmp_eq_u32_e32 vcc_lo, 11, v0
	v_dual_cndmask_b32 v99, v96, v57 :: v_dual_cndmask_b32 v100, v97, v56
	v_cmp_eq_u32_e32 vcc_lo, 12, v0
	ds_load_b64 v[96:97], v98
	v_dual_cndmask_b32 v99, v99, v59 :: v_dual_cndmask_b32 v100, v100, v58
	v_cmp_eq_u32_e32 vcc_lo, 13, v0
	s_delay_alu instid0(VALU_DEP_2) | instskip(NEXT) | instid1(VALU_DEP_3)
	v_cndmask_b32_e32 v99, v99, v61, vcc_lo
	v_cndmask_b32_e32 v101, v100, v60, vcc_lo
	v_cmp_eq_u32_e32 vcc_lo, 14, v0
	s_delay_alu instid0(VALU_DEP_2) | instskip(SKIP_1) | instid1(VALU_DEP_1)
	v_dual_cndmask_b32 v100, v99, v63 :: v_dual_cndmask_b32 v99, v101, v62
	s_waitcnt lgkmcnt(0)
	v_mul_f64 v[96:97], v[99:100], v[96:97]
	s_cbranch_execz .LBB14_151
	s_branch .LBB14_152
.LBB14_150:
                                        ; implicit-def: $vgpr96_vgpr97
.LBB14_151:
	ds_load_b64 v[96:97], v98
.LBB14_152:
	s_and_saveexec_b32 s5, s1
	s_cbranch_execz .LBB14_162
; %bb.153:
	v_dual_mov_b32 v101, 4 :: v_dual_add_nc_u32 v100, -5, v0
	v_add_nc_u32_e32 v99, -4, v0
	s_mov_b32 s1, exec_lo
	s_delay_alu instid0(VALU_DEP_2)
	v_cmpx_lt_u32_e32 6, v100
	s_cbranch_execz .LBB14_157
; %bb.154:
	s_delay_alu instid0(VALU_DEP_2) | instskip(SKIP_3) | instid1(VALU_DEP_1)
	v_and_b32_e32 v100, -8, v99
	s_mov_b32 s6, 0
	s_mov_b64 s[2:3], 5
	s_movk_i32 s7, 0xa0
	v_sub_nc_u32_e32 v100, 0, v100
.LBB14_155:                             ; =>This Inner Loop Header: Depth=1
	v_mov_b32_e32 v111, s7
	s_lshl_b32 s8, s2, 1
	s_delay_alu instid0(SALU_CYCLE_1)
	s_add_i32 m0, s8, -1
	s_add_i32 s9, s8, 3
	ds_load_b128 v[101:104], v111
	ds_load_b128 v[105:108], v111 offset:16
	v_movrels_b32_e32 v110, v34
	s_add_i32 m0, s8, -2
	s_add_i32 s10, s8, 2
	v_movrels_b32_e32 v109, v34
	s_mov_b32 m0, s8
	s_waitcnt lgkmcnt(1)
	s_delay_alu instid0(VALU_DEP_1) | instskip(SKIP_4) | instid1(VALU_DEP_1)
	v_fma_f64 v[96:97], v[109:110], v[101:102], v[96:97]
	v_movrels_b32_e32 v102, v35
	v_movrels_b32_e32 v101, v34
	s_mov_b32 m0, s9
	s_add_i32 s9, s8, 5
	v_fma_f64 v[96:97], v[101:102], v[103:104], v[96:97]
	v_movrels_b32_e32 v102, v34
	s_mov_b32 m0, s10
	s_add_i32 s10, s8, 4
	v_movrels_b32_e32 v101, v34
	s_mov_b32 m0, s9
	s_add_i32 s9, s8, 7
	s_waitcnt lgkmcnt(0)
	s_delay_alu instid0(VALU_DEP_1)
	v_fma_f64 v[96:97], v[101:102], v[105:106], v[96:97]
	v_movrels_b32_e32 v102, v34
	s_mov_b32 m0, s10
	s_add_i32 s10, s8, 6
	v_movrels_b32_e32 v101, v34
	s_mov_b32 m0, s9
	s_add_i32 s9, s8, 9
	;; [unrolled: 3-line block ×4, first 2 shown]
	v_fma_f64 v[96:97], v[101:102], v[107:108], v[96:97]
	ds_load_b128 v[101:104], v111 offset:32
	ds_load_b128 v[105:108], v111 offset:48
	s_waitcnt lgkmcnt(1)
	v_fma_f64 v[96:97], v[109:110], v[101:102], v[96:97]
	v_movrels_b32_e32 v102, v34
	s_mov_b32 m0, s10
	s_add_i32 s10, s8, 10
	v_movrels_b32_e32 v101, v34
	s_mov_b32 m0, s9
	s_add_i32 s9, s8, 13
	s_add_i32 s8, s8, 12
	s_add_u32 s2, s2, 8
	s_addc_u32 s3, s3, 0
	s_add_i32 s7, s7, 64
	s_delay_alu instid0(VALU_DEP_3)
	v_fma_f64 v[96:97], v[101:102], v[103:104], v[96:97]
	v_movrels_b32_e32 v102, v34
	s_mov_b32 m0, s10
	v_movrels_b32_e32 v101, v34
	s_mov_b32 m0, s9
	s_waitcnt lgkmcnt(0)
	s_delay_alu instid0(VALU_DEP_1) | instskip(SKIP_4) | instid1(VALU_DEP_1)
	v_fma_f64 v[96:97], v[101:102], v[105:106], v[96:97]
	v_movrels_b32_e32 v102, v34
	s_mov_b32 m0, s8
	s_add_i32 s8, s2, -1
	v_movrels_b32_e32 v101, v34
	v_fma_f64 v[96:97], v[101:102], v[107:108], v[96:97]
	v_add_nc_u32_e32 v101, s2, v100
	s_delay_alu instid0(VALU_DEP_1) | instskip(SKIP_2) | instid1(SALU_CYCLE_1)
	v_cmp_eq_u32_e32 vcc_lo, 5, v101
	v_mov_b32_e32 v101, s8
	s_or_b32 s6, vcc_lo, s6
	s_and_not1_b32 exec_lo, exec_lo, s6
	s_cbranch_execnz .LBB14_155
; %bb.156:
	s_or_b32 exec_lo, exec_lo, s6
.LBB14_157:
	s_delay_alu instid0(SALU_CYCLE_1) | instskip(SKIP_3) | instid1(VALU_DEP_1)
	s_or_b32 exec_lo, exec_lo, s1
	v_and_b32_e32 v64, 7, v99
	s_mov_b32 s3, 0
	s_mov_b32 s2, exec_lo
	v_cmpx_ne_u32_e32 0, v64
	s_cbranch_execz .LBB14_161
; %bb.158:
	v_lshl_add_u32 v65, v101, 3, 0x80
	v_mov_b32_e32 v99, 0
.LBB14_159:                             ; =>This Inner Loop Header: Depth=1
	v_cmp_eq_u32_e32 vcc_lo, 1, v101
	v_cmp_eq_u32_e64 s1, 2, v101
	v_add_nc_u32_e32 v64, -1, v64
	v_cndmask_b32_e32 v100, v35, v37, vcc_lo
	v_cndmask_b32_e32 v102, v34, v36, vcc_lo
	v_cmp_eq_u32_e32 vcc_lo, 3, v101
	s_delay_alu instid0(VALU_DEP_3) | instskip(NEXT) | instid1(VALU_DEP_3)
	v_cndmask_b32_e64 v100, v100, v39, s1
	v_cndmask_b32_e64 v102, v102, v38, s1
	v_cmp_eq_u32_e64 s1, 4, v101
	s_delay_alu instid0(VALU_DEP_3) | instskip(NEXT) | instid1(VALU_DEP_3)
	v_cndmask_b32_e32 v100, v100, v41, vcc_lo
	v_cndmask_b32_e32 v102, v102, v40, vcc_lo
	v_cmp_eq_u32_e32 vcc_lo, 5, v101
	s_delay_alu instid0(VALU_DEP_3) | instskip(NEXT) | instid1(VALU_DEP_3)
	v_cndmask_b32_e64 v100, v100, v43, s1
	v_cndmask_b32_e64 v102, v102, v42, s1
	v_cmp_eq_u32_e64 s1, 6, v101
	s_delay_alu instid0(VALU_DEP_3) | instskip(NEXT) | instid1(VALU_DEP_3)
	;; [unrolled: 8-line block ×4, first 2 shown]
	v_cndmask_b32_e32 v100, v100, v53, vcc_lo
	v_cndmask_b32_e32 v102, v102, v52, vcc_lo
	v_cmp_eq_u32_e32 vcc_lo, 11, v101
	s_delay_alu instid0(VALU_DEP_3) | instskip(NEXT) | instid1(VALU_DEP_3)
	v_cndmask_b32_e64 v100, v100, v55, s1
	v_cndmask_b32_e64 v104, v102, v54, s1
	ds_load_b64 v[102:103], v65
	v_add_nc_u32_e32 v65, 8, v65
	v_cmp_eq_u32_e64 s1, 12, v101
	v_cndmask_b32_e32 v100, v100, v57, vcc_lo
	v_cndmask_b32_e32 v104, v104, v56, vcc_lo
	v_cmp_eq_u32_e32 vcc_lo, 13, v101
	s_delay_alu instid0(VALU_DEP_3) | instskip(NEXT) | instid1(VALU_DEP_3)
	v_cndmask_b32_e64 v100, v100, v59, s1
	v_cndmask_b32_e64 v104, v104, v58, s1
	v_cmp_eq_u32_e64 s1, 14, v101
	s_delay_alu instid0(VALU_DEP_3) | instskip(NEXT) | instid1(VALU_DEP_3)
	v_cndmask_b32_e32 v100, v100, v61, vcc_lo
	v_cndmask_b32_e32 v104, v104, v60, vcc_lo
	v_cmp_eq_u32_e32 vcc_lo, 0, v64
	s_delay_alu instid0(VALU_DEP_3) | instskip(NEXT) | instid1(VALU_DEP_3)
	v_cndmask_b32_e64 v105, v100, v63, s1
	v_cndmask_b32_e64 v104, v104, v62, s1
	v_add_co_u32 v101, s1, v101, 1
	s_delay_alu instid0(VALU_DEP_1) | instskip(SKIP_1) | instid1(VALU_DEP_3)
	v_add_co_ci_u32_e64 v99, s1, 0, v99, s1
	s_waitcnt lgkmcnt(0)
	v_fma_f64 v[96:97], v[104:105], v[102:103], v[96:97]
	s_or_b32 s3, vcc_lo, s3
	s_delay_alu instid0(SALU_CYCLE_1)
	s_and_not1_b32 exec_lo, exec_lo, s3
	s_cbranch_execnz .LBB14_159
; %bb.160:
	s_or_b32 exec_lo, exec_lo, s3
.LBB14_161:
	s_delay_alu instid0(SALU_CYCLE_1)
	s_or_b32 exec_lo, exec_lo, s2
.LBB14_162:
	s_delay_alu instid0(SALU_CYCLE_1)
	s_or_b32 exec_lo, exec_lo, s5
	v_mov_b32_e32 v40, 0
	ds_load_b64 v[40:41], v40 offset:24
	s_waitcnt lgkmcnt(0)
	v_mul_f64 v[40:41], v[96:97], v[40:41]
.LBB14_163:
	s_or_b32 exec_lo, exec_lo, s4
	v_cmp_lt_u32_e64 s1, 2, v0
	ds_store_b64 v98, v[38:39]
	s_waitcnt lgkmcnt(0)
	s_barrier
	buffer_gl0_inv
	s_and_saveexec_b32 s4, s1
	s_cbranch_execz .LBB14_179
; %bb.164:
	s_and_not1_b32 vcc_lo, exec_lo, s15
	s_cbranch_vccnz .LBB14_166
; %bb.165:
	v_cmp_eq_u32_e32 vcc_lo, 1, v0
	v_dual_cndmask_b32 v96, v35, v37 :: v_dual_cndmask_b32 v97, v34, v36
	v_cmp_eq_u32_e32 vcc_lo, 2, v0
	s_delay_alu instid0(VALU_DEP_2) | instskip(SKIP_1) | instid1(VALU_DEP_2)
	v_dual_cndmask_b32 v96, v96, v39 :: v_dual_cndmask_b32 v97, v97, v38
	v_cmp_eq_u32_e32 vcc_lo, 3, v0
	v_dual_cndmask_b32 v96, v96, v41 :: v_dual_cndmask_b32 v97, v97, v40
	v_cmp_eq_u32_e32 vcc_lo, 4, v0
	s_delay_alu instid0(VALU_DEP_2) | instskip(SKIP_1) | instid1(VALU_DEP_2)
	v_dual_cndmask_b32 v96, v96, v43 :: v_dual_cndmask_b32 v97, v97, v42
	v_cmp_eq_u32_e32 vcc_lo, 5, v0
	v_dual_cndmask_b32 v96, v96, v45 :: v_dual_cndmask_b32 v97, v97, v44
	v_cmp_eq_u32_e32 vcc_lo, 6, v0
	s_delay_alu instid0(VALU_DEP_2) | instskip(SKIP_1) | instid1(VALU_DEP_2)
	v_dual_cndmask_b32 v96, v96, v47 :: v_dual_cndmask_b32 v97, v97, v46
	v_cmp_eq_u32_e32 vcc_lo, 7, v0
	v_dual_cndmask_b32 v96, v96, v49 :: v_dual_cndmask_b32 v97, v97, v48
	v_cmp_eq_u32_e32 vcc_lo, 8, v0
	s_delay_alu instid0(VALU_DEP_2) | instskip(SKIP_1) | instid1(VALU_DEP_2)
	v_dual_cndmask_b32 v96, v96, v51 :: v_dual_cndmask_b32 v97, v97, v50
	v_cmp_eq_u32_e32 vcc_lo, 9, v0
	v_dual_cndmask_b32 v96, v96, v53 :: v_dual_cndmask_b32 v97, v97, v52
	v_cmp_eq_u32_e32 vcc_lo, 10, v0
	s_delay_alu instid0(VALU_DEP_2) | instskip(SKIP_1) | instid1(VALU_DEP_2)
	v_dual_cndmask_b32 v96, v96, v55 :: v_dual_cndmask_b32 v97, v97, v54
	v_cmp_eq_u32_e32 vcc_lo, 11, v0
	v_dual_cndmask_b32 v99, v96, v57 :: v_dual_cndmask_b32 v100, v97, v56
	v_cmp_eq_u32_e32 vcc_lo, 12, v0
	ds_load_b64 v[96:97], v98
	v_dual_cndmask_b32 v99, v99, v59 :: v_dual_cndmask_b32 v100, v100, v58
	v_cmp_eq_u32_e32 vcc_lo, 13, v0
	s_delay_alu instid0(VALU_DEP_2) | instskip(NEXT) | instid1(VALU_DEP_3)
	v_cndmask_b32_e32 v99, v99, v61, vcc_lo
	v_cndmask_b32_e32 v101, v100, v60, vcc_lo
	v_cmp_eq_u32_e32 vcc_lo, 14, v0
	s_delay_alu instid0(VALU_DEP_2) | instskip(SKIP_1) | instid1(VALU_DEP_1)
	v_dual_cndmask_b32 v100, v99, v63 :: v_dual_cndmask_b32 v99, v101, v62
	s_waitcnt lgkmcnt(0)
	v_mul_f64 v[96:97], v[99:100], v[96:97]
	s_cbranch_execz .LBB14_167
	s_branch .LBB14_168
.LBB14_166:
                                        ; implicit-def: $vgpr96_vgpr97
.LBB14_167:
	ds_load_b64 v[96:97], v98
.LBB14_168:
	s_and_saveexec_b32 s5, s0
	s_cbranch_execz .LBB14_178
; %bb.169:
	v_dual_mov_b32 v101, 3 :: v_dual_add_nc_u32 v100, -4, v0
	v_add_nc_u32_e32 v99, -3, v0
	s_mov_b32 s0, exec_lo
	s_delay_alu instid0(VALU_DEP_2)
	v_cmpx_lt_u32_e32 6, v100
	s_cbranch_execz .LBB14_173
; %bb.170:
	s_delay_alu instid0(VALU_DEP_2) | instskip(SKIP_3) | instid1(VALU_DEP_1)
	v_and_b32_e32 v100, -8, v99
	s_mov_b32 s6, 0
	s_mov_b64 s[2:3], 10
	s_movk_i32 s7, 0x98
	v_sub_nc_u32_e32 v100, 0, v100
.LBB14_171:                             ; =>This Inner Loop Header: Depth=1
	v_mov_b32_e32 v111, s7
	s_lshl_b32 s8, s2, 1
	s_delay_alu instid0(SALU_CYCLE_1)
	s_add_i32 m0, s8, -13
	v_movrels_b32_e32 v110, v34
	ds_load_2addr_b64 v[101:104], v111 offset1:1
	ds_load_2addr_b64 v[105:108], v111 offset0:2 offset1:3
	s_add_i32 m0, s8, -14
	v_movrels_b32_e32 v109, v34
	s_add_i32 m0, s8, -11
	s_waitcnt lgkmcnt(1)
	s_delay_alu instid0(VALU_DEP_1) | instskip(SKIP_4) | instid1(VALU_DEP_1)
	v_fma_f64 v[96:97], v[109:110], v[101:102], v[96:97]
	v_movrels_b32_e32 v102, v34
	s_add_i32 m0, s8, -12
	v_movrels_b32_e32 v101, v34
	s_add_i32 m0, s8, -9
	v_fma_f64 v[96:97], v[101:102], v[103:104], v[96:97]
	v_movrels_b32_e32 v102, v34
	s_add_i32 m0, s8, -10
	v_movrels_b32_e32 v101, v34
	s_add_i32 m0, s8, -7
	s_waitcnt lgkmcnt(0)
	s_delay_alu instid0(VALU_DEP_1)
	v_fma_f64 v[96:97], v[101:102], v[105:106], v[96:97]
	v_movrels_b32_e32 v102, v34
	s_add_i32 m0, s8, -8
	v_movrels_b32_e32 v101, v34
	s_add_i32 m0, s8, -5
	;; [unrolled: 2-line block ×4, first 2 shown]
	v_fma_f64 v[96:97], v[101:102], v[107:108], v[96:97]
	ds_load_2addr_b64 v[101:104], v111 offset0:4 offset1:5
	ds_load_2addr_b64 v[105:108], v111 offset0:6 offset1:7
	s_waitcnt lgkmcnt(1)
	v_fma_f64 v[96:97], v[109:110], v[101:102], v[96:97]
	v_movrels_b32_e32 v102, v34
	s_add_i32 m0, s8, -4
	v_movrels_b32_e32 v101, v34
	s_add_i32 m0, s8, -1
	s_delay_alu instid0(VALU_DEP_1)
	v_fma_f64 v[96:97], v[101:102], v[103:104], v[96:97]
	v_movrels_b32_e32 v102, v34
	s_add_i32 m0, s8, -2
	s_add_u32 s2, s2, 8
	v_movrels_b32_e32 v101, v34
	s_mov_b32 m0, s8
	s_addc_u32 s3, s3, 0
	s_add_i32 s8, s2, -7
	s_add_i32 s7, s7, 64
	s_waitcnt lgkmcnt(0)
	s_delay_alu instid0(VALU_DEP_3) | instskip(SKIP_2) | instid1(VALU_DEP_1)
	v_fma_f64 v[96:97], v[101:102], v[105:106], v[96:97]
	v_movrels_b32_e32 v102, v35
	v_movrels_b32_e32 v101, v34
	v_fma_f64 v[96:97], v[101:102], v[107:108], v[96:97]
	v_add_nc_u32_e32 v101, s2, v100
	s_delay_alu instid0(VALU_DEP_1) | instskip(SKIP_2) | instid1(SALU_CYCLE_1)
	v_cmp_eq_u32_e32 vcc_lo, 10, v101
	v_mov_b32_e32 v101, s8
	s_or_b32 s6, vcc_lo, s6
	s_and_not1_b32 exec_lo, exec_lo, s6
	s_cbranch_execnz .LBB14_171
; %bb.172:
	s_or_b32 exec_lo, exec_lo, s6
.LBB14_173:
	s_delay_alu instid0(SALU_CYCLE_1) | instskip(SKIP_3) | instid1(VALU_DEP_1)
	s_or_b32 exec_lo, exec_lo, s0
	v_and_b32_e32 v64, 7, v99
	s_mov_b32 s3, 0
	s_mov_b32 s2, exec_lo
	v_cmpx_ne_u32_e32 0, v64
	s_cbranch_execz .LBB14_177
; %bb.174:
	v_lshl_add_u32 v65, v101, 3, 0x80
	v_mov_b32_e32 v99, 0
.LBB14_175:                             ; =>This Inner Loop Header: Depth=1
	v_cmp_eq_u32_e32 vcc_lo, 1, v101
	v_cmp_eq_u32_e64 s0, 2, v101
	v_add_nc_u32_e32 v64, -1, v64
	v_cndmask_b32_e32 v100, v35, v37, vcc_lo
	v_cndmask_b32_e32 v102, v34, v36, vcc_lo
	v_cmp_eq_u32_e32 vcc_lo, 3, v101
	s_delay_alu instid0(VALU_DEP_3) | instskip(NEXT) | instid1(VALU_DEP_3)
	v_cndmask_b32_e64 v100, v100, v39, s0
	v_cndmask_b32_e64 v102, v102, v38, s0
	v_cmp_eq_u32_e64 s0, 4, v101
	s_delay_alu instid0(VALU_DEP_3) | instskip(NEXT) | instid1(VALU_DEP_3)
	v_cndmask_b32_e32 v100, v100, v41, vcc_lo
	v_cndmask_b32_e32 v102, v102, v40, vcc_lo
	v_cmp_eq_u32_e32 vcc_lo, 5, v101
	s_delay_alu instid0(VALU_DEP_3) | instskip(NEXT) | instid1(VALU_DEP_3)
	v_cndmask_b32_e64 v100, v100, v43, s0
	v_cndmask_b32_e64 v102, v102, v42, s0
	v_cmp_eq_u32_e64 s0, 6, v101
	s_delay_alu instid0(VALU_DEP_3) | instskip(NEXT) | instid1(VALU_DEP_3)
	v_cndmask_b32_e32 v100, v100, v45, vcc_lo
	v_cndmask_b32_e32 v102, v102, v44, vcc_lo
	v_cmp_eq_u32_e32 vcc_lo, 7, v101
	s_delay_alu instid0(VALU_DEP_3) | instskip(NEXT) | instid1(VALU_DEP_3)
	v_cndmask_b32_e64 v100, v100, v47, s0
	v_cndmask_b32_e64 v102, v102, v46, s0
	v_cmp_eq_u32_e64 s0, 8, v101
	s_delay_alu instid0(VALU_DEP_3) | instskip(NEXT) | instid1(VALU_DEP_3)
	v_cndmask_b32_e32 v100, v100, v49, vcc_lo
	v_cndmask_b32_e32 v102, v102, v48, vcc_lo
	v_cmp_eq_u32_e32 vcc_lo, 9, v101
	s_delay_alu instid0(VALU_DEP_3) | instskip(NEXT) | instid1(VALU_DEP_3)
	v_cndmask_b32_e64 v100, v100, v51, s0
	v_cndmask_b32_e64 v102, v102, v50, s0
	v_cmp_eq_u32_e64 s0, 10, v101
	s_delay_alu instid0(VALU_DEP_3) | instskip(NEXT) | instid1(VALU_DEP_3)
	v_cndmask_b32_e32 v100, v100, v53, vcc_lo
	v_cndmask_b32_e32 v102, v102, v52, vcc_lo
	v_cmp_eq_u32_e32 vcc_lo, 11, v101
	s_delay_alu instid0(VALU_DEP_3) | instskip(NEXT) | instid1(VALU_DEP_3)
	v_cndmask_b32_e64 v100, v100, v55, s0
	v_cndmask_b32_e64 v104, v102, v54, s0
	ds_load_b64 v[102:103], v65
	v_add_nc_u32_e32 v65, 8, v65
	v_cmp_eq_u32_e64 s0, 12, v101
	v_cndmask_b32_e32 v100, v100, v57, vcc_lo
	v_cndmask_b32_e32 v104, v104, v56, vcc_lo
	v_cmp_eq_u32_e32 vcc_lo, 13, v101
	s_delay_alu instid0(VALU_DEP_3) | instskip(NEXT) | instid1(VALU_DEP_3)
	v_cndmask_b32_e64 v100, v100, v59, s0
	v_cndmask_b32_e64 v104, v104, v58, s0
	v_cmp_eq_u32_e64 s0, 14, v101
	s_delay_alu instid0(VALU_DEP_3) | instskip(NEXT) | instid1(VALU_DEP_3)
	v_cndmask_b32_e32 v100, v100, v61, vcc_lo
	v_cndmask_b32_e32 v104, v104, v60, vcc_lo
	v_cmp_eq_u32_e32 vcc_lo, 0, v64
	s_delay_alu instid0(VALU_DEP_3) | instskip(NEXT) | instid1(VALU_DEP_3)
	v_cndmask_b32_e64 v105, v100, v63, s0
	v_cndmask_b32_e64 v104, v104, v62, s0
	v_add_co_u32 v101, s0, v101, 1
	s_delay_alu instid0(VALU_DEP_1) | instskip(SKIP_1) | instid1(VALU_DEP_3)
	v_add_co_ci_u32_e64 v99, s0, 0, v99, s0
	s_waitcnt lgkmcnt(0)
	v_fma_f64 v[96:97], v[104:105], v[102:103], v[96:97]
	s_or_b32 s3, vcc_lo, s3
	s_delay_alu instid0(SALU_CYCLE_1)
	s_and_not1_b32 exec_lo, exec_lo, s3
	s_cbranch_execnz .LBB14_175
; %bb.176:
	s_or_b32 exec_lo, exec_lo, s3
.LBB14_177:
	s_delay_alu instid0(SALU_CYCLE_1)
	s_or_b32 exec_lo, exec_lo, s2
.LBB14_178:
	s_delay_alu instid0(SALU_CYCLE_1)
	s_or_b32 exec_lo, exec_lo, s5
	v_mov_b32_e32 v38, 0
	ds_load_b64 v[38:39], v38 offset:16
	s_waitcnt lgkmcnt(0)
	v_mul_f64 v[38:39], v[96:97], v[38:39]
.LBB14_179:
	s_or_b32 exec_lo, exec_lo, s4
	v_cmp_lt_u32_e64 s0, 1, v0
	ds_store_b64 v98, v[36:37]
	s_waitcnt lgkmcnt(0)
	s_barrier
	buffer_gl0_inv
	s_and_saveexec_b32 s4, s0
	s_cbranch_execz .LBB14_195
; %bb.180:
	s_and_not1_b32 vcc_lo, exec_lo, s15
	s_cbranch_vccnz .LBB14_182
; %bb.181:
	v_cmp_eq_u32_e32 vcc_lo, 1, v0
	v_dual_cndmask_b32 v96, v35, v37 :: v_dual_cndmask_b32 v97, v34, v36
	v_cmp_eq_u32_e32 vcc_lo, 2, v0
	s_delay_alu instid0(VALU_DEP_2) | instskip(SKIP_1) | instid1(VALU_DEP_2)
	v_dual_cndmask_b32 v96, v96, v39 :: v_dual_cndmask_b32 v97, v97, v38
	v_cmp_eq_u32_e32 vcc_lo, 3, v0
	v_dual_cndmask_b32 v96, v96, v41 :: v_dual_cndmask_b32 v97, v97, v40
	v_cmp_eq_u32_e32 vcc_lo, 4, v0
	s_delay_alu instid0(VALU_DEP_2) | instskip(SKIP_1) | instid1(VALU_DEP_2)
	v_dual_cndmask_b32 v96, v96, v43 :: v_dual_cndmask_b32 v97, v97, v42
	;; [unrolled: 5-line block ×5, first 2 shown]
	v_cmp_eq_u32_e32 vcc_lo, 11, v0
	v_dual_cndmask_b32 v99, v96, v57 :: v_dual_cndmask_b32 v100, v97, v56
	v_cmp_eq_u32_e32 vcc_lo, 12, v0
	ds_load_b64 v[96:97], v98
	v_dual_cndmask_b32 v99, v99, v59 :: v_dual_cndmask_b32 v100, v100, v58
	v_cmp_eq_u32_e32 vcc_lo, 13, v0
	s_delay_alu instid0(VALU_DEP_2) | instskip(NEXT) | instid1(VALU_DEP_3)
	v_cndmask_b32_e32 v99, v99, v61, vcc_lo
	v_cndmask_b32_e32 v101, v100, v60, vcc_lo
	v_cmp_eq_u32_e32 vcc_lo, 14, v0
	s_delay_alu instid0(VALU_DEP_2) | instskip(SKIP_1) | instid1(VALU_DEP_1)
	v_dual_cndmask_b32 v100, v99, v63 :: v_dual_cndmask_b32 v99, v101, v62
	s_waitcnt lgkmcnt(0)
	v_mul_f64 v[96:97], v[99:100], v[96:97]
	s_cbranch_execz .LBB14_183
	s_branch .LBB14_184
.LBB14_182:
                                        ; implicit-def: $vgpr96_vgpr97
.LBB14_183:
	ds_load_b64 v[96:97], v98
.LBB14_184:
	s_and_saveexec_b32 s5, s1
	s_cbranch_execz .LBB14_194
; %bb.185:
	v_add_nc_u32_e32 v100, -3, v0
	v_add_nc_u32_e32 v99, -2, v0
	s_delay_alu instid0(VALU_DEP_2)
	v_cmp_lt_u32_e32 vcc_lo, 6, v100
	v_mov_b32_e32 v100, 2
	s_and_saveexec_b32 s1, vcc_lo
	s_cbranch_execz .LBB14_189
; %bb.186:
	v_and_b32_e32 v100, -8, v99
	s_mov_b32 s6, 0
	s_mov_b64 s[2:3], 9
	s_movk_i32 s7, 0x90
	s_delay_alu instid0(VALU_DEP_1)
	v_sub_nc_u32_e32 v101, 0, v100
.LBB14_187:                             ; =>This Inner Loop Header: Depth=1
	v_mov_b32_e32 v100, s7
	s_lshl_b32 s8, s2, 1
	s_delay_alu instid0(SALU_CYCLE_1)
	s_add_i32 m0, s8, -13
	v_movrels_b32_e32 v111, v34
	ds_load_b128 v[102:105], v100
	ds_load_b128 v[106:109], v100 offset:16
	s_add_i32 m0, s8, -14
	v_movrels_b32_e32 v110, v34
	s_add_i32 m0, s8, -11
	s_waitcnt lgkmcnt(1)
	s_delay_alu instid0(VALU_DEP_1) | instskip(SKIP_4) | instid1(VALU_DEP_1)
	v_fma_f64 v[96:97], v[110:111], v[102:103], v[96:97]
	v_movrels_b32_e32 v103, v34
	s_add_i32 m0, s8, -12
	v_movrels_b32_e32 v102, v34
	s_add_i32 m0, s8, -9
	v_fma_f64 v[96:97], v[102:103], v[104:105], v[96:97]
	v_movrels_b32_e32 v103, v34
	s_add_i32 m0, s8, -10
	v_movrels_b32_e32 v102, v34
	s_add_i32 m0, s8, -7
	s_waitcnt lgkmcnt(0)
	s_delay_alu instid0(VALU_DEP_1)
	v_fma_f64 v[96:97], v[102:103], v[106:107], v[96:97]
	v_movrels_b32_e32 v103, v34
	s_add_i32 m0, s8, -8
	v_movrels_b32_e32 v102, v34
	s_add_i32 m0, s8, -5
	;; [unrolled: 2-line block ×4, first 2 shown]
	v_fma_f64 v[96:97], v[102:103], v[108:109], v[96:97]
	ds_load_b128 v[102:105], v100 offset:32
	ds_load_b128 v[106:109], v100 offset:48
	s_waitcnt lgkmcnt(1)
	v_fma_f64 v[96:97], v[110:111], v[102:103], v[96:97]
	v_movrels_b32_e32 v103, v34
	s_add_i32 m0, s8, -4
	v_movrels_b32_e32 v102, v34
	s_add_i32 m0, s8, -1
	s_delay_alu instid0(VALU_DEP_1)
	v_fma_f64 v[96:97], v[102:103], v[104:105], v[96:97]
	v_movrels_b32_e32 v103, v34
	s_add_i32 m0, s8, -2
	s_add_u32 s2, s2, 8
	v_movrels_b32_e32 v102, v34
	s_mov_b32 m0, s8
	v_add_nc_u32_e32 v100, s2, v101
	s_addc_u32 s3, s3, 0
	s_add_i32 s8, s2, -7
	s_add_i32 s7, s7, 64
	s_delay_alu instid0(VALU_DEP_1)
	v_cmp_eq_u32_e32 vcc_lo, 9, v100
	v_mov_b32_e32 v100, s8
	s_or_b32 s6, vcc_lo, s6
	s_waitcnt lgkmcnt(0)
	v_fma_f64 v[96:97], v[102:103], v[106:107], v[96:97]
	v_movrels_b32_e32 v103, v35
	v_movrels_b32_e32 v102, v34
	s_delay_alu instid0(VALU_DEP_1)
	v_fma_f64 v[96:97], v[102:103], v[108:109], v[96:97]
	s_and_not1_b32 exec_lo, exec_lo, s6
	s_cbranch_execnz .LBB14_187
; %bb.188:
	s_or_b32 exec_lo, exec_lo, s6
.LBB14_189:
	s_delay_alu instid0(SALU_CYCLE_1) | instskip(SKIP_3) | instid1(VALU_DEP_1)
	s_or_b32 exec_lo, exec_lo, s1
	v_and_b32_e32 v64, 7, v99
	s_mov_b32 s3, 0
	s_mov_b32 s2, exec_lo
	v_cmpx_ne_u32_e32 0, v64
	s_cbranch_execz .LBB14_193
; %bb.190:
	v_lshl_add_u32 v65, v100, 3, 0x80
	v_mov_b32_e32 v99, 0
.LBB14_191:                             ; =>This Inner Loop Header: Depth=1
	v_cmp_eq_u32_e32 vcc_lo, 1, v100
	v_cmp_eq_u32_e64 s1, 2, v100
	v_dual_cndmask_b32 v101, v35, v37 :: v_dual_add_nc_u32 v64, -1, v64
	v_cndmask_b32_e32 v102, v34, v36, vcc_lo
	v_cmp_eq_u32_e32 vcc_lo, 3, v100
	s_delay_alu instid0(VALU_DEP_3) | instskip(NEXT) | instid1(VALU_DEP_3)
	v_cndmask_b32_e64 v101, v101, v39, s1
	v_cndmask_b32_e64 v102, v102, v38, s1
	v_cmp_eq_u32_e64 s1, 4, v100
	s_delay_alu instid0(VALU_DEP_2) | instskip(SKIP_1) | instid1(VALU_DEP_2)
	v_dual_cndmask_b32 v101, v101, v41 :: v_dual_cndmask_b32 v102, v102, v40
	v_cmp_eq_u32_e32 vcc_lo, 5, v100
	v_cndmask_b32_e64 v101, v101, v43, s1
	s_delay_alu instid0(VALU_DEP_3) | instskip(SKIP_1) | instid1(VALU_DEP_2)
	v_cndmask_b32_e64 v102, v102, v42, s1
	v_cmp_eq_u32_e64 s1, 6, v100
	v_dual_cndmask_b32 v101, v101, v45 :: v_dual_cndmask_b32 v102, v102, v44
	v_cmp_eq_u32_e32 vcc_lo, 7, v100
	s_delay_alu instid0(VALU_DEP_2) | instskip(NEXT) | instid1(VALU_DEP_3)
	v_cndmask_b32_e64 v101, v101, v47, s1
	v_cndmask_b32_e64 v102, v102, v46, s1
	v_cmp_eq_u32_e64 s1, 8, v100
	s_delay_alu instid0(VALU_DEP_2) | instskip(SKIP_1) | instid1(VALU_DEP_2)
	v_dual_cndmask_b32 v101, v101, v49 :: v_dual_cndmask_b32 v102, v102, v48
	v_cmp_eq_u32_e32 vcc_lo, 9, v100
	v_cndmask_b32_e64 v101, v101, v51, s1
	s_delay_alu instid0(VALU_DEP_3) | instskip(SKIP_1) | instid1(VALU_DEP_2)
	v_cndmask_b32_e64 v102, v102, v50, s1
	v_cmp_eq_u32_e64 s1, 10, v100
	v_dual_cndmask_b32 v101, v101, v53 :: v_dual_cndmask_b32 v102, v102, v52
	v_cmp_eq_u32_e32 vcc_lo, 11, v100
	s_delay_alu instid0(VALU_DEP_2) | instskip(NEXT) | instid1(VALU_DEP_3)
	v_cndmask_b32_e64 v103, v101, v55, s1
	v_cndmask_b32_e64 v104, v102, v54, s1
	ds_load_b64 v[101:102], v65
	v_cmp_eq_u32_e64 s1, 12, v100
	v_add_nc_u32_e32 v65, 8, v65
	v_dual_cndmask_b32 v103, v103, v57 :: v_dual_cndmask_b32 v104, v104, v56
	v_cmp_eq_u32_e32 vcc_lo, 13, v100
	s_delay_alu instid0(VALU_DEP_2) | instskip(NEXT) | instid1(VALU_DEP_3)
	v_cndmask_b32_e64 v103, v103, v59, s1
	v_cndmask_b32_e64 v104, v104, v58, s1
	v_cmp_eq_u32_e64 s1, 14, v100
	s_delay_alu instid0(VALU_DEP_3) | instskip(NEXT) | instid1(VALU_DEP_3)
	v_cndmask_b32_e32 v103, v103, v61, vcc_lo
	v_cndmask_b32_e32 v105, v104, v60, vcc_lo
	v_cmp_eq_u32_e32 vcc_lo, 0, v64
	s_delay_alu instid0(VALU_DEP_3) | instskip(NEXT) | instid1(VALU_DEP_3)
	v_cndmask_b32_e64 v104, v103, v63, s1
	v_cndmask_b32_e64 v103, v105, v62, s1
	v_add_co_u32 v100, s1, v100, 1
	s_delay_alu instid0(VALU_DEP_1) | instskip(SKIP_1) | instid1(VALU_DEP_3)
	v_add_co_ci_u32_e64 v99, s1, 0, v99, s1
	s_waitcnt lgkmcnt(0)
	v_fma_f64 v[96:97], v[103:104], v[101:102], v[96:97]
	s_or_b32 s3, vcc_lo, s3
	s_delay_alu instid0(SALU_CYCLE_1)
	s_and_not1_b32 exec_lo, exec_lo, s3
	s_cbranch_execnz .LBB14_191
; %bb.192:
	s_or_b32 exec_lo, exec_lo, s3
.LBB14_193:
	s_delay_alu instid0(SALU_CYCLE_1)
	s_or_b32 exec_lo, exec_lo, s2
.LBB14_194:
	s_delay_alu instid0(SALU_CYCLE_1)
	s_or_b32 exec_lo, exec_lo, s5
	v_mov_b32_e32 v36, 0
	ds_load_b64 v[36:37], v36 offset:8
	s_waitcnt lgkmcnt(0)
	v_mul_f64 v[36:37], v[96:97], v[36:37]
.LBB14_195:
	s_or_b32 exec_lo, exec_lo, s4
	s_mov_b32 s2, 0
	s_mov_b32 s3, exec_lo
	ds_store_b64 v98, v[34:35]
	s_waitcnt lgkmcnt(0)
	s_barrier
	buffer_gl0_inv
	v_cmpx_ne_u32_e32 0, v0
	s_cbranch_execz .LBB14_211
; %bb.196:
	s_and_not1_b32 vcc_lo, exec_lo, s15
	s_cbranch_vccnz .LBB14_198
; %bb.197:
	v_cmp_eq_u32_e32 vcc_lo, 1, v0
	v_dual_cndmask_b32 v96, v35, v37 :: v_dual_cndmask_b32 v97, v34, v36
	v_cmp_eq_u32_e32 vcc_lo, 2, v0
	s_delay_alu instid0(VALU_DEP_2) | instskip(SKIP_1) | instid1(VALU_DEP_2)
	v_dual_cndmask_b32 v96, v96, v39 :: v_dual_cndmask_b32 v97, v97, v38
	v_cmp_eq_u32_e32 vcc_lo, 3, v0
	v_dual_cndmask_b32 v96, v96, v41 :: v_dual_cndmask_b32 v97, v97, v40
	v_cmp_eq_u32_e32 vcc_lo, 4, v0
	s_delay_alu instid0(VALU_DEP_2) | instskip(SKIP_1) | instid1(VALU_DEP_2)
	v_dual_cndmask_b32 v96, v96, v43 :: v_dual_cndmask_b32 v97, v97, v42
	;; [unrolled: 5-line block ×5, first 2 shown]
	v_cmp_eq_u32_e32 vcc_lo, 11, v0
	v_dual_cndmask_b32 v99, v96, v57 :: v_dual_cndmask_b32 v100, v97, v56
	v_cmp_eq_u32_e32 vcc_lo, 12, v0
	ds_load_b64 v[96:97], v98
	v_dual_cndmask_b32 v99, v99, v59 :: v_dual_cndmask_b32 v100, v100, v58
	v_cmp_eq_u32_e32 vcc_lo, 13, v0
	s_delay_alu instid0(VALU_DEP_2) | instskip(NEXT) | instid1(VALU_DEP_3)
	v_cndmask_b32_e32 v99, v99, v61, vcc_lo
	v_cndmask_b32_e32 v101, v100, v60, vcc_lo
	v_cmp_eq_u32_e32 vcc_lo, 14, v0
	s_delay_alu instid0(VALU_DEP_2) | instskip(SKIP_1) | instid1(VALU_DEP_1)
	v_dual_cndmask_b32 v100, v99, v63 :: v_dual_cndmask_b32 v99, v101, v62
	s_waitcnt lgkmcnt(0)
	v_mul_f64 v[96:97], v[99:100], v[96:97]
	s_cbranch_execz .LBB14_199
	s_branch .LBB14_200
.LBB14_198:
                                        ; implicit-def: $vgpr96_vgpr97
.LBB14_199:
	ds_load_b64 v[96:97], v98
.LBB14_200:
	s_and_saveexec_b32 s4, s0
	s_cbranch_execz .LBB14_210
; %bb.201:
	v_dual_mov_b32 v101, 1 :: v_dual_add_nc_u32 v100, -2, v0
	v_add_nc_u32_e32 v99, -1, v0
	s_mov_b32 s5, exec_lo
	s_delay_alu instid0(VALU_DEP_2)
	v_cmpx_lt_u32_e32 6, v100
	s_cbranch_execz .LBB14_205
; %bb.202:
	s_delay_alu instid0(VALU_DEP_2) | instskip(SKIP_3) | instid1(VALU_DEP_1)
	v_and_b32_e32 v100, -8, v99
	s_mov_b32 s6, 0
	s_mov_b64 s[0:1], 8
	s_movk_i32 s7, 0x88
	v_sub_nc_u32_e32 v100, 0, v100
.LBB14_203:                             ; =>This Inner Loop Header: Depth=1
	v_mov_b32_e32 v111, s7
	s_lshl_b32 s8, s0, 1
	s_delay_alu instid0(SALU_CYCLE_1)
	s_add_i32 m0, s8, -13
	v_movrels_b32_e32 v110, v34
	ds_load_2addr_b64 v[101:104], v111 offset1:1
	ds_load_2addr_b64 v[105:108], v111 offset0:2 offset1:3
	s_add_i32 m0, s8, -14
	v_movrels_b32_e32 v109, v34
	s_add_i32 m0, s8, -11
	s_waitcnt lgkmcnt(1)
	s_delay_alu instid0(VALU_DEP_1) | instskip(SKIP_4) | instid1(VALU_DEP_1)
	v_fma_f64 v[96:97], v[109:110], v[101:102], v[96:97]
	v_movrels_b32_e32 v102, v34
	s_add_i32 m0, s8, -12
	v_movrels_b32_e32 v101, v34
	s_add_i32 m0, s8, -9
	v_fma_f64 v[96:97], v[101:102], v[103:104], v[96:97]
	v_movrels_b32_e32 v102, v34
	s_add_i32 m0, s8, -10
	v_movrels_b32_e32 v101, v34
	s_add_i32 m0, s8, -7
	s_waitcnt lgkmcnt(0)
	s_delay_alu instid0(VALU_DEP_1)
	v_fma_f64 v[96:97], v[101:102], v[105:106], v[96:97]
	v_movrels_b32_e32 v102, v34
	s_add_i32 m0, s8, -8
	v_movrels_b32_e32 v101, v34
	s_add_i32 m0, s8, -5
	;; [unrolled: 2-line block ×4, first 2 shown]
	v_fma_f64 v[96:97], v[101:102], v[107:108], v[96:97]
	ds_load_2addr_b64 v[101:104], v111 offset0:4 offset1:5
	ds_load_2addr_b64 v[105:108], v111 offset0:6 offset1:7
	s_waitcnt lgkmcnt(1)
	v_fma_f64 v[96:97], v[109:110], v[101:102], v[96:97]
	v_movrels_b32_e32 v102, v34
	s_add_i32 m0, s8, -4
	v_movrels_b32_e32 v101, v34
	s_add_i32 m0, s8, -1
	s_delay_alu instid0(VALU_DEP_1)
	v_fma_f64 v[96:97], v[101:102], v[103:104], v[96:97]
	v_movrels_b32_e32 v102, v34
	s_add_i32 m0, s8, -2
	s_add_u32 s0, s0, 8
	v_movrels_b32_e32 v101, v34
	s_mov_b32 m0, s8
	s_addc_u32 s1, s1, 0
	s_add_i32 s8, s0, -7
	s_add_i32 s7, s7, 64
	s_waitcnt lgkmcnt(0)
	s_delay_alu instid0(VALU_DEP_3) | instskip(SKIP_2) | instid1(VALU_DEP_1)
	v_fma_f64 v[96:97], v[101:102], v[105:106], v[96:97]
	v_movrels_b32_e32 v102, v35
	v_movrels_b32_e32 v101, v34
	v_fma_f64 v[96:97], v[101:102], v[107:108], v[96:97]
	v_add_nc_u32_e32 v101, s0, v100
	s_delay_alu instid0(VALU_DEP_1) | instskip(SKIP_2) | instid1(SALU_CYCLE_1)
	v_cmp_eq_u32_e32 vcc_lo, 8, v101
	v_mov_b32_e32 v101, s8
	s_or_b32 s6, vcc_lo, s6
	s_and_not1_b32 exec_lo, exec_lo, s6
	s_cbranch_execnz .LBB14_203
; %bb.204:
	s_or_b32 exec_lo, exec_lo, s6
.LBB14_205:
	s_delay_alu instid0(SALU_CYCLE_1) | instskip(SKIP_3) | instid1(VALU_DEP_1)
	s_or_b32 exec_lo, exec_lo, s5
	v_and_b32_e32 v64, 7, v99
	s_mov_b32 s5, 0
	s_mov_b32 s1, exec_lo
	v_cmpx_ne_u32_e32 0, v64
	s_cbranch_execz .LBB14_209
; %bb.206:
	v_lshl_add_u32 v65, v101, 3, 0x80
	v_mov_b32_e32 v99, 0
.LBB14_207:                             ; =>This Inner Loop Header: Depth=1
	v_cmp_eq_u32_e32 vcc_lo, 1, v101
	v_cmp_eq_u32_e64 s0, 2, v101
	v_add_nc_u32_e32 v64, -1, v64
	v_cndmask_b32_e32 v100, v35, v37, vcc_lo
	v_cndmask_b32_e32 v102, v34, v36, vcc_lo
	v_cmp_eq_u32_e32 vcc_lo, 3, v101
	s_delay_alu instid0(VALU_DEP_3) | instskip(NEXT) | instid1(VALU_DEP_3)
	v_cndmask_b32_e64 v100, v100, v39, s0
	v_cndmask_b32_e64 v102, v102, v38, s0
	v_cmp_eq_u32_e64 s0, 4, v101
	s_delay_alu instid0(VALU_DEP_3) | instskip(NEXT) | instid1(VALU_DEP_3)
	v_cndmask_b32_e32 v100, v100, v41, vcc_lo
	v_cndmask_b32_e32 v102, v102, v40, vcc_lo
	v_cmp_eq_u32_e32 vcc_lo, 5, v101
	s_delay_alu instid0(VALU_DEP_3) | instskip(NEXT) | instid1(VALU_DEP_3)
	v_cndmask_b32_e64 v100, v100, v43, s0
	v_cndmask_b32_e64 v102, v102, v42, s0
	v_cmp_eq_u32_e64 s0, 6, v101
	s_delay_alu instid0(VALU_DEP_3) | instskip(NEXT) | instid1(VALU_DEP_3)
	;; [unrolled: 8-line block ×4, first 2 shown]
	v_cndmask_b32_e32 v100, v100, v53, vcc_lo
	v_cndmask_b32_e32 v102, v102, v52, vcc_lo
	v_cmp_eq_u32_e32 vcc_lo, 11, v101
	s_delay_alu instid0(VALU_DEP_3) | instskip(NEXT) | instid1(VALU_DEP_3)
	v_cndmask_b32_e64 v100, v100, v55, s0
	v_cndmask_b32_e64 v104, v102, v54, s0
	ds_load_b64 v[102:103], v65
	v_add_nc_u32_e32 v65, 8, v65
	v_cmp_eq_u32_e64 s0, 12, v101
	v_cndmask_b32_e32 v100, v100, v57, vcc_lo
	v_cndmask_b32_e32 v104, v104, v56, vcc_lo
	v_cmp_eq_u32_e32 vcc_lo, 13, v101
	s_delay_alu instid0(VALU_DEP_3) | instskip(NEXT) | instid1(VALU_DEP_3)
	v_cndmask_b32_e64 v100, v100, v59, s0
	v_cndmask_b32_e64 v104, v104, v58, s0
	v_cmp_eq_u32_e64 s0, 14, v101
	s_delay_alu instid0(VALU_DEP_3) | instskip(NEXT) | instid1(VALU_DEP_3)
	v_cndmask_b32_e32 v100, v100, v61, vcc_lo
	v_cndmask_b32_e32 v104, v104, v60, vcc_lo
	v_cmp_eq_u32_e32 vcc_lo, 0, v64
	s_delay_alu instid0(VALU_DEP_3) | instskip(NEXT) | instid1(VALU_DEP_3)
	v_cndmask_b32_e64 v105, v100, v63, s0
	v_cndmask_b32_e64 v104, v104, v62, s0
	v_add_co_u32 v101, s0, v101, 1
	s_delay_alu instid0(VALU_DEP_1) | instskip(SKIP_1) | instid1(VALU_DEP_3)
	v_add_co_ci_u32_e64 v99, s0, 0, v99, s0
	s_waitcnt lgkmcnt(0)
	v_fma_f64 v[96:97], v[104:105], v[102:103], v[96:97]
	s_or_b32 s5, vcc_lo, s5
	s_delay_alu instid0(SALU_CYCLE_1)
	s_and_not1_b32 exec_lo, exec_lo, s5
	s_cbranch_execnz .LBB14_207
; %bb.208:
	s_or_b32 exec_lo, exec_lo, s5
.LBB14_209:
	s_delay_alu instid0(SALU_CYCLE_1)
	s_or_b32 exec_lo, exec_lo, s1
.LBB14_210:
	s_delay_alu instid0(SALU_CYCLE_1)
	s_or_b32 exec_lo, exec_lo, s4
	v_mov_b32_e32 v34, 0
	ds_load_b64 v[34:35], v34
	s_waitcnt lgkmcnt(0)
	v_mul_f64 v[34:35], v[96:97], v[34:35]
.LBB14_211:
	s_or_b32 exec_lo, exec_lo, s3
	s_delay_alu instid0(SALU_CYCLE_1)
	s_and_b32 vcc_lo, exec_lo, s2
	s_cbranch_vccz .LBB14_359
.LBB14_212:
	v_cmp_eq_u32_e64 s0, 0, v0
	s_waitcnt vmcnt(14)
	ds_store_b64 v98, v[4:5]
	s_waitcnt vmcnt(0) lgkmcnt(0)
	s_barrier
	buffer_gl0_inv
	s_and_saveexec_b32 s1, s0
	s_cbranch_execz .LBB14_218
; %bb.213:
	s_and_b32 vcc_lo, exec_lo, s15
	s_cbranch_vccz .LBB14_215
; %bb.214:
	v_cmp_eq_u32_e32 vcc_lo, 1, v0
	v_dual_cndmask_b32 v5, v3, v5 :: v_dual_cndmask_b32 v4, v2, v4
	v_cmp_eq_u32_e32 vcc_lo, 2, v0
	s_delay_alu instid0(VALU_DEP_2) | instskip(SKIP_1) | instid1(VALU_DEP_2)
	v_dual_cndmask_b32 v5, v5, v7 :: v_dual_cndmask_b32 v4, v4, v6
	v_cmp_eq_u32_e32 vcc_lo, 3, v0
	v_dual_cndmask_b32 v5, v5, v9 :: v_dual_cndmask_b32 v4, v4, v8
	v_cmp_eq_u32_e32 vcc_lo, 4, v0
	s_delay_alu instid0(VALU_DEP_2) | instskip(SKIP_1) | instid1(VALU_DEP_2)
	v_dual_cndmask_b32 v5, v5, v11 :: v_dual_cndmask_b32 v4, v4, v10
	;; [unrolled: 5-line block ×5, first 2 shown]
	v_cmp_eq_u32_e32 vcc_lo, 11, v0
	v_dual_cndmask_b32 v32, v5, v25 :: v_dual_cndmask_b32 v33, v4, v24
	v_cmp_eq_u32_e32 vcc_lo, 12, v0
	ds_load_b64 v[4:5], v98
	v_dual_cndmask_b32 v32, v32, v27 :: v_dual_cndmask_b32 v33, v33, v26
	v_cmp_eq_u32_e32 vcc_lo, 13, v0
	s_delay_alu instid0(VALU_DEP_2) | instskip(NEXT) | instid1(VALU_DEP_3)
	v_cndmask_b32_e32 v32, v32, v29, vcc_lo
	v_cndmask_b32_e32 v34, v33, v28, vcc_lo
	v_cmp_eq_u32_e32 vcc_lo, 14, v0
	s_delay_alu instid0(VALU_DEP_2) | instskip(SKIP_1) | instid1(VALU_DEP_1)
	v_dual_cndmask_b32 v33, v32, v31 :: v_dual_cndmask_b32 v32, v34, v30
	s_waitcnt lgkmcnt(0)
	v_mul_f64 v[4:5], v[32:33], v[4:5]
	s_cbranch_execz .LBB14_216
	s_branch .LBB14_217
.LBB14_215:
                                        ; implicit-def: $vgpr4_vgpr5
.LBB14_216:
	ds_load_b64 v[4:5], v98
.LBB14_217:
	v_mov_b32_e32 v32, 0
	ds_load_b64 v[32:33], v32 offset:8
	s_waitcnt lgkmcnt(0)
	v_mul_f64 v[4:5], v[4:5], v[32:33]
.LBB14_218:
	s_or_b32 exec_lo, exec_lo, s1
	v_add_nc_u32_e32 v37, 1, v0
	v_cndmask_b32_e64 v36, 0, 1, s15
	s_mov_b32 s1, exec_lo
	ds_store_b64 v98, v[6:7]
	s_waitcnt lgkmcnt(0)
	s_barrier
	buffer_gl0_inv
	v_cmpx_gt_u32_e32 2, v0
	s_cbranch_execz .LBB14_226
; %bb.219:
	s_and_not1_b32 vcc_lo, exec_lo, s15
	s_cbranch_vccnz .LBB14_221
; %bb.220:
	v_cmp_eq_u32_e32 vcc_lo, 1, v0
	v_dual_cndmask_b32 v32, v3, v5 :: v_dual_cndmask_b32 v33, v2, v4
	v_cmp_eq_u32_e32 vcc_lo, 2, v0
	s_delay_alu instid0(VALU_DEP_2) | instskip(SKIP_1) | instid1(VALU_DEP_2)
	v_dual_cndmask_b32 v32, v32, v7 :: v_dual_cndmask_b32 v33, v33, v6
	v_cmp_eq_u32_e32 vcc_lo, 3, v0
	v_dual_cndmask_b32 v32, v32, v9 :: v_dual_cndmask_b32 v33, v33, v8
	v_cmp_eq_u32_e32 vcc_lo, 4, v0
	s_delay_alu instid0(VALU_DEP_2) | instskip(SKIP_1) | instid1(VALU_DEP_2)
	v_dual_cndmask_b32 v32, v32, v11 :: v_dual_cndmask_b32 v33, v33, v10
	;; [unrolled: 5-line block ×5, first 2 shown]
	v_cmp_eq_u32_e32 vcc_lo, 11, v0
	v_dual_cndmask_b32 v34, v32, v25 :: v_dual_cndmask_b32 v35, v33, v24
	v_cmp_eq_u32_e32 vcc_lo, 12, v0
	ds_load_b64 v[32:33], v98
	v_dual_cndmask_b32 v34, v34, v27 :: v_dual_cndmask_b32 v35, v35, v26
	v_cmp_eq_u32_e32 vcc_lo, 13, v0
	s_delay_alu instid0(VALU_DEP_2) | instskip(NEXT) | instid1(VALU_DEP_3)
	v_cndmask_b32_e32 v34, v34, v29, vcc_lo
	v_cndmask_b32_e32 v38, v35, v28, vcc_lo
	v_cmp_eq_u32_e32 vcc_lo, 14, v0
	s_delay_alu instid0(VALU_DEP_3) | instskip(NEXT) | instid1(VALU_DEP_3)
	v_cndmask_b32_e32 v35, v34, v31, vcc_lo
	v_cndmask_b32_e32 v34, v38, v30, vcc_lo
	s_waitcnt lgkmcnt(0)
	s_delay_alu instid0(VALU_DEP_1)
	v_mul_f64 v[32:33], v[34:35], v[32:33]
	s_cbranch_execz .LBB14_222
	s_branch .LBB14_223
.LBB14_221:
                                        ; implicit-def: $vgpr32_vgpr33
.LBB14_222:
	ds_load_b64 v[32:33], v98
.LBB14_223:
	s_and_saveexec_b32 s2, s0
	s_cbranch_execz .LBB14_225
; %bb.224:
	v_cmp_eq_u32_e32 vcc_lo, 1, v37
	v_dual_cndmask_b32 v34, v3, v5 :: v_dual_cndmask_b32 v35, v2, v4
	v_cmp_eq_u32_e32 vcc_lo, 2, v37
	s_delay_alu instid0(VALU_DEP_2) | instskip(SKIP_1) | instid1(VALU_DEP_2)
	v_dual_cndmask_b32 v7, v34, v7 :: v_dual_cndmask_b32 v6, v35, v6
	v_cmp_eq_u32_e32 vcc_lo, 3, v37
	v_dual_cndmask_b32 v7, v7, v9 :: v_dual_cndmask_b32 v6, v6, v8
	v_cmp_eq_u32_e32 vcc_lo, 4, v37
	s_delay_alu instid0(VALU_DEP_2) | instskip(SKIP_1) | instid1(VALU_DEP_2)
	v_dual_cndmask_b32 v7, v7, v11 :: v_dual_cndmask_b32 v6, v6, v10
	v_cmp_eq_u32_e32 vcc_lo, 5, v37
	v_dual_cndmask_b32 v7, v7, v13 :: v_dual_cndmask_b32 v6, v6, v12
	v_cmp_eq_u32_e32 vcc_lo, 6, v37
	s_delay_alu instid0(VALU_DEP_2) | instskip(SKIP_1) | instid1(VALU_DEP_2)
	v_dual_cndmask_b32 v7, v7, v15 :: v_dual_cndmask_b32 v6, v6, v14
	v_cmp_eq_u32_e32 vcc_lo, 7, v37
	v_dual_cndmask_b32 v7, v7, v17 :: v_dual_cndmask_b32 v6, v6, v16
	v_cmp_eq_u32_e32 vcc_lo, 8, v37
	s_delay_alu instid0(VALU_DEP_2) | instskip(SKIP_1) | instid1(VALU_DEP_2)
	v_dual_cndmask_b32 v7, v7, v19 :: v_dual_cndmask_b32 v6, v6, v18
	v_cmp_eq_u32_e32 vcc_lo, 9, v37
	v_dual_cndmask_b32 v7, v7, v21 :: v_dual_cndmask_b32 v6, v6, v20
	v_cmp_eq_u32_e32 vcc_lo, 10, v37
	s_delay_alu instid0(VALU_DEP_2) | instskip(SKIP_1) | instid1(VALU_DEP_2)
	v_dual_cndmask_b32 v7, v7, v23 :: v_dual_cndmask_b32 v6, v6, v22
	v_cmp_eq_u32_e32 vcc_lo, 11, v37
	v_dual_cndmask_b32 v34, v7, v25 :: v_dual_cndmask_b32 v35, v6, v24
	v_cmp_eq_u32_e32 vcc_lo, 12, v37
	ds_load_b64 v[6:7], v98 offset:8
	v_dual_cndmask_b32 v34, v34, v27 :: v_dual_cndmask_b32 v35, v35, v26
	v_cmp_eq_u32_e32 vcc_lo, 13, v37
	s_delay_alu instid0(VALU_DEP_2) | instskip(NEXT) | instid1(VALU_DEP_3)
	v_cndmask_b32_e32 v34, v34, v29, vcc_lo
	v_cndmask_b32_e32 v38, v35, v28, vcc_lo
	v_cmp_eq_u32_e32 vcc_lo, 14, v37
	s_delay_alu instid0(VALU_DEP_3) | instskip(NEXT) | instid1(VALU_DEP_3)
	v_cndmask_b32_e32 v35, v34, v31, vcc_lo
	v_cndmask_b32_e32 v34, v38, v30, vcc_lo
	s_waitcnt lgkmcnt(0)
	s_delay_alu instid0(VALU_DEP_1)
	v_fma_f64 v[32:33], v[34:35], v[6:7], v[32:33]
.LBB14_225:
	s_or_b32 exec_lo, exec_lo, s2
	v_mov_b32_e32 v6, 0
	ds_load_b64 v[6:7], v6 offset:16
	s_waitcnt lgkmcnt(0)
	v_mul_f64 v[6:7], v[32:33], v[6:7]
.LBB14_226:
	s_or_b32 exec_lo, exec_lo, s1
	v_cmp_gt_u32_e64 s1, 3, v0
	ds_store_b64 v98, v[8:9]
	s_waitcnt lgkmcnt(0)
	s_barrier
	buffer_gl0_inv
	s_and_saveexec_b32 s2, s1
	s_cbranch_execz .LBB14_236
; %bb.227:
	v_cmp_ne_u32_e32 vcc_lo, 1, v36
	s_cbranch_vccnz .LBB14_229
; %bb.228:
	v_cmp_eq_u32_e32 vcc_lo, 1, v0
	v_dual_cndmask_b32 v32, v3, v5 :: v_dual_cndmask_b32 v33, v2, v4
	v_cmp_eq_u32_e32 vcc_lo, 2, v0
	s_delay_alu instid0(VALU_DEP_2) | instskip(SKIP_1) | instid1(VALU_DEP_2)
	v_dual_cndmask_b32 v32, v32, v7 :: v_dual_cndmask_b32 v33, v33, v6
	v_cmp_eq_u32_e32 vcc_lo, 3, v0
	v_dual_cndmask_b32 v32, v32, v9 :: v_dual_cndmask_b32 v33, v33, v8
	v_cmp_eq_u32_e32 vcc_lo, 4, v0
	s_delay_alu instid0(VALU_DEP_2) | instskip(SKIP_1) | instid1(VALU_DEP_2)
	v_dual_cndmask_b32 v32, v32, v11 :: v_dual_cndmask_b32 v33, v33, v10
	;; [unrolled: 5-line block ×5, first 2 shown]
	v_cmp_eq_u32_e32 vcc_lo, 11, v0
	v_dual_cndmask_b32 v34, v32, v25 :: v_dual_cndmask_b32 v35, v33, v24
	v_cmp_eq_u32_e32 vcc_lo, 12, v0
	ds_load_b64 v[32:33], v98
	v_dual_cndmask_b32 v34, v34, v27 :: v_dual_cndmask_b32 v35, v35, v26
	v_cmp_eq_u32_e32 vcc_lo, 13, v0
	s_delay_alu instid0(VALU_DEP_2) | instskip(NEXT) | instid1(VALU_DEP_3)
	v_cndmask_b32_e32 v34, v34, v29, vcc_lo
	v_cndmask_b32_e32 v38, v35, v28, vcc_lo
	v_cmp_eq_u32_e32 vcc_lo, 14, v0
	s_delay_alu instid0(VALU_DEP_3) | instskip(NEXT) | instid1(VALU_DEP_3)
	v_cndmask_b32_e32 v35, v34, v31, vcc_lo
	v_cndmask_b32_e32 v34, v38, v30, vcc_lo
	s_waitcnt lgkmcnt(0)
	s_delay_alu instid0(VALU_DEP_1)
	v_mul_f64 v[32:33], v[34:35], v[32:33]
	s_cbranch_execz .LBB14_230
	s_branch .LBB14_231
.LBB14_229:
                                        ; implicit-def: $vgpr32_vgpr33
.LBB14_230:
	ds_load_b64 v[32:33], v98
.LBB14_231:
	s_mov_b32 s3, exec_lo
	v_cmpx_ne_u32_e32 2, v0
	s_cbranch_execz .LBB14_235
; %bb.232:
	v_cmp_eq_u32_e32 vcc_lo, 1, v37
	v_dual_cndmask_b32 v34, v3, v5 :: v_dual_cndmask_b32 v35, v2, v4
	v_cmp_eq_u32_e32 vcc_lo, 2, v37
	s_delay_alu instid0(VALU_DEP_2) | instskip(SKIP_1) | instid1(VALU_DEP_2)
	v_dual_cndmask_b32 v34, v34, v7 :: v_dual_cndmask_b32 v35, v35, v6
	v_cmp_eq_u32_e32 vcc_lo, 3, v37
	v_dual_cndmask_b32 v9, v34, v9 :: v_dual_cndmask_b32 v8, v35, v8
	v_cmp_eq_u32_e32 vcc_lo, 4, v37
	s_delay_alu instid0(VALU_DEP_2) | instskip(SKIP_1) | instid1(VALU_DEP_2)
	v_dual_cndmask_b32 v9, v9, v11 :: v_dual_cndmask_b32 v8, v8, v10
	;; [unrolled: 5-line block ×5, first 2 shown]
	v_cmp_eq_u32_e32 vcc_lo, 11, v37
	v_dual_cndmask_b32 v34, v9, v25 :: v_dual_cndmask_b32 v35, v8, v24
	v_cmp_eq_u32_e32 vcc_lo, 12, v37
	ds_load_b64 v[8:9], v98 offset:8
	v_dual_cndmask_b32 v34, v34, v27 :: v_dual_cndmask_b32 v35, v35, v26
	v_cmp_eq_u32_e32 vcc_lo, 13, v37
	s_delay_alu instid0(VALU_DEP_2) | instskip(NEXT) | instid1(VALU_DEP_3)
	v_cndmask_b32_e32 v34, v34, v29, vcc_lo
	v_cndmask_b32_e32 v38, v35, v28, vcc_lo
	v_cmp_eq_u32_e32 vcc_lo, 14, v37
	s_delay_alu instid0(VALU_DEP_3) | instskip(NEXT) | instid1(VALU_DEP_3)
	v_cndmask_b32_e32 v35, v34, v31, vcc_lo
	v_cndmask_b32_e32 v34, v38, v30, vcc_lo
	s_waitcnt lgkmcnt(0)
	s_delay_alu instid0(VALU_DEP_1)
	v_fma_f64 v[32:33], v[34:35], v[8:9], v[32:33]
	s_and_saveexec_b32 s4, s0
	s_cbranch_execz .LBB14_234
; %bb.233:
	v_mov_b32_e32 v8, 0
	ds_load_b64 v[8:9], v8 offset:144
	s_waitcnt lgkmcnt(0)
	v_fma_f64 v[32:33], v[6:7], v[8:9], v[32:33]
.LBB14_234:
	s_or_b32 exec_lo, exec_lo, s4
.LBB14_235:
	s_delay_alu instid0(SALU_CYCLE_1)
	s_or_b32 exec_lo, exec_lo, s3
	v_mov_b32_e32 v8, 0
	ds_load_b64 v[8:9], v8 offset:24
	s_waitcnt lgkmcnt(0)
	v_mul_f64 v[8:9], v[32:33], v[8:9]
.LBB14_236:
	s_or_b32 exec_lo, exec_lo, s2
	s_delay_alu instid0(SALU_CYCLE_1)
	s_mov_b32 s3, exec_lo
	ds_store_b64 v98, v[10:11]
	s_waitcnt lgkmcnt(0)
	s_barrier
	buffer_gl0_inv
	v_cmpx_gt_u32_e32 4, v0
	s_cbranch_execz .LBB14_246
; %bb.237:
	v_cmp_ne_u32_e32 vcc_lo, 1, v36
	s_cbranch_vccnz .LBB14_239
; %bb.238:
	v_cmp_eq_u32_e32 vcc_lo, 1, v0
	v_dual_cndmask_b32 v32, v3, v5 :: v_dual_cndmask_b32 v33, v2, v4
	v_cmp_eq_u32_e32 vcc_lo, 2, v0
	s_delay_alu instid0(VALU_DEP_2) | instskip(SKIP_1) | instid1(VALU_DEP_2)
	v_dual_cndmask_b32 v32, v32, v7 :: v_dual_cndmask_b32 v33, v33, v6
	v_cmp_eq_u32_e32 vcc_lo, 3, v0
	v_dual_cndmask_b32 v32, v32, v9 :: v_dual_cndmask_b32 v33, v33, v8
	v_cmp_eq_u32_e32 vcc_lo, 4, v0
	s_delay_alu instid0(VALU_DEP_2) | instskip(SKIP_1) | instid1(VALU_DEP_2)
	v_dual_cndmask_b32 v32, v32, v11 :: v_dual_cndmask_b32 v33, v33, v10
	;; [unrolled: 5-line block ×5, first 2 shown]
	v_cmp_eq_u32_e32 vcc_lo, 11, v0
	v_dual_cndmask_b32 v34, v32, v25 :: v_dual_cndmask_b32 v35, v33, v24
	v_cmp_eq_u32_e32 vcc_lo, 12, v0
	ds_load_b64 v[32:33], v98
	v_dual_cndmask_b32 v34, v34, v27 :: v_dual_cndmask_b32 v35, v35, v26
	v_cmp_eq_u32_e32 vcc_lo, 13, v0
	s_delay_alu instid0(VALU_DEP_2) | instskip(NEXT) | instid1(VALU_DEP_3)
	v_cndmask_b32_e32 v34, v34, v29, vcc_lo
	v_cndmask_b32_e32 v38, v35, v28, vcc_lo
	v_cmp_eq_u32_e32 vcc_lo, 14, v0
	s_delay_alu instid0(VALU_DEP_3) | instskip(NEXT) | instid1(VALU_DEP_3)
	v_cndmask_b32_e32 v35, v34, v31, vcc_lo
	v_cndmask_b32_e32 v34, v38, v30, vcc_lo
	s_waitcnt lgkmcnt(0)
	s_delay_alu instid0(VALU_DEP_1)
	v_mul_f64 v[32:33], v[34:35], v[32:33]
	s_cbranch_execz .LBB14_240
	s_branch .LBB14_241
.LBB14_239:
                                        ; implicit-def: $vgpr32_vgpr33
.LBB14_240:
	ds_load_b64 v[32:33], v98
.LBB14_241:
	s_mov_b32 s4, exec_lo
	v_cmpx_ne_u32_e32 3, v0
	s_cbranch_execz .LBB14_245
; %bb.242:
	v_lshl_add_u32 v38, v0, 3, 0x88
	v_dual_mov_b32 v35, v1 :: v_dual_mov_b32 v34, v0
	s_mov_b32 s5, 0
.LBB14_243:                             ; =>This Inner Loop Header: Depth=1
	s_delay_alu instid0(VALU_DEP_1) | instskip(NEXT) | instid1(VALU_DEP_2)
	v_add_co_u32 v34, vcc_lo, v34, 1
	v_add_co_ci_u32_e32 v35, vcc_lo, 0, v35, vcc_lo
	s_delay_alu instid0(VALU_DEP_2) | instskip(SKIP_3) | instid1(VALU_DEP_2)
	v_cmp_eq_u32_e32 vcc_lo, 1, v34
	v_cmp_eq_u32_e64 s2, 2, v34
	v_dual_cndmask_b32 v39, v3, v5 :: v_dual_cndmask_b32 v40, v2, v4
	v_cmp_eq_u32_e32 vcc_lo, 3, v34
	v_cndmask_b32_e64 v39, v39, v7, s2
	s_delay_alu instid0(VALU_DEP_3) | instskip(SKIP_1) | instid1(VALU_DEP_2)
	v_cndmask_b32_e64 v40, v40, v6, s2
	v_cmp_eq_u32_e64 s2, 4, v34
	v_dual_cndmask_b32 v39, v39, v9 :: v_dual_cndmask_b32 v40, v40, v8
	v_cmp_eq_u32_e32 vcc_lo, 5, v34
	s_delay_alu instid0(VALU_DEP_2) | instskip(NEXT) | instid1(VALU_DEP_3)
	v_cndmask_b32_e64 v39, v39, v11, s2
	v_cndmask_b32_e64 v40, v40, v10, s2
	v_cmp_eq_u32_e64 s2, 6, v34
	s_delay_alu instid0(VALU_DEP_2) | instskip(SKIP_1) | instid1(VALU_DEP_2)
	v_dual_cndmask_b32 v39, v39, v13 :: v_dual_cndmask_b32 v40, v40, v12
	v_cmp_eq_u32_e32 vcc_lo, 7, v34
	v_cndmask_b32_e64 v39, v39, v15, s2
	s_delay_alu instid0(VALU_DEP_3) | instskip(SKIP_1) | instid1(VALU_DEP_2)
	v_cndmask_b32_e64 v40, v40, v14, s2
	v_cmp_eq_u32_e64 s2, 8, v34
	v_dual_cndmask_b32 v39, v39, v17 :: v_dual_cndmask_b32 v40, v40, v16
	v_cmp_eq_u32_e32 vcc_lo, 9, v34
	s_delay_alu instid0(VALU_DEP_2) | instskip(NEXT) | instid1(VALU_DEP_3)
	v_cndmask_b32_e64 v39, v39, v19, s2
	v_cndmask_b32_e64 v40, v40, v18, s2
	v_cmp_eq_u32_e64 s2, 10, v34
	s_delay_alu instid0(VALU_DEP_2) | instskip(SKIP_1) | instid1(VALU_DEP_2)
	v_dual_cndmask_b32 v39, v39, v21 :: v_dual_cndmask_b32 v40, v40, v20
	v_cmp_eq_u32_e32 vcc_lo, 11, v34
	v_cndmask_b32_e64 v41, v39, v23, s2
	s_delay_alu instid0(VALU_DEP_3)
	v_cndmask_b32_e64 v42, v40, v22, s2
	ds_load_b64 v[39:40], v38
	v_cmp_eq_u32_e64 s2, 12, v34
	v_dual_cndmask_b32 v41, v41, v25 :: v_dual_add_nc_u32 v38, 8, v38
	v_cndmask_b32_e32 v42, v42, v24, vcc_lo
	v_cmp_eq_u32_e32 vcc_lo, 13, v34
	s_delay_alu instid0(VALU_DEP_3) | instskip(NEXT) | instid1(VALU_DEP_3)
	v_cndmask_b32_e64 v41, v41, v27, s2
	v_cndmask_b32_e64 v42, v42, v26, s2
	v_cmp_eq_u32_e64 s2, 14, v34
	s_delay_alu instid0(VALU_DEP_3) | instskip(NEXT) | instid1(VALU_DEP_3)
	v_cndmask_b32_e32 v41, v41, v29, vcc_lo
	v_cndmask_b32_e32 v43, v42, v28, vcc_lo
	v_cmp_lt_u32_e32 vcc_lo, 2, v34
	s_delay_alu instid0(VALU_DEP_3) | instskip(NEXT) | instid1(VALU_DEP_3)
	v_cndmask_b32_e64 v42, v41, v31, s2
	v_cndmask_b32_e64 v41, v43, v30, s2
	s_or_b32 s5, vcc_lo, s5
	s_waitcnt lgkmcnt(0)
	s_delay_alu instid0(VALU_DEP_1)
	v_fma_f64 v[32:33], v[41:42], v[39:40], v[32:33]
	s_and_not1_b32 exec_lo, exec_lo, s5
	s_cbranch_execnz .LBB14_243
; %bb.244:
	s_or_b32 exec_lo, exec_lo, s5
.LBB14_245:
	s_delay_alu instid0(SALU_CYCLE_1)
	s_or_b32 exec_lo, exec_lo, s4
	v_mov_b32_e32 v10, 0
	ds_load_b64 v[10:11], v10 offset:32
	s_waitcnt lgkmcnt(0)
	v_mul_f64 v[10:11], v[32:33], v[10:11]
.LBB14_246:
	s_or_b32 exec_lo, exec_lo, s3
	v_cmp_gt_u32_e64 s2, 5, v0
	ds_store_b64 v98, v[12:13]
	s_waitcnt lgkmcnt(0)
	s_barrier
	buffer_gl0_inv
	s_and_saveexec_b32 s4, s2
	s_cbranch_execz .LBB14_256
; %bb.247:
	v_cmp_ne_u32_e32 vcc_lo, 1, v36
	s_cbranch_vccnz .LBB14_249
; %bb.248:
	v_cmp_eq_u32_e32 vcc_lo, 1, v0
	v_dual_cndmask_b32 v32, v3, v5 :: v_dual_cndmask_b32 v33, v2, v4
	v_cmp_eq_u32_e32 vcc_lo, 2, v0
	s_delay_alu instid0(VALU_DEP_2) | instskip(SKIP_1) | instid1(VALU_DEP_2)
	v_dual_cndmask_b32 v32, v32, v7 :: v_dual_cndmask_b32 v33, v33, v6
	v_cmp_eq_u32_e32 vcc_lo, 3, v0
	v_dual_cndmask_b32 v32, v32, v9 :: v_dual_cndmask_b32 v33, v33, v8
	v_cmp_eq_u32_e32 vcc_lo, 4, v0
	s_delay_alu instid0(VALU_DEP_2) | instskip(SKIP_1) | instid1(VALU_DEP_2)
	v_dual_cndmask_b32 v32, v32, v11 :: v_dual_cndmask_b32 v33, v33, v10
	v_cmp_eq_u32_e32 vcc_lo, 5, v0
	v_dual_cndmask_b32 v32, v32, v13 :: v_dual_cndmask_b32 v33, v33, v12
	v_cmp_eq_u32_e32 vcc_lo, 6, v0
	s_delay_alu instid0(VALU_DEP_2) | instskip(SKIP_1) | instid1(VALU_DEP_2)
	v_dual_cndmask_b32 v32, v32, v15 :: v_dual_cndmask_b32 v33, v33, v14
	v_cmp_eq_u32_e32 vcc_lo, 7, v0
	v_dual_cndmask_b32 v32, v32, v17 :: v_dual_cndmask_b32 v33, v33, v16
	v_cmp_eq_u32_e32 vcc_lo, 8, v0
	s_delay_alu instid0(VALU_DEP_2) | instskip(SKIP_1) | instid1(VALU_DEP_2)
	v_dual_cndmask_b32 v32, v32, v19 :: v_dual_cndmask_b32 v33, v33, v18
	v_cmp_eq_u32_e32 vcc_lo, 9, v0
	v_dual_cndmask_b32 v32, v32, v21 :: v_dual_cndmask_b32 v33, v33, v20
	v_cmp_eq_u32_e32 vcc_lo, 10, v0
	s_delay_alu instid0(VALU_DEP_2) | instskip(SKIP_1) | instid1(VALU_DEP_2)
	v_dual_cndmask_b32 v32, v32, v23 :: v_dual_cndmask_b32 v33, v33, v22
	v_cmp_eq_u32_e32 vcc_lo, 11, v0
	v_dual_cndmask_b32 v34, v32, v25 :: v_dual_cndmask_b32 v35, v33, v24
	v_cmp_eq_u32_e32 vcc_lo, 12, v0
	ds_load_b64 v[32:33], v98
	v_dual_cndmask_b32 v34, v34, v27 :: v_dual_cndmask_b32 v35, v35, v26
	v_cmp_eq_u32_e32 vcc_lo, 13, v0
	s_delay_alu instid0(VALU_DEP_2) | instskip(NEXT) | instid1(VALU_DEP_3)
	v_cndmask_b32_e32 v34, v34, v29, vcc_lo
	v_cndmask_b32_e32 v38, v35, v28, vcc_lo
	v_cmp_eq_u32_e32 vcc_lo, 14, v0
	s_delay_alu instid0(VALU_DEP_3) | instskip(NEXT) | instid1(VALU_DEP_3)
	v_cndmask_b32_e32 v35, v34, v31, vcc_lo
	v_cndmask_b32_e32 v34, v38, v30, vcc_lo
	s_waitcnt lgkmcnt(0)
	s_delay_alu instid0(VALU_DEP_1)
	v_mul_f64 v[32:33], v[34:35], v[32:33]
	s_cbranch_execz .LBB14_250
	s_branch .LBB14_251
.LBB14_249:
                                        ; implicit-def: $vgpr32_vgpr33
.LBB14_250:
	ds_load_b64 v[32:33], v98
.LBB14_251:
	s_mov_b32 s5, exec_lo
	v_cmpx_ne_u32_e32 4, v0
	s_cbranch_execz .LBB14_255
; %bb.252:
	v_lshl_add_u32 v38, v0, 3, 0x88
	v_dual_mov_b32 v35, v1 :: v_dual_mov_b32 v34, v0
	s_mov_b32 s6, 0
.LBB14_253:                             ; =>This Inner Loop Header: Depth=1
	s_delay_alu instid0(VALU_DEP_1) | instskip(NEXT) | instid1(VALU_DEP_2)
	v_add_co_u32 v34, vcc_lo, v34, 1
	v_add_co_ci_u32_e32 v35, vcc_lo, 0, v35, vcc_lo
	s_delay_alu instid0(VALU_DEP_2) | instskip(SKIP_3) | instid1(VALU_DEP_2)
	v_cmp_eq_u32_e32 vcc_lo, 1, v34
	v_cmp_eq_u32_e64 s3, 2, v34
	v_dual_cndmask_b32 v39, v3, v5 :: v_dual_cndmask_b32 v40, v2, v4
	v_cmp_eq_u32_e32 vcc_lo, 3, v34
	v_cndmask_b32_e64 v39, v39, v7, s3
	s_delay_alu instid0(VALU_DEP_3) | instskip(SKIP_1) | instid1(VALU_DEP_2)
	v_cndmask_b32_e64 v40, v40, v6, s3
	v_cmp_eq_u32_e64 s3, 4, v34
	v_dual_cndmask_b32 v39, v39, v9 :: v_dual_cndmask_b32 v40, v40, v8
	v_cmp_eq_u32_e32 vcc_lo, 5, v34
	s_delay_alu instid0(VALU_DEP_2) | instskip(NEXT) | instid1(VALU_DEP_3)
	v_cndmask_b32_e64 v39, v39, v11, s3
	v_cndmask_b32_e64 v40, v40, v10, s3
	v_cmp_eq_u32_e64 s3, 6, v34
	s_delay_alu instid0(VALU_DEP_2) | instskip(SKIP_1) | instid1(VALU_DEP_2)
	v_dual_cndmask_b32 v39, v39, v13 :: v_dual_cndmask_b32 v40, v40, v12
	v_cmp_eq_u32_e32 vcc_lo, 7, v34
	v_cndmask_b32_e64 v39, v39, v15, s3
	s_delay_alu instid0(VALU_DEP_3) | instskip(SKIP_1) | instid1(VALU_DEP_2)
	v_cndmask_b32_e64 v40, v40, v14, s3
	v_cmp_eq_u32_e64 s3, 8, v34
	v_dual_cndmask_b32 v39, v39, v17 :: v_dual_cndmask_b32 v40, v40, v16
	v_cmp_eq_u32_e32 vcc_lo, 9, v34
	s_delay_alu instid0(VALU_DEP_2) | instskip(NEXT) | instid1(VALU_DEP_3)
	v_cndmask_b32_e64 v39, v39, v19, s3
	v_cndmask_b32_e64 v40, v40, v18, s3
	v_cmp_eq_u32_e64 s3, 10, v34
	s_delay_alu instid0(VALU_DEP_2) | instskip(SKIP_1) | instid1(VALU_DEP_2)
	v_dual_cndmask_b32 v39, v39, v21 :: v_dual_cndmask_b32 v40, v40, v20
	v_cmp_eq_u32_e32 vcc_lo, 11, v34
	v_cndmask_b32_e64 v41, v39, v23, s3
	s_delay_alu instid0(VALU_DEP_3)
	v_cndmask_b32_e64 v42, v40, v22, s3
	ds_load_b64 v[39:40], v38
	v_cmp_eq_u32_e64 s3, 12, v34
	v_dual_cndmask_b32 v41, v41, v25 :: v_dual_add_nc_u32 v38, 8, v38
	v_cndmask_b32_e32 v42, v42, v24, vcc_lo
	v_cmp_eq_u32_e32 vcc_lo, 13, v34
	s_delay_alu instid0(VALU_DEP_3) | instskip(NEXT) | instid1(VALU_DEP_3)
	v_cndmask_b32_e64 v41, v41, v27, s3
	v_cndmask_b32_e64 v42, v42, v26, s3
	v_cmp_eq_u32_e64 s3, 14, v34
	s_delay_alu instid0(VALU_DEP_3) | instskip(NEXT) | instid1(VALU_DEP_3)
	v_cndmask_b32_e32 v41, v41, v29, vcc_lo
	v_cndmask_b32_e32 v43, v42, v28, vcc_lo
	v_cmp_lt_u32_e32 vcc_lo, 3, v34
	s_delay_alu instid0(VALU_DEP_3) | instskip(NEXT) | instid1(VALU_DEP_3)
	v_cndmask_b32_e64 v42, v41, v31, s3
	v_cndmask_b32_e64 v41, v43, v30, s3
	s_or_b32 s6, vcc_lo, s6
	s_waitcnt lgkmcnt(0)
	s_delay_alu instid0(VALU_DEP_1)
	v_fma_f64 v[32:33], v[41:42], v[39:40], v[32:33]
	s_and_not1_b32 exec_lo, exec_lo, s6
	s_cbranch_execnz .LBB14_253
; %bb.254:
	s_or_b32 exec_lo, exec_lo, s6
.LBB14_255:
	s_delay_alu instid0(SALU_CYCLE_1)
	s_or_b32 exec_lo, exec_lo, s5
	v_mov_b32_e32 v12, 0
	ds_load_b64 v[12:13], v12 offset:40
	s_waitcnt lgkmcnt(0)
	v_mul_f64 v[12:13], v[32:33], v[12:13]
.LBB14_256:
	s_or_b32 exec_lo, exec_lo, s4
	s_delay_alu instid0(SALU_CYCLE_1)
	s_mov_b32 s4, exec_lo
	ds_store_b64 v98, v[14:15]
	s_waitcnt lgkmcnt(0)
	s_barrier
	buffer_gl0_inv
	v_cmpx_gt_u32_e32 6, v0
	s_cbranch_execz .LBB14_266
; %bb.257:
	v_cmp_ne_u32_e32 vcc_lo, 1, v36
	s_cbranch_vccnz .LBB14_259
; %bb.258:
	v_cmp_eq_u32_e32 vcc_lo, 1, v0
	v_dual_cndmask_b32 v32, v3, v5 :: v_dual_cndmask_b32 v33, v2, v4
	v_cmp_eq_u32_e32 vcc_lo, 2, v0
	s_delay_alu instid0(VALU_DEP_2) | instskip(SKIP_1) | instid1(VALU_DEP_2)
	v_dual_cndmask_b32 v32, v32, v7 :: v_dual_cndmask_b32 v33, v33, v6
	v_cmp_eq_u32_e32 vcc_lo, 3, v0
	v_dual_cndmask_b32 v32, v32, v9 :: v_dual_cndmask_b32 v33, v33, v8
	v_cmp_eq_u32_e32 vcc_lo, 4, v0
	s_delay_alu instid0(VALU_DEP_2) | instskip(SKIP_1) | instid1(VALU_DEP_2)
	v_dual_cndmask_b32 v32, v32, v11 :: v_dual_cndmask_b32 v33, v33, v10
	;; [unrolled: 5-line block ×5, first 2 shown]
	v_cmp_eq_u32_e32 vcc_lo, 11, v0
	v_dual_cndmask_b32 v34, v32, v25 :: v_dual_cndmask_b32 v35, v33, v24
	v_cmp_eq_u32_e32 vcc_lo, 12, v0
	ds_load_b64 v[32:33], v98
	v_dual_cndmask_b32 v34, v34, v27 :: v_dual_cndmask_b32 v35, v35, v26
	v_cmp_eq_u32_e32 vcc_lo, 13, v0
	s_delay_alu instid0(VALU_DEP_2) | instskip(NEXT) | instid1(VALU_DEP_3)
	v_cndmask_b32_e32 v34, v34, v29, vcc_lo
	v_cndmask_b32_e32 v38, v35, v28, vcc_lo
	v_cmp_eq_u32_e32 vcc_lo, 14, v0
	s_delay_alu instid0(VALU_DEP_3) | instskip(NEXT) | instid1(VALU_DEP_3)
	v_cndmask_b32_e32 v35, v34, v31, vcc_lo
	v_cndmask_b32_e32 v34, v38, v30, vcc_lo
	s_waitcnt lgkmcnt(0)
	s_delay_alu instid0(VALU_DEP_1)
	v_mul_f64 v[32:33], v[34:35], v[32:33]
	s_cbranch_execz .LBB14_260
	s_branch .LBB14_261
.LBB14_259:
                                        ; implicit-def: $vgpr32_vgpr33
.LBB14_260:
	ds_load_b64 v[32:33], v98
.LBB14_261:
	s_mov_b32 s5, exec_lo
	v_cmpx_ne_u32_e32 5, v0
	s_cbranch_execz .LBB14_265
; %bb.262:
	v_lshl_add_u32 v38, v0, 3, 0x88
	v_dual_mov_b32 v35, v1 :: v_dual_mov_b32 v34, v0
	s_mov_b32 s6, 0
.LBB14_263:                             ; =>This Inner Loop Header: Depth=1
	s_delay_alu instid0(VALU_DEP_1) | instskip(NEXT) | instid1(VALU_DEP_2)
	v_add_co_u32 v34, vcc_lo, v34, 1
	v_add_co_ci_u32_e32 v35, vcc_lo, 0, v35, vcc_lo
	s_delay_alu instid0(VALU_DEP_2) | instskip(SKIP_3) | instid1(VALU_DEP_2)
	v_cmp_eq_u32_e32 vcc_lo, 1, v34
	v_cmp_eq_u32_e64 s3, 2, v34
	v_dual_cndmask_b32 v39, v3, v5 :: v_dual_cndmask_b32 v40, v2, v4
	v_cmp_eq_u32_e32 vcc_lo, 3, v34
	v_cndmask_b32_e64 v39, v39, v7, s3
	s_delay_alu instid0(VALU_DEP_3) | instskip(SKIP_1) | instid1(VALU_DEP_2)
	v_cndmask_b32_e64 v40, v40, v6, s3
	v_cmp_eq_u32_e64 s3, 4, v34
	v_dual_cndmask_b32 v39, v39, v9 :: v_dual_cndmask_b32 v40, v40, v8
	v_cmp_eq_u32_e32 vcc_lo, 5, v34
	s_delay_alu instid0(VALU_DEP_2) | instskip(NEXT) | instid1(VALU_DEP_3)
	v_cndmask_b32_e64 v39, v39, v11, s3
	v_cndmask_b32_e64 v40, v40, v10, s3
	v_cmp_eq_u32_e64 s3, 6, v34
	s_delay_alu instid0(VALU_DEP_2) | instskip(SKIP_1) | instid1(VALU_DEP_2)
	v_dual_cndmask_b32 v39, v39, v13 :: v_dual_cndmask_b32 v40, v40, v12
	v_cmp_eq_u32_e32 vcc_lo, 7, v34
	v_cndmask_b32_e64 v39, v39, v15, s3
	s_delay_alu instid0(VALU_DEP_3) | instskip(SKIP_1) | instid1(VALU_DEP_2)
	v_cndmask_b32_e64 v40, v40, v14, s3
	v_cmp_eq_u32_e64 s3, 8, v34
	v_dual_cndmask_b32 v39, v39, v17 :: v_dual_cndmask_b32 v40, v40, v16
	v_cmp_eq_u32_e32 vcc_lo, 9, v34
	s_delay_alu instid0(VALU_DEP_2) | instskip(NEXT) | instid1(VALU_DEP_3)
	v_cndmask_b32_e64 v39, v39, v19, s3
	v_cndmask_b32_e64 v40, v40, v18, s3
	v_cmp_eq_u32_e64 s3, 10, v34
	s_delay_alu instid0(VALU_DEP_2) | instskip(SKIP_1) | instid1(VALU_DEP_2)
	v_dual_cndmask_b32 v39, v39, v21 :: v_dual_cndmask_b32 v40, v40, v20
	v_cmp_eq_u32_e32 vcc_lo, 11, v34
	v_cndmask_b32_e64 v41, v39, v23, s3
	s_delay_alu instid0(VALU_DEP_3)
	v_cndmask_b32_e64 v42, v40, v22, s3
	ds_load_b64 v[39:40], v38
	v_cmp_eq_u32_e64 s3, 12, v34
	v_dual_cndmask_b32 v41, v41, v25 :: v_dual_add_nc_u32 v38, 8, v38
	v_cndmask_b32_e32 v42, v42, v24, vcc_lo
	v_cmp_eq_u32_e32 vcc_lo, 13, v34
	s_delay_alu instid0(VALU_DEP_3) | instskip(NEXT) | instid1(VALU_DEP_3)
	v_cndmask_b32_e64 v41, v41, v27, s3
	v_cndmask_b32_e64 v42, v42, v26, s3
	v_cmp_eq_u32_e64 s3, 14, v34
	s_delay_alu instid0(VALU_DEP_3) | instskip(NEXT) | instid1(VALU_DEP_3)
	v_cndmask_b32_e32 v41, v41, v29, vcc_lo
	v_cndmask_b32_e32 v43, v42, v28, vcc_lo
	v_cmp_lt_u32_e32 vcc_lo, 4, v34
	s_delay_alu instid0(VALU_DEP_3) | instskip(NEXT) | instid1(VALU_DEP_3)
	v_cndmask_b32_e64 v42, v41, v31, s3
	v_cndmask_b32_e64 v41, v43, v30, s3
	s_or_b32 s6, vcc_lo, s6
	s_waitcnt lgkmcnt(0)
	s_delay_alu instid0(VALU_DEP_1)
	v_fma_f64 v[32:33], v[41:42], v[39:40], v[32:33]
	s_and_not1_b32 exec_lo, exec_lo, s6
	s_cbranch_execnz .LBB14_263
; %bb.264:
	s_or_b32 exec_lo, exec_lo, s6
.LBB14_265:
	s_delay_alu instid0(SALU_CYCLE_1)
	s_or_b32 exec_lo, exec_lo, s5
	v_mov_b32_e32 v14, 0
	ds_load_b64 v[14:15], v14 offset:48
	s_waitcnt lgkmcnt(0)
	v_mul_f64 v[14:15], v[32:33], v[14:15]
.LBB14_266:
	s_or_b32 exec_lo, exec_lo, s4
	v_cmp_gt_u32_e64 s3, 7, v0
	ds_store_b64 v98, v[16:17]
	s_waitcnt lgkmcnt(0)
	s_barrier
	buffer_gl0_inv
	s_and_saveexec_b32 s5, s3
	s_cbranch_execz .LBB14_276
; %bb.267:
	v_cmp_ne_u32_e32 vcc_lo, 1, v36
	s_cbranch_vccnz .LBB14_269
; %bb.268:
	v_cmp_eq_u32_e32 vcc_lo, 1, v0
	v_dual_cndmask_b32 v32, v3, v5 :: v_dual_cndmask_b32 v33, v2, v4
	v_cmp_eq_u32_e32 vcc_lo, 2, v0
	s_delay_alu instid0(VALU_DEP_2) | instskip(SKIP_1) | instid1(VALU_DEP_2)
	v_dual_cndmask_b32 v32, v32, v7 :: v_dual_cndmask_b32 v33, v33, v6
	v_cmp_eq_u32_e32 vcc_lo, 3, v0
	v_dual_cndmask_b32 v32, v32, v9 :: v_dual_cndmask_b32 v33, v33, v8
	v_cmp_eq_u32_e32 vcc_lo, 4, v0
	s_delay_alu instid0(VALU_DEP_2) | instskip(SKIP_1) | instid1(VALU_DEP_2)
	v_dual_cndmask_b32 v32, v32, v11 :: v_dual_cndmask_b32 v33, v33, v10
	v_cmp_eq_u32_e32 vcc_lo, 5, v0
	v_dual_cndmask_b32 v32, v32, v13 :: v_dual_cndmask_b32 v33, v33, v12
	v_cmp_eq_u32_e32 vcc_lo, 6, v0
	s_delay_alu instid0(VALU_DEP_2) | instskip(SKIP_1) | instid1(VALU_DEP_2)
	v_dual_cndmask_b32 v32, v32, v15 :: v_dual_cndmask_b32 v33, v33, v14
	v_cmp_eq_u32_e32 vcc_lo, 7, v0
	v_dual_cndmask_b32 v32, v32, v17 :: v_dual_cndmask_b32 v33, v33, v16
	v_cmp_eq_u32_e32 vcc_lo, 8, v0
	s_delay_alu instid0(VALU_DEP_2) | instskip(SKIP_1) | instid1(VALU_DEP_2)
	v_dual_cndmask_b32 v32, v32, v19 :: v_dual_cndmask_b32 v33, v33, v18
	v_cmp_eq_u32_e32 vcc_lo, 9, v0
	v_dual_cndmask_b32 v32, v32, v21 :: v_dual_cndmask_b32 v33, v33, v20
	v_cmp_eq_u32_e32 vcc_lo, 10, v0
	s_delay_alu instid0(VALU_DEP_2) | instskip(SKIP_1) | instid1(VALU_DEP_2)
	v_dual_cndmask_b32 v32, v32, v23 :: v_dual_cndmask_b32 v33, v33, v22
	v_cmp_eq_u32_e32 vcc_lo, 11, v0
	v_dual_cndmask_b32 v34, v32, v25 :: v_dual_cndmask_b32 v35, v33, v24
	v_cmp_eq_u32_e32 vcc_lo, 12, v0
	ds_load_b64 v[32:33], v98
	v_dual_cndmask_b32 v34, v34, v27 :: v_dual_cndmask_b32 v35, v35, v26
	v_cmp_eq_u32_e32 vcc_lo, 13, v0
	s_delay_alu instid0(VALU_DEP_2) | instskip(NEXT) | instid1(VALU_DEP_3)
	v_cndmask_b32_e32 v34, v34, v29, vcc_lo
	v_cndmask_b32_e32 v38, v35, v28, vcc_lo
	v_cmp_eq_u32_e32 vcc_lo, 14, v0
	s_delay_alu instid0(VALU_DEP_3) | instskip(NEXT) | instid1(VALU_DEP_3)
	v_cndmask_b32_e32 v35, v34, v31, vcc_lo
	v_cndmask_b32_e32 v34, v38, v30, vcc_lo
	s_waitcnt lgkmcnt(0)
	s_delay_alu instid0(VALU_DEP_1)
	v_mul_f64 v[32:33], v[34:35], v[32:33]
	s_cbranch_execz .LBB14_270
	s_branch .LBB14_271
.LBB14_269:
                                        ; implicit-def: $vgpr32_vgpr33
.LBB14_270:
	ds_load_b64 v[32:33], v98
.LBB14_271:
	s_mov_b32 s6, exec_lo
	v_cmpx_ne_u32_e32 6, v0
	s_cbranch_execz .LBB14_275
; %bb.272:
	v_lshl_add_u32 v38, v0, 3, 0x88
	v_dual_mov_b32 v35, v1 :: v_dual_mov_b32 v34, v0
	s_mov_b32 s7, 0
.LBB14_273:                             ; =>This Inner Loop Header: Depth=1
	s_delay_alu instid0(VALU_DEP_1) | instskip(NEXT) | instid1(VALU_DEP_2)
	v_add_co_u32 v34, vcc_lo, v34, 1
	v_add_co_ci_u32_e32 v35, vcc_lo, 0, v35, vcc_lo
	s_delay_alu instid0(VALU_DEP_2) | instskip(SKIP_3) | instid1(VALU_DEP_2)
	v_cmp_eq_u32_e32 vcc_lo, 1, v34
	v_cmp_eq_u32_e64 s4, 2, v34
	v_dual_cndmask_b32 v39, v3, v5 :: v_dual_cndmask_b32 v40, v2, v4
	v_cmp_eq_u32_e32 vcc_lo, 3, v34
	v_cndmask_b32_e64 v39, v39, v7, s4
	s_delay_alu instid0(VALU_DEP_3) | instskip(SKIP_1) | instid1(VALU_DEP_2)
	v_cndmask_b32_e64 v40, v40, v6, s4
	v_cmp_eq_u32_e64 s4, 4, v34
	v_dual_cndmask_b32 v39, v39, v9 :: v_dual_cndmask_b32 v40, v40, v8
	v_cmp_eq_u32_e32 vcc_lo, 5, v34
	s_delay_alu instid0(VALU_DEP_2) | instskip(NEXT) | instid1(VALU_DEP_3)
	v_cndmask_b32_e64 v39, v39, v11, s4
	v_cndmask_b32_e64 v40, v40, v10, s4
	v_cmp_eq_u32_e64 s4, 6, v34
	s_delay_alu instid0(VALU_DEP_2) | instskip(SKIP_1) | instid1(VALU_DEP_2)
	v_dual_cndmask_b32 v39, v39, v13 :: v_dual_cndmask_b32 v40, v40, v12
	v_cmp_eq_u32_e32 vcc_lo, 7, v34
	v_cndmask_b32_e64 v39, v39, v15, s4
	s_delay_alu instid0(VALU_DEP_3) | instskip(SKIP_1) | instid1(VALU_DEP_2)
	v_cndmask_b32_e64 v40, v40, v14, s4
	v_cmp_eq_u32_e64 s4, 8, v34
	v_dual_cndmask_b32 v39, v39, v17 :: v_dual_cndmask_b32 v40, v40, v16
	v_cmp_eq_u32_e32 vcc_lo, 9, v34
	s_delay_alu instid0(VALU_DEP_2) | instskip(NEXT) | instid1(VALU_DEP_3)
	v_cndmask_b32_e64 v39, v39, v19, s4
	v_cndmask_b32_e64 v40, v40, v18, s4
	v_cmp_eq_u32_e64 s4, 10, v34
	s_delay_alu instid0(VALU_DEP_2) | instskip(SKIP_1) | instid1(VALU_DEP_2)
	v_dual_cndmask_b32 v39, v39, v21 :: v_dual_cndmask_b32 v40, v40, v20
	v_cmp_eq_u32_e32 vcc_lo, 11, v34
	v_cndmask_b32_e64 v41, v39, v23, s4
	s_delay_alu instid0(VALU_DEP_3)
	v_cndmask_b32_e64 v42, v40, v22, s4
	ds_load_b64 v[39:40], v38
	v_cmp_eq_u32_e64 s4, 12, v34
	v_dual_cndmask_b32 v41, v41, v25 :: v_dual_add_nc_u32 v38, 8, v38
	v_cndmask_b32_e32 v42, v42, v24, vcc_lo
	v_cmp_eq_u32_e32 vcc_lo, 13, v34
	s_delay_alu instid0(VALU_DEP_3) | instskip(NEXT) | instid1(VALU_DEP_3)
	v_cndmask_b32_e64 v41, v41, v27, s4
	v_cndmask_b32_e64 v42, v42, v26, s4
	v_cmp_eq_u32_e64 s4, 14, v34
	s_delay_alu instid0(VALU_DEP_3) | instskip(NEXT) | instid1(VALU_DEP_3)
	v_cndmask_b32_e32 v41, v41, v29, vcc_lo
	v_cndmask_b32_e32 v43, v42, v28, vcc_lo
	v_cmp_lt_u32_e32 vcc_lo, 5, v34
	s_delay_alu instid0(VALU_DEP_3) | instskip(NEXT) | instid1(VALU_DEP_3)
	v_cndmask_b32_e64 v42, v41, v31, s4
	v_cndmask_b32_e64 v41, v43, v30, s4
	s_or_b32 s7, vcc_lo, s7
	s_waitcnt lgkmcnt(0)
	s_delay_alu instid0(VALU_DEP_1)
	v_fma_f64 v[32:33], v[41:42], v[39:40], v[32:33]
	s_and_not1_b32 exec_lo, exec_lo, s7
	s_cbranch_execnz .LBB14_273
; %bb.274:
	s_or_b32 exec_lo, exec_lo, s7
.LBB14_275:
	s_delay_alu instid0(SALU_CYCLE_1)
	s_or_b32 exec_lo, exec_lo, s6
	v_mov_b32_e32 v16, 0
	ds_load_b64 v[16:17], v16 offset:56
	s_waitcnt lgkmcnt(0)
	v_mul_f64 v[16:17], v[32:33], v[16:17]
.LBB14_276:
	s_or_b32 exec_lo, exec_lo, s5
	s_delay_alu instid0(SALU_CYCLE_1)
	s_mov_b32 s5, exec_lo
	ds_store_b64 v98, v[18:19]
	s_waitcnt lgkmcnt(0)
	s_barrier
	buffer_gl0_inv
	v_cmpx_gt_u32_e32 8, v0
	s_cbranch_execz .LBB14_286
; %bb.277:
	v_cmp_ne_u32_e32 vcc_lo, 1, v36
	s_cbranch_vccnz .LBB14_279
; %bb.278:
	v_cmp_eq_u32_e32 vcc_lo, 1, v0
	v_dual_cndmask_b32 v32, v3, v5 :: v_dual_cndmask_b32 v33, v2, v4
	v_cmp_eq_u32_e32 vcc_lo, 2, v0
	s_delay_alu instid0(VALU_DEP_2) | instskip(SKIP_1) | instid1(VALU_DEP_2)
	v_dual_cndmask_b32 v32, v32, v7 :: v_dual_cndmask_b32 v33, v33, v6
	v_cmp_eq_u32_e32 vcc_lo, 3, v0
	v_dual_cndmask_b32 v32, v32, v9 :: v_dual_cndmask_b32 v33, v33, v8
	v_cmp_eq_u32_e32 vcc_lo, 4, v0
	s_delay_alu instid0(VALU_DEP_2) | instskip(SKIP_1) | instid1(VALU_DEP_2)
	v_dual_cndmask_b32 v32, v32, v11 :: v_dual_cndmask_b32 v33, v33, v10
	v_cmp_eq_u32_e32 vcc_lo, 5, v0
	v_dual_cndmask_b32 v32, v32, v13 :: v_dual_cndmask_b32 v33, v33, v12
	v_cmp_eq_u32_e32 vcc_lo, 6, v0
	s_delay_alu instid0(VALU_DEP_2) | instskip(SKIP_1) | instid1(VALU_DEP_2)
	v_dual_cndmask_b32 v32, v32, v15 :: v_dual_cndmask_b32 v33, v33, v14
	v_cmp_eq_u32_e32 vcc_lo, 7, v0
	v_dual_cndmask_b32 v32, v32, v17 :: v_dual_cndmask_b32 v33, v33, v16
	v_cmp_eq_u32_e32 vcc_lo, 8, v0
	s_delay_alu instid0(VALU_DEP_2) | instskip(SKIP_1) | instid1(VALU_DEP_2)
	v_dual_cndmask_b32 v32, v32, v19 :: v_dual_cndmask_b32 v33, v33, v18
	v_cmp_eq_u32_e32 vcc_lo, 9, v0
	v_dual_cndmask_b32 v32, v32, v21 :: v_dual_cndmask_b32 v33, v33, v20
	v_cmp_eq_u32_e32 vcc_lo, 10, v0
	s_delay_alu instid0(VALU_DEP_2) | instskip(SKIP_1) | instid1(VALU_DEP_2)
	v_dual_cndmask_b32 v32, v32, v23 :: v_dual_cndmask_b32 v33, v33, v22
	v_cmp_eq_u32_e32 vcc_lo, 11, v0
	v_dual_cndmask_b32 v34, v32, v25 :: v_dual_cndmask_b32 v35, v33, v24
	v_cmp_eq_u32_e32 vcc_lo, 12, v0
	ds_load_b64 v[32:33], v98
	v_dual_cndmask_b32 v34, v34, v27 :: v_dual_cndmask_b32 v35, v35, v26
	v_cmp_eq_u32_e32 vcc_lo, 13, v0
	s_delay_alu instid0(VALU_DEP_2) | instskip(NEXT) | instid1(VALU_DEP_3)
	v_cndmask_b32_e32 v34, v34, v29, vcc_lo
	v_cndmask_b32_e32 v38, v35, v28, vcc_lo
	v_cmp_eq_u32_e32 vcc_lo, 14, v0
	s_delay_alu instid0(VALU_DEP_3) | instskip(NEXT) | instid1(VALU_DEP_3)
	v_cndmask_b32_e32 v35, v34, v31, vcc_lo
	v_cndmask_b32_e32 v34, v38, v30, vcc_lo
	s_waitcnt lgkmcnt(0)
	s_delay_alu instid0(VALU_DEP_1)
	v_mul_f64 v[32:33], v[34:35], v[32:33]
	s_cbranch_execz .LBB14_280
	s_branch .LBB14_281
.LBB14_279:
                                        ; implicit-def: $vgpr32_vgpr33
.LBB14_280:
	ds_load_b64 v[32:33], v98
.LBB14_281:
	s_mov_b32 s6, exec_lo
	v_cmpx_ne_u32_e32 7, v0
	s_cbranch_execz .LBB14_285
; %bb.282:
	v_lshl_add_u32 v38, v0, 3, 0x88
	v_dual_mov_b32 v35, v1 :: v_dual_mov_b32 v34, v0
	s_mov_b32 s7, 0
.LBB14_283:                             ; =>This Inner Loop Header: Depth=1
	s_delay_alu instid0(VALU_DEP_1) | instskip(NEXT) | instid1(VALU_DEP_2)
	v_add_co_u32 v34, vcc_lo, v34, 1
	v_add_co_ci_u32_e32 v35, vcc_lo, 0, v35, vcc_lo
	s_delay_alu instid0(VALU_DEP_2) | instskip(SKIP_3) | instid1(VALU_DEP_2)
	v_cmp_eq_u32_e32 vcc_lo, 1, v34
	v_cmp_eq_u32_e64 s4, 2, v34
	v_dual_cndmask_b32 v39, v3, v5 :: v_dual_cndmask_b32 v40, v2, v4
	v_cmp_eq_u32_e32 vcc_lo, 3, v34
	v_cndmask_b32_e64 v39, v39, v7, s4
	s_delay_alu instid0(VALU_DEP_3) | instskip(SKIP_1) | instid1(VALU_DEP_2)
	v_cndmask_b32_e64 v40, v40, v6, s4
	v_cmp_eq_u32_e64 s4, 4, v34
	v_dual_cndmask_b32 v39, v39, v9 :: v_dual_cndmask_b32 v40, v40, v8
	v_cmp_eq_u32_e32 vcc_lo, 5, v34
	s_delay_alu instid0(VALU_DEP_2) | instskip(NEXT) | instid1(VALU_DEP_3)
	v_cndmask_b32_e64 v39, v39, v11, s4
	v_cndmask_b32_e64 v40, v40, v10, s4
	v_cmp_eq_u32_e64 s4, 6, v34
	s_delay_alu instid0(VALU_DEP_2) | instskip(SKIP_1) | instid1(VALU_DEP_2)
	v_dual_cndmask_b32 v39, v39, v13 :: v_dual_cndmask_b32 v40, v40, v12
	v_cmp_eq_u32_e32 vcc_lo, 7, v34
	v_cndmask_b32_e64 v39, v39, v15, s4
	s_delay_alu instid0(VALU_DEP_3) | instskip(SKIP_1) | instid1(VALU_DEP_2)
	v_cndmask_b32_e64 v40, v40, v14, s4
	v_cmp_eq_u32_e64 s4, 8, v34
	v_dual_cndmask_b32 v39, v39, v17 :: v_dual_cndmask_b32 v40, v40, v16
	v_cmp_eq_u32_e32 vcc_lo, 9, v34
	s_delay_alu instid0(VALU_DEP_2) | instskip(NEXT) | instid1(VALU_DEP_3)
	v_cndmask_b32_e64 v39, v39, v19, s4
	v_cndmask_b32_e64 v40, v40, v18, s4
	v_cmp_eq_u32_e64 s4, 10, v34
	s_delay_alu instid0(VALU_DEP_2) | instskip(SKIP_1) | instid1(VALU_DEP_2)
	v_dual_cndmask_b32 v39, v39, v21 :: v_dual_cndmask_b32 v40, v40, v20
	v_cmp_eq_u32_e32 vcc_lo, 11, v34
	v_cndmask_b32_e64 v41, v39, v23, s4
	s_delay_alu instid0(VALU_DEP_3)
	v_cndmask_b32_e64 v42, v40, v22, s4
	ds_load_b64 v[39:40], v38
	v_cmp_eq_u32_e64 s4, 12, v34
	v_dual_cndmask_b32 v41, v41, v25 :: v_dual_add_nc_u32 v38, 8, v38
	v_cndmask_b32_e32 v42, v42, v24, vcc_lo
	v_cmp_eq_u32_e32 vcc_lo, 13, v34
	s_delay_alu instid0(VALU_DEP_3) | instskip(NEXT) | instid1(VALU_DEP_3)
	v_cndmask_b32_e64 v41, v41, v27, s4
	v_cndmask_b32_e64 v42, v42, v26, s4
	v_cmp_eq_u32_e64 s4, 14, v34
	s_delay_alu instid0(VALU_DEP_3) | instskip(NEXT) | instid1(VALU_DEP_3)
	v_cndmask_b32_e32 v41, v41, v29, vcc_lo
	v_cndmask_b32_e32 v43, v42, v28, vcc_lo
	v_cmp_lt_u32_e32 vcc_lo, 6, v34
	s_delay_alu instid0(VALU_DEP_3) | instskip(NEXT) | instid1(VALU_DEP_3)
	v_cndmask_b32_e64 v42, v41, v31, s4
	v_cndmask_b32_e64 v41, v43, v30, s4
	s_or_b32 s7, vcc_lo, s7
	s_waitcnt lgkmcnt(0)
	s_delay_alu instid0(VALU_DEP_1)
	v_fma_f64 v[32:33], v[41:42], v[39:40], v[32:33]
	s_and_not1_b32 exec_lo, exec_lo, s7
	s_cbranch_execnz .LBB14_283
; %bb.284:
	s_or_b32 exec_lo, exec_lo, s7
.LBB14_285:
	s_delay_alu instid0(SALU_CYCLE_1)
	s_or_b32 exec_lo, exec_lo, s6
	v_mov_b32_e32 v18, 0
	ds_load_b64 v[18:19], v18 offset:64
	s_waitcnt lgkmcnt(0)
	v_mul_f64 v[18:19], v[32:33], v[18:19]
.LBB14_286:
	s_or_b32 exec_lo, exec_lo, s5
	s_delay_alu instid0(SALU_CYCLE_1)
	s_mov_b32 s4, exec_lo
	ds_store_b64 v98, v[20:21]
	s_waitcnt lgkmcnt(0)
	s_barrier
	buffer_gl0_inv
	v_cmpx_gt_u32_e32 9, v0
	s_cbranch_execz .LBB14_308
; %bb.287:
	v_cmp_ne_u32_e32 vcc_lo, 1, v36
	s_cbranch_vccnz .LBB14_289
; %bb.288:
	v_cmp_eq_u32_e32 vcc_lo, 1, v0
	v_dual_cndmask_b32 v32, v3, v5 :: v_dual_cndmask_b32 v33, v2, v4
	v_cmp_eq_u32_e32 vcc_lo, 2, v0
	s_delay_alu instid0(VALU_DEP_2) | instskip(SKIP_1) | instid1(VALU_DEP_2)
	v_dual_cndmask_b32 v32, v32, v7 :: v_dual_cndmask_b32 v33, v33, v6
	v_cmp_eq_u32_e32 vcc_lo, 3, v0
	v_dual_cndmask_b32 v32, v32, v9 :: v_dual_cndmask_b32 v33, v33, v8
	v_cmp_eq_u32_e32 vcc_lo, 4, v0
	s_delay_alu instid0(VALU_DEP_2) | instskip(SKIP_1) | instid1(VALU_DEP_2)
	v_dual_cndmask_b32 v32, v32, v11 :: v_dual_cndmask_b32 v33, v33, v10
	;; [unrolled: 5-line block ×5, first 2 shown]
	v_cmp_eq_u32_e32 vcc_lo, 11, v0
	v_dual_cndmask_b32 v34, v32, v25 :: v_dual_cndmask_b32 v35, v33, v24
	v_cmp_eq_u32_e32 vcc_lo, 12, v0
	ds_load_b64 v[32:33], v98
	v_dual_cndmask_b32 v34, v34, v27 :: v_dual_cndmask_b32 v35, v35, v26
	v_cmp_eq_u32_e32 vcc_lo, 13, v0
	s_delay_alu instid0(VALU_DEP_2) | instskip(NEXT) | instid1(VALU_DEP_3)
	v_cndmask_b32_e32 v34, v34, v29, vcc_lo
	v_cndmask_b32_e32 v38, v35, v28, vcc_lo
	v_cmp_eq_u32_e32 vcc_lo, 14, v0
	s_delay_alu instid0(VALU_DEP_3) | instskip(NEXT) | instid1(VALU_DEP_3)
	v_cndmask_b32_e32 v35, v34, v31, vcc_lo
	v_cndmask_b32_e32 v34, v38, v30, vcc_lo
	s_waitcnt lgkmcnt(0)
	s_delay_alu instid0(VALU_DEP_1)
	v_mul_f64 v[32:33], v[34:35], v[32:33]
	s_cbranch_execz .LBB14_290
	s_branch .LBB14_291
.LBB14_289:
                                        ; implicit-def: $vgpr32_vgpr33
.LBB14_290:
	ds_load_b64 v[32:33], v98
.LBB14_291:
	s_mov_b32 s5, exec_lo
	v_cmpx_ne_u32_e32 8, v0
	s_cbranch_execz .LBB14_307
; %bb.292:
	v_cmp_eq_u32_e32 vcc_lo, 1, v37
	v_dual_cndmask_b32 v34, v3, v5 :: v_dual_cndmask_b32 v35, v2, v4
	v_cmp_eq_u32_e32 vcc_lo, 2, v37
	s_delay_alu instid0(VALU_DEP_2) | instskip(SKIP_1) | instid1(VALU_DEP_2)
	v_dual_cndmask_b32 v34, v34, v7 :: v_dual_cndmask_b32 v35, v35, v6
	v_cmp_eq_u32_e32 vcc_lo, 3, v37
	v_dual_cndmask_b32 v34, v34, v9 :: v_dual_cndmask_b32 v35, v35, v8
	v_cmp_eq_u32_e32 vcc_lo, 4, v37
	s_delay_alu instid0(VALU_DEP_2) | instskip(SKIP_1) | instid1(VALU_DEP_2)
	v_dual_cndmask_b32 v34, v34, v11 :: v_dual_cndmask_b32 v35, v35, v10
	;; [unrolled: 5-line block ×5, first 2 shown]
	v_cmp_eq_u32_e32 vcc_lo, 11, v37
	v_dual_cndmask_b32 v38, v34, v25 :: v_dual_cndmask_b32 v39, v35, v24
	v_cmp_eq_u32_e32 vcc_lo, 12, v37
	ds_load_b64 v[34:35], v98 offset:8
	v_dual_cndmask_b32 v38, v38, v27 :: v_dual_cndmask_b32 v39, v39, v26
	v_cmp_eq_u32_e32 vcc_lo, 13, v37
	s_delay_alu instid0(VALU_DEP_2) | instskip(SKIP_1) | instid1(VALU_DEP_2)
	v_dual_cndmask_b32 v38, v38, v29 :: v_dual_cndmask_b32 v39, v39, v28
	v_cmp_eq_u32_e32 vcc_lo, 14, v37
	v_dual_cndmask_b32 v38, v38, v31 :: v_dual_cndmask_b32 v37, v39, v30
	s_waitcnt lgkmcnt(0)
	s_delay_alu instid0(VALU_DEP_1)
	v_fma_f64 v[32:33], v[37:38], v[34:35], v[32:33]
	s_and_saveexec_b32 s6, s3
	s_cbranch_execz .LBB14_306
; %bb.293:
	v_add_nc_u32_e32 v37, 2, v0
	s_mov_b32 s3, exec_lo
	s_delay_alu instid0(VALU_DEP_1) | instskip(SKIP_2) | instid1(VALU_DEP_2)
	v_cmp_eq_u32_e32 vcc_lo, 1, v37
	v_dual_cndmask_b32 v34, v3, v5 :: v_dual_cndmask_b32 v35, v2, v4
	v_cmp_eq_u32_e32 vcc_lo, 2, v37
	v_dual_cndmask_b32 v34, v34, v7 :: v_dual_cndmask_b32 v35, v35, v6
	v_cmp_eq_u32_e32 vcc_lo, 3, v37
	s_delay_alu instid0(VALU_DEP_2) | instskip(SKIP_1) | instid1(VALU_DEP_2)
	v_dual_cndmask_b32 v34, v34, v9 :: v_dual_cndmask_b32 v35, v35, v8
	v_cmp_eq_u32_e32 vcc_lo, 4, v37
	v_dual_cndmask_b32 v34, v34, v11 :: v_dual_cndmask_b32 v35, v35, v10
	v_cmp_eq_u32_e32 vcc_lo, 5, v37
	s_delay_alu instid0(VALU_DEP_2) | instskip(SKIP_1) | instid1(VALU_DEP_2)
	;; [unrolled: 5-line block ×4, first 2 shown]
	v_dual_cndmask_b32 v34, v34, v21 :: v_dual_cndmask_b32 v35, v35, v20
	v_cmp_eq_u32_e32 vcc_lo, 10, v37
	v_dual_cndmask_b32 v34, v34, v23 :: v_dual_cndmask_b32 v35, v35, v22
	v_cmp_eq_u32_e32 vcc_lo, 11, v37
	s_delay_alu instid0(VALU_DEP_2) | instskip(SKIP_4) | instid1(VALU_DEP_2)
	v_dual_cndmask_b32 v38, v34, v25 :: v_dual_cndmask_b32 v39, v35, v24
	v_cmp_eq_u32_e32 vcc_lo, 12, v37
	ds_load_b64 v[34:35], v98 offset:16
	v_dual_cndmask_b32 v38, v38, v27 :: v_dual_cndmask_b32 v39, v39, v26
	v_cmp_eq_u32_e32 vcc_lo, 13, v37
	v_dual_cndmask_b32 v38, v38, v29 :: v_dual_cndmask_b32 v39, v39, v28
	v_cmp_eq_u32_e32 vcc_lo, 14, v37
	s_delay_alu instid0(VALU_DEP_2) | instskip(SKIP_1) | instid1(VALU_DEP_1)
	v_dual_cndmask_b32 v38, v38, v31 :: v_dual_cndmask_b32 v37, v39, v30
	s_waitcnt lgkmcnt(0)
	v_fma_f64 v[32:33], v[37:38], v[34:35], v[32:33]
	v_cmpx_ne_u32_e32 6, v0
	s_cbranch_execz .LBB14_305
; %bb.294:
	v_add_nc_u32_e32 v37, 3, v0
	s_delay_alu instid0(VALU_DEP_1) | instskip(SKIP_2) | instid1(VALU_DEP_2)
	v_cmp_eq_u32_e32 vcc_lo, 1, v37
	v_dual_cndmask_b32 v34, v3, v5 :: v_dual_cndmask_b32 v35, v2, v4
	v_cmp_eq_u32_e32 vcc_lo, 2, v37
	v_dual_cndmask_b32 v34, v34, v7 :: v_dual_cndmask_b32 v35, v35, v6
	v_cmp_eq_u32_e32 vcc_lo, 3, v37
	s_delay_alu instid0(VALU_DEP_2) | instskip(SKIP_1) | instid1(VALU_DEP_2)
	v_dual_cndmask_b32 v34, v34, v9 :: v_dual_cndmask_b32 v35, v35, v8
	v_cmp_eq_u32_e32 vcc_lo, 4, v37
	v_dual_cndmask_b32 v34, v34, v11 :: v_dual_cndmask_b32 v35, v35, v10
	v_cmp_eq_u32_e32 vcc_lo, 5, v37
	s_delay_alu instid0(VALU_DEP_2) | instskip(SKIP_1) | instid1(VALU_DEP_2)
	;; [unrolled: 5-line block ×4, first 2 shown]
	v_dual_cndmask_b32 v34, v34, v21 :: v_dual_cndmask_b32 v35, v35, v20
	v_cmp_eq_u32_e32 vcc_lo, 10, v37
	v_dual_cndmask_b32 v34, v34, v23 :: v_dual_cndmask_b32 v35, v35, v22
	v_cmp_eq_u32_e32 vcc_lo, 11, v37
	s_delay_alu instid0(VALU_DEP_2) | instskip(SKIP_4) | instid1(VALU_DEP_2)
	v_dual_cndmask_b32 v38, v34, v25 :: v_dual_cndmask_b32 v39, v35, v24
	v_cmp_eq_u32_e32 vcc_lo, 12, v37
	ds_load_b64 v[34:35], v98 offset:24
	v_dual_cndmask_b32 v38, v38, v27 :: v_dual_cndmask_b32 v39, v39, v26
	v_cmp_eq_u32_e32 vcc_lo, 13, v37
	v_dual_cndmask_b32 v38, v38, v29 :: v_dual_cndmask_b32 v39, v39, v28
	v_cmp_eq_u32_e32 vcc_lo, 14, v37
	s_delay_alu instid0(VALU_DEP_2) | instskip(SKIP_1) | instid1(VALU_DEP_1)
	v_dual_cndmask_b32 v38, v38, v31 :: v_dual_cndmask_b32 v37, v39, v30
	s_waitcnt lgkmcnt(0)
	v_fma_f64 v[32:33], v[37:38], v[34:35], v[32:33]
	s_and_saveexec_b32 s7, s2
	s_cbranch_execz .LBB14_304
; %bb.295:
	v_add_nc_u32_e32 v37, 4, v0
	s_mov_b32 s2, exec_lo
	s_delay_alu instid0(VALU_DEP_1) | instskip(SKIP_2) | instid1(VALU_DEP_2)
	v_cmp_eq_u32_e32 vcc_lo, 1, v37
	v_dual_cndmask_b32 v34, v3, v5 :: v_dual_cndmask_b32 v35, v2, v4
	v_cmp_eq_u32_e32 vcc_lo, 2, v37
	v_dual_cndmask_b32 v34, v34, v7 :: v_dual_cndmask_b32 v35, v35, v6
	v_cmp_eq_u32_e32 vcc_lo, 3, v37
	s_delay_alu instid0(VALU_DEP_2) | instskip(SKIP_1) | instid1(VALU_DEP_2)
	v_dual_cndmask_b32 v34, v34, v9 :: v_dual_cndmask_b32 v35, v35, v8
	v_cmp_eq_u32_e32 vcc_lo, 4, v37
	v_dual_cndmask_b32 v34, v34, v11 :: v_dual_cndmask_b32 v35, v35, v10
	v_cmp_eq_u32_e32 vcc_lo, 5, v37
	s_delay_alu instid0(VALU_DEP_2) | instskip(SKIP_1) | instid1(VALU_DEP_2)
	;; [unrolled: 5-line block ×4, first 2 shown]
	v_dual_cndmask_b32 v34, v34, v21 :: v_dual_cndmask_b32 v35, v35, v20
	v_cmp_eq_u32_e32 vcc_lo, 10, v37
	v_dual_cndmask_b32 v34, v34, v23 :: v_dual_cndmask_b32 v35, v35, v22
	v_cmp_eq_u32_e32 vcc_lo, 11, v37
	s_delay_alu instid0(VALU_DEP_2) | instskip(SKIP_4) | instid1(VALU_DEP_2)
	v_dual_cndmask_b32 v38, v34, v25 :: v_dual_cndmask_b32 v39, v35, v24
	v_cmp_eq_u32_e32 vcc_lo, 12, v37
	ds_load_b64 v[34:35], v98 offset:32
	v_dual_cndmask_b32 v38, v38, v27 :: v_dual_cndmask_b32 v39, v39, v26
	v_cmp_eq_u32_e32 vcc_lo, 13, v37
	v_dual_cndmask_b32 v38, v38, v29 :: v_dual_cndmask_b32 v39, v39, v28
	v_cmp_eq_u32_e32 vcc_lo, 14, v37
	s_delay_alu instid0(VALU_DEP_2) | instskip(SKIP_1) | instid1(VALU_DEP_1)
	v_dual_cndmask_b32 v38, v38, v31 :: v_dual_cndmask_b32 v37, v39, v30
	s_waitcnt lgkmcnt(0)
	v_fma_f64 v[32:33], v[37:38], v[34:35], v[32:33]
	v_cmpx_ne_u32_e32 4, v0
	s_cbranch_execz .LBB14_303
; %bb.296:
	v_add_nc_u32_e32 v37, 5, v0
	s_delay_alu instid0(VALU_DEP_1) | instskip(SKIP_2) | instid1(VALU_DEP_2)
	v_cmp_eq_u32_e32 vcc_lo, 1, v37
	v_dual_cndmask_b32 v34, v3, v5 :: v_dual_cndmask_b32 v35, v2, v4
	v_cmp_eq_u32_e32 vcc_lo, 2, v37
	v_dual_cndmask_b32 v34, v34, v7 :: v_dual_cndmask_b32 v35, v35, v6
	v_cmp_eq_u32_e32 vcc_lo, 3, v37
	s_delay_alu instid0(VALU_DEP_2) | instskip(SKIP_1) | instid1(VALU_DEP_2)
	v_dual_cndmask_b32 v34, v34, v9 :: v_dual_cndmask_b32 v35, v35, v8
	v_cmp_eq_u32_e32 vcc_lo, 4, v37
	v_dual_cndmask_b32 v34, v34, v11 :: v_dual_cndmask_b32 v35, v35, v10
	v_cmp_eq_u32_e32 vcc_lo, 5, v37
	s_delay_alu instid0(VALU_DEP_2) | instskip(SKIP_1) | instid1(VALU_DEP_2)
	;; [unrolled: 5-line block ×4, first 2 shown]
	v_dual_cndmask_b32 v34, v34, v21 :: v_dual_cndmask_b32 v35, v35, v20
	v_cmp_eq_u32_e32 vcc_lo, 10, v37
	v_dual_cndmask_b32 v34, v34, v23 :: v_dual_cndmask_b32 v35, v35, v22
	v_cmp_eq_u32_e32 vcc_lo, 11, v37
	s_delay_alu instid0(VALU_DEP_2) | instskip(SKIP_4) | instid1(VALU_DEP_2)
	v_dual_cndmask_b32 v38, v34, v25 :: v_dual_cndmask_b32 v39, v35, v24
	v_cmp_eq_u32_e32 vcc_lo, 12, v37
	ds_load_b64 v[34:35], v98 offset:40
	v_dual_cndmask_b32 v38, v38, v27 :: v_dual_cndmask_b32 v39, v39, v26
	v_cmp_eq_u32_e32 vcc_lo, 13, v37
	v_dual_cndmask_b32 v38, v38, v29 :: v_dual_cndmask_b32 v39, v39, v28
	v_cmp_eq_u32_e32 vcc_lo, 14, v37
	s_delay_alu instid0(VALU_DEP_2) | instskip(SKIP_1) | instid1(VALU_DEP_1)
	v_dual_cndmask_b32 v38, v38, v31 :: v_dual_cndmask_b32 v37, v39, v30
	s_waitcnt lgkmcnt(0)
	v_fma_f64 v[32:33], v[37:38], v[34:35], v[32:33]
	s_and_saveexec_b32 s8, s1
	s_cbranch_execz .LBB14_302
; %bb.297:
	v_add_nc_u32_e32 v37, 6, v0
	s_mov_b32 s1, exec_lo
	s_delay_alu instid0(VALU_DEP_1) | instskip(SKIP_2) | instid1(VALU_DEP_2)
	v_cmp_eq_u32_e32 vcc_lo, 1, v37
	v_dual_cndmask_b32 v34, v3, v5 :: v_dual_cndmask_b32 v35, v2, v4
	v_cmp_eq_u32_e32 vcc_lo, 2, v37
	v_dual_cndmask_b32 v34, v34, v7 :: v_dual_cndmask_b32 v35, v35, v6
	v_cmp_eq_u32_e32 vcc_lo, 3, v37
	s_delay_alu instid0(VALU_DEP_2) | instskip(SKIP_1) | instid1(VALU_DEP_2)
	v_dual_cndmask_b32 v34, v34, v9 :: v_dual_cndmask_b32 v35, v35, v8
	v_cmp_eq_u32_e32 vcc_lo, 4, v37
	v_dual_cndmask_b32 v34, v34, v11 :: v_dual_cndmask_b32 v35, v35, v10
	v_cmp_eq_u32_e32 vcc_lo, 5, v37
	s_delay_alu instid0(VALU_DEP_2) | instskip(SKIP_1) | instid1(VALU_DEP_2)
	;; [unrolled: 5-line block ×4, first 2 shown]
	v_dual_cndmask_b32 v34, v34, v21 :: v_dual_cndmask_b32 v35, v35, v20
	v_cmp_eq_u32_e32 vcc_lo, 10, v37
	v_dual_cndmask_b32 v34, v34, v23 :: v_dual_cndmask_b32 v35, v35, v22
	v_cmp_eq_u32_e32 vcc_lo, 11, v37
	s_delay_alu instid0(VALU_DEP_2) | instskip(SKIP_4) | instid1(VALU_DEP_2)
	v_dual_cndmask_b32 v38, v34, v25 :: v_dual_cndmask_b32 v39, v35, v24
	v_cmp_eq_u32_e32 vcc_lo, 12, v37
	ds_load_b64 v[34:35], v98 offset:48
	v_dual_cndmask_b32 v38, v38, v27 :: v_dual_cndmask_b32 v39, v39, v26
	v_cmp_eq_u32_e32 vcc_lo, 13, v37
	v_dual_cndmask_b32 v38, v38, v29 :: v_dual_cndmask_b32 v39, v39, v28
	v_cmp_eq_u32_e32 vcc_lo, 14, v37
	s_delay_alu instid0(VALU_DEP_2) | instskip(SKIP_1) | instid1(VALU_DEP_1)
	v_dual_cndmask_b32 v38, v38, v31 :: v_dual_cndmask_b32 v37, v39, v30
	s_waitcnt lgkmcnt(0)
	v_fma_f64 v[32:33], v[37:38], v[34:35], v[32:33]
	v_cmpx_ne_u32_e32 2, v0
	s_cbranch_execz .LBB14_301
; %bb.298:
	v_add_nc_u32_e32 v34, 7, v0
	s_delay_alu instid0(VALU_DEP_1) | instskip(SKIP_3) | instid1(VALU_DEP_3)
	v_cmp_eq_u32_e32 vcc_lo, 1, v34
	v_cndmask_b32_e32 v35, v3, v5, vcc_lo
	v_cndmask_b32_e32 v37, v2, v4, vcc_lo
	v_cmp_eq_u32_e32 vcc_lo, 2, v34
	v_cndmask_b32_e32 v35, v35, v7, vcc_lo
	s_delay_alu instid0(VALU_DEP_3) | instskip(SKIP_1) | instid1(VALU_DEP_3)
	v_cndmask_b32_e32 v37, v37, v6, vcc_lo
	v_cmp_eq_u32_e32 vcc_lo, 3, v34
	v_cndmask_b32_e32 v35, v35, v9, vcc_lo
	s_delay_alu instid0(VALU_DEP_3) | instskip(SKIP_1) | instid1(VALU_DEP_3)
	;; [unrolled: 4-line block ×6, first 2 shown]
	v_cndmask_b32_e32 v37, v37, v16, vcc_lo
	v_cmp_eq_u32_e32 vcc_lo, 8, v34
	v_cndmask_b32_e32 v35, v35, v19, vcc_lo
	s_delay_alu instid0(VALU_DEP_3) | instskip(SKIP_1) | instid1(VALU_DEP_2)
	v_cndmask_b32_e32 v37, v37, v18, vcc_lo
	v_cmp_eq_u32_e32 vcc_lo, 9, v34
	v_dual_cndmask_b32 v21, v35, v21 :: v_dual_cndmask_b32 v20, v37, v20
	v_cmp_eq_u32_e32 vcc_lo, 10, v34
	s_delay_alu instid0(VALU_DEP_2) | instskip(SKIP_1) | instid1(VALU_DEP_2)
	v_dual_cndmask_b32 v21, v21, v23 :: v_dual_cndmask_b32 v20, v20, v22
	v_cmp_eq_u32_e32 vcc_lo, 11, v34
	v_cndmask_b32_e32 v35, v21, v25, vcc_lo
	s_delay_alu instid0(VALU_DEP_3)
	v_cndmask_b32_e32 v37, v20, v24, vcc_lo
	v_cmp_eq_u32_e32 vcc_lo, 12, v34
	ds_load_b64 v[20:21], v98 offset:56
	v_cndmask_b32_e32 v35, v35, v27, vcc_lo
	v_cndmask_b32_e32 v37, v37, v26, vcc_lo
	v_cmp_eq_u32_e32 vcc_lo, 13, v34
	s_delay_alu instid0(VALU_DEP_3) | instskip(NEXT) | instid1(VALU_DEP_3)
	v_cndmask_b32_e32 v35, v35, v29, vcc_lo
	v_cndmask_b32_e32 v37, v37, v28, vcc_lo
	v_cmp_eq_u32_e32 vcc_lo, 14, v34
	s_delay_alu instid0(VALU_DEP_2) | instskip(SKIP_1) | instid1(VALU_DEP_1)
	v_dual_cndmask_b32 v34, v37, v30 :: v_dual_cndmask_b32 v35, v35, v31
	s_waitcnt lgkmcnt(0)
	v_fma_f64 v[32:33], v[34:35], v[20:21], v[32:33]
	s_and_saveexec_b32 s9, s0
	s_cbranch_execz .LBB14_300
; %bb.299:
	ds_load_b64 v[20:21], v98 offset:64
	s_waitcnt lgkmcnt(0)
	v_fma_f64 v[32:33], v[18:19], v[20:21], v[32:33]
.LBB14_300:
	s_or_b32 exec_lo, exec_lo, s9
.LBB14_301:
	s_delay_alu instid0(SALU_CYCLE_1)
	s_or_b32 exec_lo, exec_lo, s1
.LBB14_302:
	s_delay_alu instid0(SALU_CYCLE_1)
	s_or_b32 exec_lo, exec_lo, s8
.LBB14_303:
	s_delay_alu instid0(SALU_CYCLE_1)
	s_or_b32 exec_lo, exec_lo, s2
.LBB14_304:
	s_delay_alu instid0(SALU_CYCLE_1)
	s_or_b32 exec_lo, exec_lo, s7
.LBB14_305:
	s_delay_alu instid0(SALU_CYCLE_1)
	s_or_b32 exec_lo, exec_lo, s3
.LBB14_306:
	s_delay_alu instid0(SALU_CYCLE_1)
	s_or_b32 exec_lo, exec_lo, s6
.LBB14_307:
	s_delay_alu instid0(SALU_CYCLE_1)
	s_or_b32 exec_lo, exec_lo, s5
	v_mov_b32_e32 v20, 0
	ds_load_b64 v[20:21], v20 offset:72
	s_waitcnt lgkmcnt(0)
	v_mul_f64 v[20:21], v[32:33], v[20:21]
.LBB14_308:
	s_or_b32 exec_lo, exec_lo, s4
	s_delay_alu instid0(SALU_CYCLE_1)
	s_mov_b32 s1, exec_lo
	ds_store_b64 v98, v[22:23]
	s_waitcnt lgkmcnt(0)
	s_barrier
	buffer_gl0_inv
	v_cmpx_gt_u32_e32 10, v0
	s_cbranch_execz .LBB14_318
; %bb.309:
	v_cmp_ne_u32_e32 vcc_lo, 1, v36
	s_cbranch_vccnz .LBB14_311
; %bb.310:
	v_cmp_eq_u32_e32 vcc_lo, 1, v0
	v_dual_cndmask_b32 v32, v3, v5 :: v_dual_cndmask_b32 v33, v2, v4
	v_cmp_eq_u32_e32 vcc_lo, 2, v0
	s_delay_alu instid0(VALU_DEP_2) | instskip(SKIP_1) | instid1(VALU_DEP_2)
	v_dual_cndmask_b32 v32, v32, v7 :: v_dual_cndmask_b32 v33, v33, v6
	v_cmp_eq_u32_e32 vcc_lo, 3, v0
	v_dual_cndmask_b32 v32, v32, v9 :: v_dual_cndmask_b32 v33, v33, v8
	v_cmp_eq_u32_e32 vcc_lo, 4, v0
	s_delay_alu instid0(VALU_DEP_2) | instskip(SKIP_1) | instid1(VALU_DEP_2)
	v_dual_cndmask_b32 v32, v32, v11 :: v_dual_cndmask_b32 v33, v33, v10
	;; [unrolled: 5-line block ×5, first 2 shown]
	v_cmp_eq_u32_e32 vcc_lo, 11, v0
	v_dual_cndmask_b32 v34, v32, v25 :: v_dual_cndmask_b32 v35, v33, v24
	v_cmp_eq_u32_e32 vcc_lo, 12, v0
	ds_load_b64 v[32:33], v98
	v_dual_cndmask_b32 v34, v34, v27 :: v_dual_cndmask_b32 v35, v35, v26
	v_cmp_eq_u32_e32 vcc_lo, 13, v0
	s_delay_alu instid0(VALU_DEP_2) | instskip(SKIP_1) | instid1(VALU_DEP_2)
	v_dual_cndmask_b32 v34, v34, v29 :: v_dual_cndmask_b32 v37, v35, v28
	v_cmp_eq_u32_e32 vcc_lo, 14, v0
	v_dual_cndmask_b32 v35, v34, v31 :: v_dual_cndmask_b32 v34, v37, v30
	s_waitcnt lgkmcnt(0)
	s_delay_alu instid0(VALU_DEP_1)
	v_mul_f64 v[32:33], v[34:35], v[32:33]
	s_cbranch_execz .LBB14_312
	s_branch .LBB14_313
.LBB14_311:
                                        ; implicit-def: $vgpr32_vgpr33
.LBB14_312:
	ds_load_b64 v[32:33], v98
.LBB14_313:
	s_mov_b32 s2, exec_lo
	v_cmpx_ne_u32_e32 9, v0
	s_cbranch_execz .LBB14_317
; %bb.314:
	v_lshl_add_u32 v37, v0, 3, 0x88
	v_dual_mov_b32 v35, v1 :: v_dual_mov_b32 v34, v0
	s_mov_b32 s3, 0
.LBB14_315:                             ; =>This Inner Loop Header: Depth=1
	s_delay_alu instid0(VALU_DEP_1) | instskip(NEXT) | instid1(VALU_DEP_2)
	v_add_co_u32 v34, vcc_lo, v34, 1
	v_add_co_ci_u32_e32 v35, vcc_lo, 0, v35, vcc_lo
	s_delay_alu instid0(VALU_DEP_2) | instskip(SKIP_3) | instid1(VALU_DEP_2)
	v_cmp_eq_u32_e32 vcc_lo, 1, v34
	v_cmp_eq_u32_e64 s0, 2, v34
	v_dual_cndmask_b32 v38, v3, v5 :: v_dual_cndmask_b32 v39, v2, v4
	v_cmp_eq_u32_e32 vcc_lo, 3, v34
	v_cndmask_b32_e64 v38, v38, v7, s0
	s_delay_alu instid0(VALU_DEP_3) | instskip(SKIP_1) | instid1(VALU_DEP_2)
	v_cndmask_b32_e64 v39, v39, v6, s0
	v_cmp_eq_u32_e64 s0, 4, v34
	v_dual_cndmask_b32 v38, v38, v9 :: v_dual_cndmask_b32 v39, v39, v8
	v_cmp_eq_u32_e32 vcc_lo, 5, v34
	s_delay_alu instid0(VALU_DEP_2) | instskip(NEXT) | instid1(VALU_DEP_3)
	v_cndmask_b32_e64 v38, v38, v11, s0
	v_cndmask_b32_e64 v39, v39, v10, s0
	v_cmp_eq_u32_e64 s0, 6, v34
	s_delay_alu instid0(VALU_DEP_2) | instskip(SKIP_1) | instid1(VALU_DEP_2)
	v_dual_cndmask_b32 v38, v38, v13 :: v_dual_cndmask_b32 v39, v39, v12
	v_cmp_eq_u32_e32 vcc_lo, 7, v34
	v_cndmask_b32_e64 v38, v38, v15, s0
	s_delay_alu instid0(VALU_DEP_3) | instskip(SKIP_1) | instid1(VALU_DEP_2)
	v_cndmask_b32_e64 v39, v39, v14, s0
	v_cmp_eq_u32_e64 s0, 8, v34
	v_dual_cndmask_b32 v38, v38, v17 :: v_dual_cndmask_b32 v39, v39, v16
	v_cmp_eq_u32_e32 vcc_lo, 9, v34
	s_delay_alu instid0(VALU_DEP_2) | instskip(NEXT) | instid1(VALU_DEP_3)
	v_cndmask_b32_e64 v38, v38, v19, s0
	v_cndmask_b32_e64 v39, v39, v18, s0
	v_cmp_eq_u32_e64 s0, 10, v34
	s_delay_alu instid0(VALU_DEP_2) | instskip(SKIP_1) | instid1(VALU_DEP_2)
	v_dual_cndmask_b32 v38, v38, v21 :: v_dual_cndmask_b32 v39, v39, v20
	v_cmp_eq_u32_e32 vcc_lo, 11, v34
	v_cndmask_b32_e64 v40, v38, v23, s0
	s_delay_alu instid0(VALU_DEP_3)
	v_cndmask_b32_e64 v41, v39, v22, s0
	ds_load_b64 v[38:39], v37
	v_cmp_eq_u32_e64 s0, 12, v34
	v_add_nc_u32_e32 v37, 8, v37
	v_dual_cndmask_b32 v40, v40, v25 :: v_dual_cndmask_b32 v41, v41, v24
	v_cmp_eq_u32_e32 vcc_lo, 13, v34
	s_delay_alu instid0(VALU_DEP_2) | instskip(NEXT) | instid1(VALU_DEP_3)
	v_cndmask_b32_e64 v40, v40, v27, s0
	v_cndmask_b32_e64 v41, v41, v26, s0
	v_cmp_eq_u32_e64 s0, 14, v34
	s_delay_alu instid0(VALU_DEP_3) | instskip(NEXT) | instid1(VALU_DEP_3)
	v_cndmask_b32_e32 v40, v40, v29, vcc_lo
	v_cndmask_b32_e32 v42, v41, v28, vcc_lo
	v_cmp_lt_u32_e32 vcc_lo, 8, v34
	s_delay_alu instid0(VALU_DEP_3) | instskip(NEXT) | instid1(VALU_DEP_3)
	v_cndmask_b32_e64 v41, v40, v31, s0
	v_cndmask_b32_e64 v40, v42, v30, s0
	s_or_b32 s3, vcc_lo, s3
	s_waitcnt lgkmcnt(0)
	s_delay_alu instid0(VALU_DEP_1)
	v_fma_f64 v[32:33], v[40:41], v[38:39], v[32:33]
	s_and_not1_b32 exec_lo, exec_lo, s3
	s_cbranch_execnz .LBB14_315
; %bb.316:
	s_or_b32 exec_lo, exec_lo, s3
.LBB14_317:
	s_delay_alu instid0(SALU_CYCLE_1)
	s_or_b32 exec_lo, exec_lo, s2
	v_mov_b32_e32 v22, 0
	ds_load_b64 v[22:23], v22 offset:80
	s_waitcnt lgkmcnt(0)
	v_mul_f64 v[22:23], v[32:33], v[22:23]
.LBB14_318:
	s_or_b32 exec_lo, exec_lo, s1
	s_delay_alu instid0(SALU_CYCLE_1)
	s_mov_b32 s1, exec_lo
	ds_store_b64 v98, v[24:25]
	s_waitcnt lgkmcnt(0)
	s_barrier
	buffer_gl0_inv
	v_cmpx_gt_u32_e32 11, v0
	s_cbranch_execz .LBB14_328
; %bb.319:
	v_cmp_ne_u32_e32 vcc_lo, 1, v36
	s_cbranch_vccnz .LBB14_321
; %bb.320:
	v_cmp_eq_u32_e32 vcc_lo, 1, v0
	v_dual_cndmask_b32 v32, v3, v5 :: v_dual_cndmask_b32 v33, v2, v4
	v_cmp_eq_u32_e32 vcc_lo, 2, v0
	s_delay_alu instid0(VALU_DEP_2) | instskip(SKIP_1) | instid1(VALU_DEP_2)
	v_dual_cndmask_b32 v32, v32, v7 :: v_dual_cndmask_b32 v33, v33, v6
	v_cmp_eq_u32_e32 vcc_lo, 3, v0
	v_dual_cndmask_b32 v32, v32, v9 :: v_dual_cndmask_b32 v33, v33, v8
	v_cmp_eq_u32_e32 vcc_lo, 4, v0
	s_delay_alu instid0(VALU_DEP_2) | instskip(SKIP_1) | instid1(VALU_DEP_2)
	v_dual_cndmask_b32 v32, v32, v11 :: v_dual_cndmask_b32 v33, v33, v10
	;; [unrolled: 5-line block ×5, first 2 shown]
	v_cmp_eq_u32_e32 vcc_lo, 11, v0
	v_dual_cndmask_b32 v34, v32, v25 :: v_dual_cndmask_b32 v35, v33, v24
	v_cmp_eq_u32_e32 vcc_lo, 12, v0
	ds_load_b64 v[32:33], v98
	v_dual_cndmask_b32 v34, v34, v27 :: v_dual_cndmask_b32 v35, v35, v26
	v_cmp_eq_u32_e32 vcc_lo, 13, v0
	s_delay_alu instid0(VALU_DEP_2) | instskip(SKIP_1) | instid1(VALU_DEP_2)
	v_dual_cndmask_b32 v34, v34, v29 :: v_dual_cndmask_b32 v37, v35, v28
	v_cmp_eq_u32_e32 vcc_lo, 14, v0
	v_dual_cndmask_b32 v35, v34, v31 :: v_dual_cndmask_b32 v34, v37, v30
	s_waitcnt lgkmcnt(0)
	s_delay_alu instid0(VALU_DEP_1)
	v_mul_f64 v[32:33], v[34:35], v[32:33]
	s_cbranch_execz .LBB14_322
	s_branch .LBB14_323
.LBB14_321:
                                        ; implicit-def: $vgpr32_vgpr33
.LBB14_322:
	ds_load_b64 v[32:33], v98
.LBB14_323:
	s_mov_b32 s2, exec_lo
	v_cmpx_ne_u32_e32 10, v0
	s_cbranch_execz .LBB14_327
; %bb.324:
	v_lshl_add_u32 v37, v0, 3, 0x88
	v_dual_mov_b32 v35, v1 :: v_dual_mov_b32 v34, v0
	s_mov_b32 s3, 0
.LBB14_325:                             ; =>This Inner Loop Header: Depth=1
	s_delay_alu instid0(VALU_DEP_1) | instskip(NEXT) | instid1(VALU_DEP_2)
	v_add_co_u32 v34, vcc_lo, v34, 1
	v_add_co_ci_u32_e32 v35, vcc_lo, 0, v35, vcc_lo
	s_delay_alu instid0(VALU_DEP_2) | instskip(SKIP_3) | instid1(VALU_DEP_2)
	v_cmp_eq_u32_e32 vcc_lo, 1, v34
	v_cmp_eq_u32_e64 s0, 2, v34
	v_dual_cndmask_b32 v38, v3, v5 :: v_dual_cndmask_b32 v39, v2, v4
	v_cmp_eq_u32_e32 vcc_lo, 3, v34
	v_cndmask_b32_e64 v38, v38, v7, s0
	s_delay_alu instid0(VALU_DEP_3) | instskip(SKIP_1) | instid1(VALU_DEP_2)
	v_cndmask_b32_e64 v39, v39, v6, s0
	v_cmp_eq_u32_e64 s0, 4, v34
	v_dual_cndmask_b32 v38, v38, v9 :: v_dual_cndmask_b32 v39, v39, v8
	v_cmp_eq_u32_e32 vcc_lo, 5, v34
	s_delay_alu instid0(VALU_DEP_2) | instskip(NEXT) | instid1(VALU_DEP_3)
	v_cndmask_b32_e64 v38, v38, v11, s0
	v_cndmask_b32_e64 v39, v39, v10, s0
	v_cmp_eq_u32_e64 s0, 6, v34
	s_delay_alu instid0(VALU_DEP_2) | instskip(SKIP_1) | instid1(VALU_DEP_2)
	v_dual_cndmask_b32 v38, v38, v13 :: v_dual_cndmask_b32 v39, v39, v12
	v_cmp_eq_u32_e32 vcc_lo, 7, v34
	v_cndmask_b32_e64 v38, v38, v15, s0
	s_delay_alu instid0(VALU_DEP_3) | instskip(SKIP_1) | instid1(VALU_DEP_2)
	v_cndmask_b32_e64 v39, v39, v14, s0
	v_cmp_eq_u32_e64 s0, 8, v34
	v_dual_cndmask_b32 v38, v38, v17 :: v_dual_cndmask_b32 v39, v39, v16
	v_cmp_eq_u32_e32 vcc_lo, 9, v34
	s_delay_alu instid0(VALU_DEP_2) | instskip(NEXT) | instid1(VALU_DEP_3)
	v_cndmask_b32_e64 v38, v38, v19, s0
	v_cndmask_b32_e64 v39, v39, v18, s0
	v_cmp_eq_u32_e64 s0, 10, v34
	s_delay_alu instid0(VALU_DEP_2) | instskip(SKIP_1) | instid1(VALU_DEP_2)
	v_dual_cndmask_b32 v38, v38, v21 :: v_dual_cndmask_b32 v39, v39, v20
	v_cmp_eq_u32_e32 vcc_lo, 11, v34
	v_cndmask_b32_e64 v40, v38, v23, s0
	s_delay_alu instid0(VALU_DEP_3)
	v_cndmask_b32_e64 v41, v39, v22, s0
	ds_load_b64 v[38:39], v37
	v_cmp_eq_u32_e64 s0, 12, v34
	v_add_nc_u32_e32 v37, 8, v37
	v_dual_cndmask_b32 v40, v40, v25 :: v_dual_cndmask_b32 v41, v41, v24
	v_cmp_eq_u32_e32 vcc_lo, 13, v34
	s_delay_alu instid0(VALU_DEP_2) | instskip(NEXT) | instid1(VALU_DEP_3)
	v_cndmask_b32_e64 v40, v40, v27, s0
	v_cndmask_b32_e64 v41, v41, v26, s0
	v_cmp_eq_u32_e64 s0, 14, v34
	s_delay_alu instid0(VALU_DEP_3) | instskip(NEXT) | instid1(VALU_DEP_3)
	v_cndmask_b32_e32 v40, v40, v29, vcc_lo
	v_cndmask_b32_e32 v42, v41, v28, vcc_lo
	v_cmp_lt_u32_e32 vcc_lo, 9, v34
	s_delay_alu instid0(VALU_DEP_3) | instskip(NEXT) | instid1(VALU_DEP_3)
	v_cndmask_b32_e64 v41, v40, v31, s0
	v_cndmask_b32_e64 v40, v42, v30, s0
	s_or_b32 s3, vcc_lo, s3
	s_waitcnt lgkmcnt(0)
	s_delay_alu instid0(VALU_DEP_1)
	v_fma_f64 v[32:33], v[40:41], v[38:39], v[32:33]
	s_and_not1_b32 exec_lo, exec_lo, s3
	s_cbranch_execnz .LBB14_325
; %bb.326:
	s_or_b32 exec_lo, exec_lo, s3
.LBB14_327:
	s_delay_alu instid0(SALU_CYCLE_1)
	s_or_b32 exec_lo, exec_lo, s2
	v_mov_b32_e32 v24, 0
	ds_load_b64 v[24:25], v24 offset:88
	s_waitcnt lgkmcnt(0)
	v_mul_f64 v[24:25], v[32:33], v[24:25]
.LBB14_328:
	s_or_b32 exec_lo, exec_lo, s1
	s_delay_alu instid0(SALU_CYCLE_1)
	s_mov_b32 s1, exec_lo
	ds_store_b64 v98, v[26:27]
	s_waitcnt lgkmcnt(0)
	s_barrier
	buffer_gl0_inv
	v_cmpx_gt_u32_e32 12, v0
	s_cbranch_execz .LBB14_338
; %bb.329:
	v_cmp_ne_u32_e32 vcc_lo, 1, v36
	s_cbranch_vccnz .LBB14_331
; %bb.330:
	v_cmp_eq_u32_e32 vcc_lo, 1, v0
	v_dual_cndmask_b32 v32, v3, v5 :: v_dual_cndmask_b32 v33, v2, v4
	v_cmp_eq_u32_e32 vcc_lo, 2, v0
	s_delay_alu instid0(VALU_DEP_2) | instskip(SKIP_1) | instid1(VALU_DEP_2)
	v_dual_cndmask_b32 v32, v32, v7 :: v_dual_cndmask_b32 v33, v33, v6
	v_cmp_eq_u32_e32 vcc_lo, 3, v0
	v_dual_cndmask_b32 v32, v32, v9 :: v_dual_cndmask_b32 v33, v33, v8
	v_cmp_eq_u32_e32 vcc_lo, 4, v0
	s_delay_alu instid0(VALU_DEP_2) | instskip(SKIP_1) | instid1(VALU_DEP_2)
	v_dual_cndmask_b32 v32, v32, v11 :: v_dual_cndmask_b32 v33, v33, v10
	;; [unrolled: 5-line block ×5, first 2 shown]
	v_cmp_eq_u32_e32 vcc_lo, 11, v0
	v_dual_cndmask_b32 v34, v32, v25 :: v_dual_cndmask_b32 v35, v33, v24
	v_cmp_eq_u32_e32 vcc_lo, 12, v0
	ds_load_b64 v[32:33], v98
	v_dual_cndmask_b32 v34, v34, v27 :: v_dual_cndmask_b32 v35, v35, v26
	v_cmp_eq_u32_e32 vcc_lo, 13, v0
	s_delay_alu instid0(VALU_DEP_2) | instskip(SKIP_1) | instid1(VALU_DEP_2)
	v_dual_cndmask_b32 v34, v34, v29 :: v_dual_cndmask_b32 v37, v35, v28
	v_cmp_eq_u32_e32 vcc_lo, 14, v0
	v_dual_cndmask_b32 v35, v34, v31 :: v_dual_cndmask_b32 v34, v37, v30
	s_waitcnt lgkmcnt(0)
	s_delay_alu instid0(VALU_DEP_1)
	v_mul_f64 v[32:33], v[34:35], v[32:33]
	s_cbranch_execz .LBB14_332
	s_branch .LBB14_333
.LBB14_331:
                                        ; implicit-def: $vgpr32_vgpr33
.LBB14_332:
	ds_load_b64 v[32:33], v98
.LBB14_333:
	s_mov_b32 s2, exec_lo
	v_cmpx_ne_u32_e32 11, v0
	s_cbranch_execz .LBB14_337
; %bb.334:
	v_lshl_add_u32 v37, v0, 3, 0x88
	v_dual_mov_b32 v35, v1 :: v_dual_mov_b32 v34, v0
	s_mov_b32 s3, 0
.LBB14_335:                             ; =>This Inner Loop Header: Depth=1
	s_delay_alu instid0(VALU_DEP_1) | instskip(NEXT) | instid1(VALU_DEP_2)
	v_add_co_u32 v34, vcc_lo, v34, 1
	v_add_co_ci_u32_e32 v35, vcc_lo, 0, v35, vcc_lo
	s_delay_alu instid0(VALU_DEP_2) | instskip(SKIP_3) | instid1(VALU_DEP_2)
	v_cmp_eq_u32_e32 vcc_lo, 1, v34
	v_cmp_eq_u32_e64 s0, 2, v34
	v_dual_cndmask_b32 v38, v3, v5 :: v_dual_cndmask_b32 v39, v2, v4
	v_cmp_eq_u32_e32 vcc_lo, 3, v34
	v_cndmask_b32_e64 v38, v38, v7, s0
	s_delay_alu instid0(VALU_DEP_3) | instskip(SKIP_1) | instid1(VALU_DEP_2)
	v_cndmask_b32_e64 v39, v39, v6, s0
	v_cmp_eq_u32_e64 s0, 4, v34
	v_dual_cndmask_b32 v38, v38, v9 :: v_dual_cndmask_b32 v39, v39, v8
	v_cmp_eq_u32_e32 vcc_lo, 5, v34
	s_delay_alu instid0(VALU_DEP_2) | instskip(NEXT) | instid1(VALU_DEP_3)
	v_cndmask_b32_e64 v38, v38, v11, s0
	v_cndmask_b32_e64 v39, v39, v10, s0
	v_cmp_eq_u32_e64 s0, 6, v34
	s_delay_alu instid0(VALU_DEP_2) | instskip(SKIP_1) | instid1(VALU_DEP_2)
	v_dual_cndmask_b32 v38, v38, v13 :: v_dual_cndmask_b32 v39, v39, v12
	v_cmp_eq_u32_e32 vcc_lo, 7, v34
	v_cndmask_b32_e64 v38, v38, v15, s0
	s_delay_alu instid0(VALU_DEP_3) | instskip(SKIP_1) | instid1(VALU_DEP_2)
	v_cndmask_b32_e64 v39, v39, v14, s0
	v_cmp_eq_u32_e64 s0, 8, v34
	v_dual_cndmask_b32 v38, v38, v17 :: v_dual_cndmask_b32 v39, v39, v16
	v_cmp_eq_u32_e32 vcc_lo, 9, v34
	s_delay_alu instid0(VALU_DEP_2) | instskip(NEXT) | instid1(VALU_DEP_3)
	v_cndmask_b32_e64 v38, v38, v19, s0
	v_cndmask_b32_e64 v39, v39, v18, s0
	v_cmp_eq_u32_e64 s0, 10, v34
	s_delay_alu instid0(VALU_DEP_2) | instskip(SKIP_1) | instid1(VALU_DEP_2)
	v_dual_cndmask_b32 v38, v38, v21 :: v_dual_cndmask_b32 v39, v39, v20
	v_cmp_eq_u32_e32 vcc_lo, 11, v34
	v_cndmask_b32_e64 v40, v38, v23, s0
	s_delay_alu instid0(VALU_DEP_3)
	v_cndmask_b32_e64 v41, v39, v22, s0
	ds_load_b64 v[38:39], v37
	v_cmp_eq_u32_e64 s0, 12, v34
	v_add_nc_u32_e32 v37, 8, v37
	v_dual_cndmask_b32 v40, v40, v25 :: v_dual_cndmask_b32 v41, v41, v24
	v_cmp_eq_u32_e32 vcc_lo, 13, v34
	s_delay_alu instid0(VALU_DEP_2) | instskip(NEXT) | instid1(VALU_DEP_3)
	v_cndmask_b32_e64 v40, v40, v27, s0
	v_cndmask_b32_e64 v41, v41, v26, s0
	v_cmp_eq_u32_e64 s0, 14, v34
	s_delay_alu instid0(VALU_DEP_3) | instskip(NEXT) | instid1(VALU_DEP_3)
	v_cndmask_b32_e32 v40, v40, v29, vcc_lo
	v_cndmask_b32_e32 v42, v41, v28, vcc_lo
	v_cmp_lt_u32_e32 vcc_lo, 10, v34
	s_delay_alu instid0(VALU_DEP_3) | instskip(NEXT) | instid1(VALU_DEP_3)
	v_cndmask_b32_e64 v41, v40, v31, s0
	v_cndmask_b32_e64 v40, v42, v30, s0
	s_or_b32 s3, vcc_lo, s3
	s_waitcnt lgkmcnt(0)
	s_delay_alu instid0(VALU_DEP_1)
	v_fma_f64 v[32:33], v[40:41], v[38:39], v[32:33]
	s_and_not1_b32 exec_lo, exec_lo, s3
	s_cbranch_execnz .LBB14_335
; %bb.336:
	s_or_b32 exec_lo, exec_lo, s3
.LBB14_337:
	s_delay_alu instid0(SALU_CYCLE_1)
	s_or_b32 exec_lo, exec_lo, s2
	v_mov_b32_e32 v26, 0
	ds_load_b64 v[26:27], v26 offset:96
	s_waitcnt lgkmcnt(0)
	v_mul_f64 v[26:27], v[32:33], v[26:27]
.LBB14_338:
	s_or_b32 exec_lo, exec_lo, s1
	v_cmp_gt_u32_e64 s0, 13, v0
	ds_store_b64 v98, v[28:29]
	s_waitcnt lgkmcnt(0)
	s_barrier
	buffer_gl0_inv
	s_and_saveexec_b32 s2, s0
	s_cbranch_execz .LBB14_348
; %bb.339:
	v_cmp_ne_u32_e32 vcc_lo, 1, v36
	s_cbranch_vccnz .LBB14_341
; %bb.340:
	v_cmp_eq_u32_e32 vcc_lo, 1, v0
	v_dual_cndmask_b32 v32, v3, v5 :: v_dual_cndmask_b32 v33, v2, v4
	v_cmp_eq_u32_e32 vcc_lo, 2, v0
	s_delay_alu instid0(VALU_DEP_2) | instskip(SKIP_1) | instid1(VALU_DEP_2)
	v_dual_cndmask_b32 v32, v32, v7 :: v_dual_cndmask_b32 v33, v33, v6
	v_cmp_eq_u32_e32 vcc_lo, 3, v0
	v_dual_cndmask_b32 v32, v32, v9 :: v_dual_cndmask_b32 v33, v33, v8
	v_cmp_eq_u32_e32 vcc_lo, 4, v0
	s_delay_alu instid0(VALU_DEP_2) | instskip(SKIP_1) | instid1(VALU_DEP_2)
	v_dual_cndmask_b32 v32, v32, v11 :: v_dual_cndmask_b32 v33, v33, v10
	;; [unrolled: 5-line block ×5, first 2 shown]
	v_cmp_eq_u32_e32 vcc_lo, 11, v0
	v_dual_cndmask_b32 v34, v32, v25 :: v_dual_cndmask_b32 v35, v33, v24
	v_cmp_eq_u32_e32 vcc_lo, 12, v0
	ds_load_b64 v[32:33], v98
	v_dual_cndmask_b32 v34, v34, v27 :: v_dual_cndmask_b32 v35, v35, v26
	v_cmp_eq_u32_e32 vcc_lo, 13, v0
	s_delay_alu instid0(VALU_DEP_2) | instskip(SKIP_1) | instid1(VALU_DEP_2)
	v_dual_cndmask_b32 v34, v34, v29 :: v_dual_cndmask_b32 v37, v35, v28
	v_cmp_eq_u32_e32 vcc_lo, 14, v0
	v_dual_cndmask_b32 v35, v34, v31 :: v_dual_cndmask_b32 v34, v37, v30
	s_waitcnt lgkmcnt(0)
	s_delay_alu instid0(VALU_DEP_1)
	v_mul_f64 v[32:33], v[34:35], v[32:33]
	s_cbranch_execz .LBB14_342
	s_branch .LBB14_343
.LBB14_341:
                                        ; implicit-def: $vgpr32_vgpr33
.LBB14_342:
	ds_load_b64 v[32:33], v98
.LBB14_343:
	s_mov_b32 s3, exec_lo
	v_cmpx_ne_u32_e32 12, v0
	s_cbranch_execz .LBB14_347
; %bb.344:
	v_lshl_add_u32 v37, v0, 3, 0x88
	v_dual_mov_b32 v35, v1 :: v_dual_mov_b32 v34, v0
	s_mov_b32 s4, 0
.LBB14_345:                             ; =>This Inner Loop Header: Depth=1
	s_delay_alu instid0(VALU_DEP_1) | instskip(NEXT) | instid1(VALU_DEP_2)
	v_add_co_u32 v34, vcc_lo, v34, 1
	v_add_co_ci_u32_e32 v35, vcc_lo, 0, v35, vcc_lo
	s_delay_alu instid0(VALU_DEP_2) | instskip(SKIP_3) | instid1(VALU_DEP_2)
	v_cmp_eq_u32_e32 vcc_lo, 1, v34
	v_cmp_eq_u32_e64 s1, 2, v34
	v_dual_cndmask_b32 v38, v3, v5 :: v_dual_cndmask_b32 v39, v2, v4
	v_cmp_eq_u32_e32 vcc_lo, 3, v34
	v_cndmask_b32_e64 v38, v38, v7, s1
	s_delay_alu instid0(VALU_DEP_3) | instskip(SKIP_1) | instid1(VALU_DEP_2)
	v_cndmask_b32_e64 v39, v39, v6, s1
	v_cmp_eq_u32_e64 s1, 4, v34
	v_dual_cndmask_b32 v38, v38, v9 :: v_dual_cndmask_b32 v39, v39, v8
	v_cmp_eq_u32_e32 vcc_lo, 5, v34
	s_delay_alu instid0(VALU_DEP_2) | instskip(NEXT) | instid1(VALU_DEP_3)
	v_cndmask_b32_e64 v38, v38, v11, s1
	v_cndmask_b32_e64 v39, v39, v10, s1
	v_cmp_eq_u32_e64 s1, 6, v34
	s_delay_alu instid0(VALU_DEP_2) | instskip(SKIP_1) | instid1(VALU_DEP_2)
	v_dual_cndmask_b32 v38, v38, v13 :: v_dual_cndmask_b32 v39, v39, v12
	v_cmp_eq_u32_e32 vcc_lo, 7, v34
	v_cndmask_b32_e64 v38, v38, v15, s1
	s_delay_alu instid0(VALU_DEP_3) | instskip(SKIP_1) | instid1(VALU_DEP_2)
	v_cndmask_b32_e64 v39, v39, v14, s1
	v_cmp_eq_u32_e64 s1, 8, v34
	v_dual_cndmask_b32 v38, v38, v17 :: v_dual_cndmask_b32 v39, v39, v16
	v_cmp_eq_u32_e32 vcc_lo, 9, v34
	s_delay_alu instid0(VALU_DEP_2) | instskip(NEXT) | instid1(VALU_DEP_3)
	v_cndmask_b32_e64 v38, v38, v19, s1
	v_cndmask_b32_e64 v39, v39, v18, s1
	v_cmp_eq_u32_e64 s1, 10, v34
	s_delay_alu instid0(VALU_DEP_2) | instskip(SKIP_1) | instid1(VALU_DEP_2)
	v_dual_cndmask_b32 v38, v38, v21 :: v_dual_cndmask_b32 v39, v39, v20
	v_cmp_eq_u32_e32 vcc_lo, 11, v34
	v_cndmask_b32_e64 v40, v38, v23, s1
	s_delay_alu instid0(VALU_DEP_3)
	v_cndmask_b32_e64 v41, v39, v22, s1
	ds_load_b64 v[38:39], v37
	v_cmp_eq_u32_e64 s1, 12, v34
	v_add_nc_u32_e32 v37, 8, v37
	v_dual_cndmask_b32 v40, v40, v25 :: v_dual_cndmask_b32 v41, v41, v24
	v_cmp_eq_u32_e32 vcc_lo, 13, v34
	s_delay_alu instid0(VALU_DEP_2) | instskip(NEXT) | instid1(VALU_DEP_3)
	v_cndmask_b32_e64 v40, v40, v27, s1
	v_cndmask_b32_e64 v41, v41, v26, s1
	v_cmp_eq_u32_e64 s1, 14, v34
	s_delay_alu instid0(VALU_DEP_3) | instskip(NEXT) | instid1(VALU_DEP_3)
	v_cndmask_b32_e32 v40, v40, v29, vcc_lo
	v_cndmask_b32_e32 v42, v41, v28, vcc_lo
	v_cmp_lt_u32_e32 vcc_lo, 11, v34
	s_delay_alu instid0(VALU_DEP_3) | instskip(NEXT) | instid1(VALU_DEP_3)
	v_cndmask_b32_e64 v41, v40, v31, s1
	v_cndmask_b32_e64 v40, v42, v30, s1
	s_or_b32 s4, vcc_lo, s4
	s_waitcnt lgkmcnt(0)
	s_delay_alu instid0(VALU_DEP_1)
	v_fma_f64 v[32:33], v[40:41], v[38:39], v[32:33]
	s_and_not1_b32 exec_lo, exec_lo, s4
	s_cbranch_execnz .LBB14_345
; %bb.346:
	s_or_b32 exec_lo, exec_lo, s4
.LBB14_347:
	s_delay_alu instid0(SALU_CYCLE_1)
	s_or_b32 exec_lo, exec_lo, s3
	v_mov_b32_e32 v28, 0
	ds_load_b64 v[28:29], v28 offset:104
	s_waitcnt lgkmcnt(0)
	v_mul_f64 v[28:29], v[32:33], v[28:29]
.LBB14_348:
	s_or_b32 exec_lo, exec_lo, s2
	s_delay_alu instid0(SALU_CYCLE_1)
	s_mov_b32 s1, exec_lo
	ds_store_b64 v98, v[30:31]
	s_waitcnt lgkmcnt(0)
	s_barrier
	buffer_gl0_inv
	v_cmpx_ne_u32_e32 14, v0
	s_cbranch_execz .LBB14_358
; %bb.349:
	v_cmp_ne_u32_e32 vcc_lo, 1, v36
	s_cbranch_vccnz .LBB14_351
; %bb.350:
	v_cmp_eq_u32_e32 vcc_lo, 1, v0
	v_dual_cndmask_b32 v32, v3, v5 :: v_dual_cndmask_b32 v33, v2, v4
	v_cmp_eq_u32_e32 vcc_lo, 2, v0
	s_delay_alu instid0(VALU_DEP_2) | instskip(SKIP_1) | instid1(VALU_DEP_2)
	v_dual_cndmask_b32 v32, v32, v7 :: v_dual_cndmask_b32 v33, v33, v6
	v_cmp_eq_u32_e32 vcc_lo, 3, v0
	v_dual_cndmask_b32 v32, v32, v9 :: v_dual_cndmask_b32 v33, v33, v8
	v_cmp_eq_u32_e32 vcc_lo, 4, v0
	s_delay_alu instid0(VALU_DEP_2) | instskip(SKIP_1) | instid1(VALU_DEP_2)
	v_dual_cndmask_b32 v32, v32, v11 :: v_dual_cndmask_b32 v33, v33, v10
	;; [unrolled: 5-line block ×5, first 2 shown]
	v_cmp_eq_u32_e32 vcc_lo, 11, v0
	v_dual_cndmask_b32 v34, v32, v25 :: v_dual_cndmask_b32 v35, v33, v24
	v_cmp_eq_u32_e32 vcc_lo, 12, v0
	ds_load_b64 v[32:33], v98
	v_dual_cndmask_b32 v34, v34, v27 :: v_dual_cndmask_b32 v35, v35, v26
	v_cmp_eq_u32_e32 vcc_lo, 13, v0
	s_delay_alu instid0(VALU_DEP_2) | instskip(NEXT) | instid1(VALU_DEP_3)
	v_cndmask_b32_e32 v34, v34, v29, vcc_lo
	v_cndmask_b32_e32 v36, v35, v28, vcc_lo
	v_cmp_eq_u32_e32 vcc_lo, 14, v0
	s_delay_alu instid0(VALU_DEP_2) | instskip(SKIP_1) | instid1(VALU_DEP_1)
	v_dual_cndmask_b32 v35, v34, v31 :: v_dual_cndmask_b32 v34, v36, v30
	s_waitcnt lgkmcnt(0)
	v_mul_f64 v[32:33], v[34:35], v[32:33]
	s_cbranch_execz .LBB14_352
	s_branch .LBB14_353
.LBB14_351:
                                        ; implicit-def: $vgpr32_vgpr33
.LBB14_352:
	ds_load_b64 v[32:33], v98
.LBB14_353:
	s_and_saveexec_b32 s2, s0
	s_cbranch_execz .LBB14_357
; %bb.354:
	v_lshl_add_u32 v34, v0, 3, 0x88
	s_mov_b32 s3, 0
.LBB14_355:                             ; =>This Inner Loop Header: Depth=1
	v_add_co_u32 v0, vcc_lo, v0, 1
	v_add_co_ci_u32_e32 v1, vcc_lo, 0, v1, vcc_lo
	s_delay_alu instid0(VALU_DEP_2) | instskip(SKIP_3) | instid1(VALU_DEP_2)
	v_cmp_eq_u32_e32 vcc_lo, 1, v0
	v_cmp_eq_u32_e64 s0, 2, v0
	v_dual_cndmask_b32 v35, v3, v5 :: v_dual_cndmask_b32 v36, v2, v4
	v_cmp_eq_u32_e32 vcc_lo, 3, v0
	v_cndmask_b32_e64 v35, v35, v7, s0
	s_delay_alu instid0(VALU_DEP_3) | instskip(SKIP_1) | instid1(VALU_DEP_2)
	v_cndmask_b32_e64 v36, v36, v6, s0
	v_cmp_eq_u32_e64 s0, 4, v0
	v_dual_cndmask_b32 v35, v35, v9 :: v_dual_cndmask_b32 v36, v36, v8
	v_cmp_eq_u32_e32 vcc_lo, 5, v0
	s_delay_alu instid0(VALU_DEP_2) | instskip(NEXT) | instid1(VALU_DEP_3)
	v_cndmask_b32_e64 v35, v35, v11, s0
	v_cndmask_b32_e64 v36, v36, v10, s0
	v_cmp_eq_u32_e64 s0, 6, v0
	s_delay_alu instid0(VALU_DEP_2) | instskip(SKIP_1) | instid1(VALU_DEP_2)
	v_dual_cndmask_b32 v35, v35, v13 :: v_dual_cndmask_b32 v36, v36, v12
	v_cmp_eq_u32_e32 vcc_lo, 7, v0
	v_cndmask_b32_e64 v35, v35, v15, s0
	s_delay_alu instid0(VALU_DEP_3) | instskip(SKIP_1) | instid1(VALU_DEP_2)
	v_cndmask_b32_e64 v36, v36, v14, s0
	v_cmp_eq_u32_e64 s0, 8, v0
	v_dual_cndmask_b32 v35, v35, v17 :: v_dual_cndmask_b32 v36, v36, v16
	v_cmp_eq_u32_e32 vcc_lo, 9, v0
	s_delay_alu instid0(VALU_DEP_2) | instskip(NEXT) | instid1(VALU_DEP_3)
	v_cndmask_b32_e64 v35, v35, v19, s0
	v_cndmask_b32_e64 v36, v36, v18, s0
	v_cmp_eq_u32_e64 s0, 10, v0
	s_delay_alu instid0(VALU_DEP_2) | instskip(SKIP_1) | instid1(VALU_DEP_2)
	v_dual_cndmask_b32 v35, v35, v21 :: v_dual_cndmask_b32 v36, v36, v20
	v_cmp_eq_u32_e32 vcc_lo, 11, v0
	v_cndmask_b32_e64 v37, v35, v23, s0
	s_delay_alu instid0(VALU_DEP_3)
	v_cndmask_b32_e64 v38, v36, v22, s0
	ds_load_b64 v[35:36], v34
	v_cmp_eq_u32_e64 s0, 12, v0
	v_dual_cndmask_b32 v37, v37, v25 :: v_dual_add_nc_u32 v34, 8, v34
	v_cndmask_b32_e32 v38, v38, v24, vcc_lo
	v_cmp_eq_u32_e32 vcc_lo, 13, v0
	s_delay_alu instid0(VALU_DEP_3) | instskip(NEXT) | instid1(VALU_DEP_3)
	v_cndmask_b32_e64 v37, v37, v27, s0
	v_cndmask_b32_e64 v38, v38, v26, s0
	v_cmp_eq_u32_e64 s0, 14, v0
	s_delay_alu instid0(VALU_DEP_3) | instskip(NEXT) | instid1(VALU_DEP_3)
	v_cndmask_b32_e32 v37, v37, v29, vcc_lo
	v_cndmask_b32_e32 v39, v38, v28, vcc_lo
	v_cmp_lt_u32_e32 vcc_lo, 12, v0
	s_delay_alu instid0(VALU_DEP_3) | instskip(NEXT) | instid1(VALU_DEP_3)
	v_cndmask_b32_e64 v38, v37, v31, s0
	v_cndmask_b32_e64 v37, v39, v30, s0
	s_or_b32 s3, vcc_lo, s3
	s_waitcnt lgkmcnt(0)
	s_delay_alu instid0(VALU_DEP_1)
	v_fma_f64 v[32:33], v[37:38], v[35:36], v[32:33]
	s_and_not1_b32 exec_lo, exec_lo, s3
	s_cbranch_execnz .LBB14_355
; %bb.356:
	s_or_b32 exec_lo, exec_lo, s3
.LBB14_357:
	s_delay_alu instid0(SALU_CYCLE_1)
	s_or_b32 exec_lo, exec_lo, s2
	v_mov_b32_e32 v0, 0
	ds_load_b64 v[0:1], v0 offset:112
	s_waitcnt lgkmcnt(0)
	v_mul_f64 v[30:31], v[32:33], v[0:1]
.LBB14_358:
	s_or_b32 exec_lo, exec_lo, s1
	v_dual_mov_b32 v65, v33 :: v_dual_mov_b32 v64, v32
	s_delay_alu instid0(VALU_DEP_2)
	v_dual_mov_b32 v63, v31 :: v_dual_mov_b32 v62, v30
	v_dual_mov_b32 v61, v29 :: v_dual_mov_b32 v60, v28
	;; [unrolled: 1-line block ×15, first 2 shown]
.LBB14_359:
	s_clause 0xe
	global_store_b64 v[68:69], v[34:35], off
	global_store_b64 v[70:71], v[36:37], off
	;; [unrolled: 1-line block ×15, first 2 shown]
.LBB14_360:
	s_nop 0
	s_sendmsg sendmsg(MSG_DEALLOC_VGPRS)
	s_endpgm
	.section	.rodata,"a",@progbits
	.p2align	6, 0x0
	.amdhsa_kernel _ZN9rocsolver6v33100L18trti2_kernel_smallILi15EdPdEEv13rocblas_fill_17rocblas_diagonal_T1_iil
		.amdhsa_group_segment_fixed_size 248
		.amdhsa_private_segment_fixed_size 0
		.amdhsa_kernarg_size 32
		.amdhsa_user_sgpr_count 15
		.amdhsa_user_sgpr_dispatch_ptr 0
		.amdhsa_user_sgpr_queue_ptr 0
		.amdhsa_user_sgpr_kernarg_segment_ptr 1
		.amdhsa_user_sgpr_dispatch_id 0
		.amdhsa_user_sgpr_private_segment_size 0
		.amdhsa_wavefront_size32 1
		.amdhsa_uses_dynamic_stack 0
		.amdhsa_enable_private_segment 0
		.amdhsa_system_sgpr_workgroup_id_x 1
		.amdhsa_system_sgpr_workgroup_id_y 0
		.amdhsa_system_sgpr_workgroup_id_z 0
		.amdhsa_system_sgpr_workgroup_info 0
		.amdhsa_system_vgpr_workitem_id 0
		.amdhsa_next_free_vgpr 112
		.amdhsa_next_free_sgpr 24
		.amdhsa_reserve_vcc 1
		.amdhsa_float_round_mode_32 0
		.amdhsa_float_round_mode_16_64 0
		.amdhsa_float_denorm_mode_32 3
		.amdhsa_float_denorm_mode_16_64 3
		.amdhsa_dx10_clamp 1
		.amdhsa_ieee_mode 1
		.amdhsa_fp16_overflow 0
		.amdhsa_workgroup_processor_mode 1
		.amdhsa_memory_ordered 1
		.amdhsa_forward_progress 0
		.amdhsa_shared_vgpr_count 0
		.amdhsa_exception_fp_ieee_invalid_op 0
		.amdhsa_exception_fp_denorm_src 0
		.amdhsa_exception_fp_ieee_div_zero 0
		.amdhsa_exception_fp_ieee_overflow 0
		.amdhsa_exception_fp_ieee_underflow 0
		.amdhsa_exception_fp_ieee_inexact 0
		.amdhsa_exception_int_div_zero 0
	.end_amdhsa_kernel
	.section	.text._ZN9rocsolver6v33100L18trti2_kernel_smallILi15EdPdEEv13rocblas_fill_17rocblas_diagonal_T1_iil,"axG",@progbits,_ZN9rocsolver6v33100L18trti2_kernel_smallILi15EdPdEEv13rocblas_fill_17rocblas_diagonal_T1_iil,comdat
.Lfunc_end14:
	.size	_ZN9rocsolver6v33100L18trti2_kernel_smallILi15EdPdEEv13rocblas_fill_17rocblas_diagonal_T1_iil, .Lfunc_end14-_ZN9rocsolver6v33100L18trti2_kernel_smallILi15EdPdEEv13rocblas_fill_17rocblas_diagonal_T1_iil
                                        ; -- End function
	.section	.AMDGPU.csdata,"",@progbits
; Kernel info:
; codeLenInByte = 26600
; NumSgprs: 26
; NumVgprs: 112
; ScratchSize: 0
; MemoryBound: 0
; FloatMode: 240
; IeeeMode: 1
; LDSByteSize: 248 bytes/workgroup (compile time only)
; SGPRBlocks: 3
; VGPRBlocks: 13
; NumSGPRsForWavesPerEU: 26
; NumVGPRsForWavesPerEU: 112
; Occupancy: 12
; WaveLimiterHint : 0
; COMPUTE_PGM_RSRC2:SCRATCH_EN: 0
; COMPUTE_PGM_RSRC2:USER_SGPR: 15
; COMPUTE_PGM_RSRC2:TRAP_HANDLER: 0
; COMPUTE_PGM_RSRC2:TGID_X_EN: 1
; COMPUTE_PGM_RSRC2:TGID_Y_EN: 0
; COMPUTE_PGM_RSRC2:TGID_Z_EN: 0
; COMPUTE_PGM_RSRC2:TIDIG_COMP_CNT: 0
	.section	.text._ZN9rocsolver6v33100L18trti2_kernel_smallILi16EdPdEEv13rocblas_fill_17rocblas_diagonal_T1_iil,"axG",@progbits,_ZN9rocsolver6v33100L18trti2_kernel_smallILi16EdPdEEv13rocblas_fill_17rocblas_diagonal_T1_iil,comdat
	.globl	_ZN9rocsolver6v33100L18trti2_kernel_smallILi16EdPdEEv13rocblas_fill_17rocblas_diagonal_T1_iil ; -- Begin function _ZN9rocsolver6v33100L18trti2_kernel_smallILi16EdPdEEv13rocblas_fill_17rocblas_diagonal_T1_iil
	.p2align	8
	.type	_ZN9rocsolver6v33100L18trti2_kernel_smallILi16EdPdEEv13rocblas_fill_17rocblas_diagonal_T1_iil,@function
_ZN9rocsolver6v33100L18trti2_kernel_smallILi16EdPdEEv13rocblas_fill_17rocblas_diagonal_T1_iil: ; @_ZN9rocsolver6v33100L18trti2_kernel_smallILi16EdPdEEv13rocblas_fill_17rocblas_diagonal_T1_iil
; %bb.0:
	s_mov_b32 s2, exec_lo
	v_cmpx_gt_u32_e32 16, v0
	s_cbranch_execz .LBB15_386
; %bb.1:
	s_load_b256 s[16:23], s[0:1], 0x0
	s_ashr_i32 s2, s15, 31
	v_lshlrev_b32_e32 v36, 3, v0
	v_mov_b32_e32 v34, 0
	v_mov_b32_e32 v35, 0xbff00000
	s_waitcnt lgkmcnt(0)
	v_add3_u32 v1, s21, s21, v0
	s_mul_i32 s3, s15, s23
	s_mul_hi_u32 s4, s15, s22
	s_mul_i32 s5, s2, s22
	s_add_i32 s3, s4, s3
	v_add_nc_u32_e32 v3, s21, v1
	v_ashrrev_i32_e32 v2, 31, v1
	s_mul_i32 s2, s15, s22
	s_add_i32 s3, s3, s5
	s_ashr_i32 s1, s20, 31
	v_add_nc_u32_e32 v5, s21, v3
	s_lshl_b64 s[2:3], s[2:3], 3
	s_mov_b32 s0, s20
	v_lshlrev_b64 v[1:2], 3, v[1:2]
	s_add_u32 s2, s18, s2
	s_addc_u32 s3, s19, s3
	s_lshl_b64 s[0:1], s[0:1], 3
	v_ashrrev_i32_e32 v6, 31, v5
	v_ashrrev_i32_e32 v4, 31, v3
	s_add_u32 s0, s2, s0
	s_addc_u32 s1, s3, s1
	v_add_co_u32 v66, vcc_lo, s0, v1
	v_add_co_u32 v68, s2, s0, v36
	s_mov_b32 s4, s21
	s_ashr_i32 s5, s21, 31
	v_add_co_ci_u32_e32 v67, vcc_lo, s1, v2, vcc_lo
	v_lshlrev_b64 v[1:2], 3, v[5:6]
	v_add_nc_u32_e32 v5, s21, v5
	v_add_co_ci_u32_e64 v69, null, s1, 0, s2
	v_lshlrev_b64 v[3:4], 3, v[3:4]
	s_lshl_b64 s[2:3], s[4:5], 3
	s_delay_alu instid0(VALU_DEP_3) | instskip(SKIP_2) | instid1(VALU_DEP_4)
	v_add_nc_u32_e32 v12, s21, v5
	v_add_co_u32 v70, vcc_lo, v68, s2
	v_add_co_ci_u32_e32 v71, vcc_lo, s3, v69, vcc_lo
	v_add_co_u32 v72, vcc_lo, s0, v3
	v_ashrrev_i32_e32 v6, 31, v5
	v_add_co_ci_u32_e32 v73, vcc_lo, s1, v4, vcc_lo
	v_add_co_u32 v74, vcc_lo, s0, v1
	v_add_nc_u32_e32 v14, s21, v12
	v_add_co_ci_u32_e32 v75, vcc_lo, s1, v2, vcc_lo
	v_lshlrev_b64 v[1:2], 3, v[5:6]
	v_ashrrev_i32_e32 v13, 31, v12
	s_delay_alu instid0(VALU_DEP_4)
	v_ashrrev_i32_e32 v15, 31, v14
	v_add_nc_u32_e32 v16, s21, v14
	s_clause 0x3
	global_load_b64 v[4:5], v[70:71], off
	global_load_b64 v[6:7], v[66:67], off
	;; [unrolled: 1-line block ×4, first 2 shown]
	s_cmpk_lg_i32 s17, 0x84
	v_lshlrev_b64 v[12:13], 3, v[12:13]
	v_add_co_u32 v78, vcc_lo, s0, v1
	v_add_co_ci_u32_e32 v79, vcc_lo, s1, v2, vcc_lo
	v_lshlrev_b64 v[1:2], 3, v[14:15]
	v_add_nc_u32_e32 v14, s21, v16
	v_add_co_u32 v76, vcc_lo, s0, v12
	v_ashrrev_i32_e32 v17, 31, v16
	v_add_co_ci_u32_e32 v77, vcc_lo, s1, v13, vcc_lo
	v_add_co_u32 v80, vcc_lo, s0, v1
	v_add_nc_u32_e32 v1, s21, v14
	v_ashrrev_i32_e32 v15, 31, v14
	v_lshlrev_b64 v[12:13], 3, v[16:17]
	v_add_co_ci_u32_e32 v81, vcc_lo, s1, v2, vcc_lo
	s_delay_alu instid0(VALU_DEP_4) | instskip(NEXT) | instid1(VALU_DEP_4)
	v_add_nc_u32_e32 v22, s21, v1
	v_lshlrev_b64 v[20:21], 3, v[14:15]
	v_ashrrev_i32_e32 v2, 31, v1
	v_add_co_u32 v82, vcc_lo, s0, v12
	s_delay_alu instid0(VALU_DEP_4)
	v_ashrrev_i32_e32 v23, 31, v22
	v_add_nc_u32_e32 v24, s21, v22
	v_add_co_ci_u32_e32 v83, vcc_lo, s1, v13, vcc_lo
	v_lshlrev_b64 v[1:2], 3, v[1:2]
	v_add_co_u32 v84, vcc_lo, s0, v20
	v_add_co_ci_u32_e32 v85, vcc_lo, s1, v21, vcc_lo
	v_lshlrev_b64 v[20:21], 3, v[22:23]
	v_ashrrev_i32_e32 v25, 31, v24
	v_add_nc_u32_e32 v22, s21, v24
	v_add_co_u32 v86, vcc_lo, s0, v1
	v_add_co_ci_u32_e32 v87, vcc_lo, s1, v2, vcc_lo
	s_delay_alu instid0(VALU_DEP_4) | instskip(NEXT) | instid1(VALU_DEP_4)
	v_lshlrev_b64 v[1:2], 3, v[24:25]
	v_ashrrev_i32_e32 v23, 31, v22
	v_add_nc_u32_e32 v24, s21, v22
	v_add_co_u32 v88, vcc_lo, s0, v20
	v_add_co_ci_u32_e32 v89, vcc_lo, s1, v21, vcc_lo
	s_delay_alu instid0(VALU_DEP_4) | instskip(NEXT) | instid1(VALU_DEP_4)
	v_lshlrev_b64 v[20:21], 3, v[22:23]
	v_add_nc_u32_e32 v22, s21, v24
	v_ashrrev_i32_e32 v25, 31, v24
	v_add_co_u32 v96, vcc_lo, s0, v1
	v_add_co_ci_u32_e32 v97, vcc_lo, s1, v2, vcc_lo
	s_delay_alu instid0(VALU_DEP_4) | instskip(NEXT) | instid1(VALU_DEP_4)
	v_ashrrev_i32_e32 v23, 31, v22
	v_lshlrev_b64 v[1:2], 3, v[24:25]
	v_add_co_u32 v92, vcc_lo, s0, v20
	v_add_co_ci_u32_e32 v93, vcc_lo, s1, v21, vcc_lo
	s_delay_alu instid0(VALU_DEP_4) | instskip(NEXT) | instid1(VALU_DEP_4)
	v_lshlrev_b64 v[20:21], 3, v[22:23]
	v_add_co_u32 v94, vcc_lo, s0, v1
	v_add_co_ci_u32_e32 v95, vcc_lo, s1, v2, vcc_lo
	s_clause 0x3
	global_load_b64 v[12:13], v[78:79], off
	global_load_b64 v[14:15], v[76:77], off
	;; [unrolled: 1-line block ×4, first 2 shown]
	v_add_co_u32 v90, vcc_lo, s0, v20
	v_add_co_ci_u32_e32 v91, vcc_lo, s1, v21, vcc_lo
	v_mov_b32_e32 v1, 0
	s_clause 0x7
	global_load_b64 v[20:21], v[84:85], off
	global_load_b64 v[22:23], v[86:87], off
	global_load_b64 v[24:25], v[88:89], off
	global_load_b64 v[26:27], v[96:97], off
	global_load_b64 v[28:29], v[92:93], off
	global_load_b64 v[30:31], v[94:95], off
	global_load_b64 v[2:3], v36, s[0:1]
	global_load_b64 v[32:33], v[90:91], off
	v_cmp_eq_u32_e64 s0, 0, v0
	s_cselect_b32 s18, -1, 0
	s_cmpk_eq_i32 s17, 0x84
	s_cbranch_scc1 .LBB15_3
; %bb.2:
	v_cmp_eq_u32_e64 s1, 1, v0
	v_cmp_eq_u32_e64 s2, 2, v0
	;; [unrolled: 1-line block ×5, first 2 shown]
	s_waitcnt vmcnt(1)
	v_cndmask_b32_e64 v34, v3, v5, s1
	v_cndmask_b32_e64 v35, v2, v4, s1
	v_cmp_eq_u32_e64 s6, 6, v0
	v_cmp_eq_u32_e64 s7, 7, v0
	v_cmp_eq_u32_e64 s8, 8, v0
	v_cndmask_b32_e64 v34, v34, v7, s2
	v_cndmask_b32_e64 v35, v35, v6, s2
	v_cmp_eq_u32_e64 s9, 9, v0
	v_cmp_eq_u32_e64 s10, 10, v0
	v_cmp_eq_u32_e64 s11, 11, v0
	;; [unrolled: 5-line block ×3, first 2 shown]
	v_cndmask_b32_e64 v34, v34, v11, s4
	v_cndmask_b32_e64 v35, v35, v10, s4
	v_cmp_eq_u32_e64 s15, 15, v0
	s_delay_alu instid0(VALU_DEP_3) | instskip(NEXT) | instid1(VALU_DEP_3)
	v_cndmask_b32_e64 v34, v34, v13, s5
	v_cndmask_b32_e64 v35, v35, v12, s5
	s_delay_alu instid0(VALU_DEP_2) | instskip(NEXT) | instid1(VALU_DEP_2)
	v_cndmask_b32_e64 v34, v34, v15, s6
	v_cndmask_b32_e64 v35, v35, v14, s6
	s_delay_alu instid0(VALU_DEP_2) | instskip(NEXT) | instid1(VALU_DEP_2)
	;; [unrolled: 3-line block ×9, first 2 shown]
	v_cndmask_b32_e64 v34, v34, v31, s14
	v_cndmask_b32_e64 v37, v35, v30, s14
	s_waitcnt vmcnt(0)
	s_delay_alu instid0(VALU_DEP_2) | instskip(NEXT) | instid1(VALU_DEP_2)
	v_cndmask_b32_e64 v35, v34, v33, s15
	v_cndmask_b32_e64 v34, v37, v32, s15
	s_delay_alu instid0(VALU_DEP_1) | instskip(SKIP_1) | instid1(VALU_DEP_2)
	v_div_scale_f64 v[37:38], null, v[34:35], v[34:35], 1.0
	v_div_scale_f64 v[43:44], vcc_lo, 1.0, v[34:35], 1.0
	v_rcp_f64_e32 v[39:40], v[37:38]
	s_waitcnt_depctr 0xfff
	v_fma_f64 v[41:42], -v[37:38], v[39:40], 1.0
	s_delay_alu instid0(VALU_DEP_1) | instskip(NEXT) | instid1(VALU_DEP_1)
	v_fma_f64 v[39:40], v[39:40], v[41:42], v[39:40]
	v_fma_f64 v[41:42], -v[37:38], v[39:40], 1.0
	s_delay_alu instid0(VALU_DEP_1) | instskip(NEXT) | instid1(VALU_DEP_1)
	v_fma_f64 v[39:40], v[39:40], v[41:42], v[39:40]
	v_mul_f64 v[41:42], v[43:44], v[39:40]
	s_delay_alu instid0(VALU_DEP_1) | instskip(NEXT) | instid1(VALU_DEP_1)
	v_fma_f64 v[37:38], -v[37:38], v[41:42], v[43:44]
	v_div_fmas_f64 v[37:38], v[37:38], v[39:40], v[41:42]
	s_delay_alu instid0(VALU_DEP_1) | instskip(NEXT) | instid1(VALU_DEP_1)
	v_div_fixup_f64 v[34:35], v[37:38], v[34:35], 1.0
	v_cndmask_b32_e64 v33, v33, v35, s15
	s_delay_alu instid0(VALU_DEP_2)
	v_cndmask_b32_e64 v32, v32, v34, s15
	v_cndmask_b32_e64 v31, v31, v35, s14
	;; [unrolled: 1-line block ×31, first 2 shown]
	v_xor_b32_e32 v35, 0x80000000, v35
.LBB15_3:
	v_add_nc_u32_e32 v100, 0x80, v36
	s_cmpk_eq_i32 s16, 0x79
	ds_store_b64 v36, v[34:35]
	s_cbranch_scc1 .LBB15_7
; %bb.4:
	s_waitcnt vmcnt(0)
	v_dual_mov_b32 v65, v33 :: v_dual_mov_b32 v64, v32
	v_dual_mov_b32 v63, v31 :: v_dual_mov_b32 v62, v30
	;; [unrolled: 1-line block ×16, first 2 shown]
	v_cmp_eq_u32_e64 s0, 15, v0
	ds_store_b64 v100, v[30:31]
	s_waitcnt lgkmcnt(0)
	s_barrier
	buffer_gl0_inv
	s_and_saveexec_b32 s1, s0
	s_cbranch_execz .LBB15_11
; %bb.5:
	s_and_b32 vcc_lo, exec_lo, s18
	s_cbranch_vccz .LBB15_8
; %bb.6:
	v_cmp_eq_u32_e32 vcc_lo, 1, v0
	v_dual_cndmask_b32 v34, v3, v5 :: v_dual_cndmask_b32 v35, v2, v4
	v_cmp_eq_u32_e32 vcc_lo, 2, v0
	s_delay_alu instid0(VALU_DEP_2) | instskip(SKIP_1) | instid1(VALU_DEP_2)
	v_dual_cndmask_b32 v34, v34, v7 :: v_dual_cndmask_b32 v35, v35, v6
	v_cmp_eq_u32_e32 vcc_lo, 3, v0
	v_dual_cndmask_b32 v34, v34, v9 :: v_dual_cndmask_b32 v35, v35, v8
	v_cmp_eq_u32_e32 vcc_lo, 4, v0
	s_delay_alu instid0(VALU_DEP_2) | instskip(SKIP_1) | instid1(VALU_DEP_2)
	v_dual_cndmask_b32 v34, v34, v11 :: v_dual_cndmask_b32 v35, v35, v10
	;; [unrolled: 5-line block ×5, first 2 shown]
	v_cmp_eq_u32_e32 vcc_lo, 11, v0
	v_dual_cndmask_b32 v34, v34, v25 :: v_dual_cndmask_b32 v35, v35, v24
	v_cmp_eq_u32_e32 vcc_lo, 12, v0
	s_delay_alu instid0(VALU_DEP_2) | instskip(SKIP_4) | instid1(VALU_DEP_2)
	v_dual_cndmask_b32 v36, v34, v27 :: v_dual_cndmask_b32 v37, v35, v26
	v_cmp_eq_u32_e32 vcc_lo, 13, v0
	ds_load_b64 v[34:35], v100
	v_dual_cndmask_b32 v36, v36, v29 :: v_dual_cndmask_b32 v37, v37, v28
	v_cmp_eq_u32_e32 vcc_lo, 14, v0
	v_cndmask_b32_e32 v36, v36, v31, vcc_lo
	s_delay_alu instid0(VALU_DEP_3) | instskip(SKIP_1) | instid1(VALU_DEP_2)
	v_cndmask_b32_e32 v38, v37, v30, vcc_lo
	v_cmp_eq_u32_e32 vcc_lo, 15, v0
	v_dual_cndmask_b32 v37, v36, v33 :: v_dual_cndmask_b32 v36, v38, v32
	s_waitcnt lgkmcnt(0)
	s_delay_alu instid0(VALU_DEP_1)
	v_mul_f64 v[34:35], v[36:37], v[34:35]
	s_cbranch_execz .LBB15_9
	s_branch .LBB15_10
.LBB15_7:
                                        ; implicit-def: $vgpr34_vgpr35_vgpr36_vgpr37_vgpr38_vgpr39_vgpr40_vgpr41_vgpr42_vgpr43_vgpr44_vgpr45_vgpr46_vgpr47_vgpr48_vgpr49_vgpr50_vgpr51_vgpr52_vgpr53_vgpr54_vgpr55_vgpr56_vgpr57_vgpr58_vgpr59_vgpr60_vgpr61_vgpr62_vgpr63_vgpr64_vgpr65
	s_cbranch_execnz .LBB15_228
	s_branch .LBB15_385
.LBB15_8:
                                        ; implicit-def: $vgpr34_vgpr35
.LBB15_9:
	ds_load_b64 v[34:35], v100
.LBB15_10:
	v_mov_b32_e32 v36, 0
	ds_load_b64 v[36:37], v36 offset:112
	s_waitcnt lgkmcnt(0)
	v_mul_f64 v[98:99], v[34:35], v[36:37]
	v_dual_mov_b32 v65, v33 :: v_dual_mov_b32 v64, v32
	v_dual_mov_b32 v63, v31 :: v_dual_mov_b32 v62, v30
	v_dual_mov_b32 v61, v29 :: v_dual_mov_b32 v60, v28
	v_dual_mov_b32 v59, v27 :: v_dual_mov_b32 v58, v26
	v_dual_mov_b32 v57, v25 :: v_dual_mov_b32 v56, v24
	v_dual_mov_b32 v55, v23 :: v_dual_mov_b32 v54, v22
	v_dual_mov_b32 v53, v21 :: v_dual_mov_b32 v52, v20
	v_dual_mov_b32 v51, v19 :: v_dual_mov_b32 v50, v18
	v_dual_mov_b32 v49, v17 :: v_dual_mov_b32 v48, v16
	v_dual_mov_b32 v47, v15 :: v_dual_mov_b32 v46, v14
	v_dual_mov_b32 v45, v13 :: v_dual_mov_b32 v44, v12
	v_dual_mov_b32 v43, v11 :: v_dual_mov_b32 v42, v10
	v_dual_mov_b32 v41, v9 :: v_dual_mov_b32 v40, v8
	v_dual_mov_b32 v39, v7 :: v_dual_mov_b32 v38, v6
	v_dual_mov_b32 v37, v5 :: v_dual_mov_b32 v36, v4
	v_dual_mov_b32 v35, v3 :: v_dual_mov_b32 v34, v2
	v_dual_mov_b32 v63, v99 :: v_dual_mov_b32 v62, v98
.LBB15_11:
	s_or_b32 exec_lo, exec_lo, s1
	v_cmp_lt_u32_e64 s1, 13, v0
	ds_store_b64 v100, v[60:61]
	s_waitcnt lgkmcnt(0)
	s_barrier
	buffer_gl0_inv
	s_and_saveexec_b32 s2, s1
	s_cbranch_execz .LBB15_19
; %bb.12:
	s_and_not1_b32 vcc_lo, exec_lo, s18
	s_cbranch_vccnz .LBB15_14
; %bb.13:
	v_cmp_eq_u32_e32 vcc_lo, 1, v0
	v_dual_cndmask_b32 v98, v35, v37 :: v_dual_cndmask_b32 v99, v34, v36
	v_cmp_eq_u32_e32 vcc_lo, 2, v0
	s_delay_alu instid0(VALU_DEP_2) | instskip(SKIP_1) | instid1(VALU_DEP_2)
	v_dual_cndmask_b32 v98, v98, v39 :: v_dual_cndmask_b32 v99, v99, v38
	v_cmp_eq_u32_e32 vcc_lo, 3, v0
	v_dual_cndmask_b32 v98, v98, v41 :: v_dual_cndmask_b32 v99, v99, v40
	v_cmp_eq_u32_e32 vcc_lo, 4, v0
	s_delay_alu instid0(VALU_DEP_2) | instskip(SKIP_1) | instid1(VALU_DEP_2)
	v_dual_cndmask_b32 v98, v98, v43 :: v_dual_cndmask_b32 v99, v99, v42
	;; [unrolled: 5-line block ×5, first 2 shown]
	v_cmp_eq_u32_e32 vcc_lo, 11, v0
	v_dual_cndmask_b32 v98, v98, v57 :: v_dual_cndmask_b32 v99, v99, v56
	v_cmp_eq_u32_e32 vcc_lo, 12, v0
	s_delay_alu instid0(VALU_DEP_2) | instskip(SKIP_4) | instid1(VALU_DEP_2)
	v_dual_cndmask_b32 v101, v98, v59 :: v_dual_cndmask_b32 v102, v99, v58
	v_cmp_eq_u32_e32 vcc_lo, 13, v0
	ds_load_b64 v[98:99], v100
	v_dual_cndmask_b32 v61, v101, v61 :: v_dual_cndmask_b32 v60, v102, v60
	v_cmp_eq_u32_e32 vcc_lo, 14, v0
	v_dual_cndmask_b32 v61, v61, v63 :: v_dual_cndmask_b32 v60, v60, v62
	v_cmp_eq_u32_e32 vcc_lo, 15, v0
	s_delay_alu instid0(VALU_DEP_2) | instskip(SKIP_1) | instid1(VALU_DEP_1)
	v_dual_cndmask_b32 v61, v61, v65 :: v_dual_cndmask_b32 v60, v60, v64
	s_waitcnt lgkmcnt(0)
	v_mul_f64 v[60:61], v[60:61], v[98:99]
	s_cbranch_execz .LBB15_15
	s_branch .LBB15_16
.LBB15_14:
                                        ; implicit-def: $vgpr60_vgpr61
.LBB15_15:
	ds_load_b64 v[60:61], v100
.LBB15_16:
	s_and_saveexec_b32 s3, s0
	s_cbranch_execz .LBB15_18
; %bb.17:
	v_mov_b32_e32 v98, 0
	ds_load_b64 v[98:99], v98 offset:240
	s_waitcnt lgkmcnt(0)
	v_fma_f64 v[60:61], v[62:63], v[98:99], v[60:61]
.LBB15_18:
	s_or_b32 exec_lo, exec_lo, s3
	v_mov_b32_e32 v98, 0
	ds_load_b64 v[98:99], v98 offset:104
	s_waitcnt lgkmcnt(0)
	v_mul_f64 v[60:61], v[60:61], v[98:99]
.LBB15_19:
	s_or_b32 exec_lo, exec_lo, s2
	v_cmp_lt_u32_e64 s0, 12, v0
	ds_store_b64 v100, v[58:59]
	s_waitcnt lgkmcnt(0)
	s_barrier
	buffer_gl0_inv
	s_and_saveexec_b32 s4, s0
	s_cbranch_execz .LBB15_35
; %bb.20:
	s_and_not1_b32 vcc_lo, exec_lo, s18
	s_cbranch_vccnz .LBB15_22
; %bb.21:
	v_cmp_eq_u32_e32 vcc_lo, 1, v0
	v_dual_cndmask_b32 v98, v35, v37 :: v_dual_cndmask_b32 v99, v34, v36
	v_cmp_eq_u32_e32 vcc_lo, 2, v0
	s_delay_alu instid0(VALU_DEP_2) | instskip(SKIP_1) | instid1(VALU_DEP_2)
	v_dual_cndmask_b32 v98, v98, v39 :: v_dual_cndmask_b32 v99, v99, v38
	v_cmp_eq_u32_e32 vcc_lo, 3, v0
	v_dual_cndmask_b32 v98, v98, v41 :: v_dual_cndmask_b32 v99, v99, v40
	v_cmp_eq_u32_e32 vcc_lo, 4, v0
	s_delay_alu instid0(VALU_DEP_2) | instskip(SKIP_1) | instid1(VALU_DEP_2)
	v_dual_cndmask_b32 v98, v98, v43 :: v_dual_cndmask_b32 v99, v99, v42
	;; [unrolled: 5-line block ×5, first 2 shown]
	v_cmp_eq_u32_e32 vcc_lo, 11, v0
	v_dual_cndmask_b32 v98, v98, v57 :: v_dual_cndmask_b32 v99, v99, v56
	v_cmp_eq_u32_e32 vcc_lo, 12, v0
	s_delay_alu instid0(VALU_DEP_2) | instskip(SKIP_4) | instid1(VALU_DEP_2)
	v_dual_cndmask_b32 v101, v98, v59 :: v_dual_cndmask_b32 v102, v99, v58
	v_cmp_eq_u32_e32 vcc_lo, 13, v0
	ds_load_b64 v[98:99], v100
	v_dual_cndmask_b32 v101, v101, v61 :: v_dual_cndmask_b32 v102, v102, v60
	v_cmp_eq_u32_e32 vcc_lo, 14, v0
	v_cndmask_b32_e32 v101, v101, v63, vcc_lo
	s_delay_alu instid0(VALU_DEP_3) | instskip(SKIP_1) | instid1(VALU_DEP_2)
	v_cndmask_b32_e32 v103, v102, v62, vcc_lo
	v_cmp_eq_u32_e32 vcc_lo, 15, v0
	v_dual_cndmask_b32 v102, v101, v65 :: v_dual_cndmask_b32 v101, v103, v64
	s_waitcnt lgkmcnt(0)
	s_delay_alu instid0(VALU_DEP_1)
	v_mul_f64 v[98:99], v[101:102], v[98:99]
	s_cbranch_execz .LBB15_23
	s_branch .LBB15_24
.LBB15_22:
                                        ; implicit-def: $vgpr98_vgpr99
.LBB15_23:
	ds_load_b64 v[98:99], v100
.LBB15_24:
	s_and_saveexec_b32 s5, s1
	s_cbranch_execz .LBB15_34
; %bb.25:
	v_add_nc_u32_e32 v102, -14, v0
	v_add_nc_u32_e32 v101, -13, v0
	s_delay_alu instid0(VALU_DEP_2)
	v_cmp_lt_u32_e32 vcc_lo, 6, v102
	v_mov_b32_e32 v102, 13
	s_and_saveexec_b32 s1, vcc_lo
	s_cbranch_execz .LBB15_29
; %bb.26:
	v_and_b32_e32 v102, -8, v101
	s_mov_b32 s6, 0
	s_mov_b64 s[2:3], 20
	s_movk_i32 s7, 0xe8
	s_delay_alu instid0(VALU_DEP_1)
	v_sub_nc_u32_e32 v103, 0, v102
.LBB15_27:                              ; =>This Inner Loop Header: Depth=1
	v_mov_b32_e32 v102, s7
	s_lshl_b32 s8, s2, 1
	s_delay_alu instid0(SALU_CYCLE_1)
	s_add_i32 m0, s8, -13
	v_movrels_b32_e32 v113, v34
	ds_load_2addr_b64 v[104:107], v102 offset1:1
	ds_load_2addr_b64 v[108:111], v102 offset0:2 offset1:3
	s_add_i32 m0, s8, -14
	v_movrels_b32_e32 v112, v34
	s_add_i32 m0, s8, -11
	s_waitcnt lgkmcnt(1)
	s_delay_alu instid0(VALU_DEP_1) | instskip(SKIP_4) | instid1(VALU_DEP_1)
	v_fma_f64 v[98:99], v[112:113], v[104:105], v[98:99]
	v_movrels_b32_e32 v105, v34
	s_add_i32 m0, s8, -12
	v_movrels_b32_e32 v104, v34
	s_add_i32 m0, s8, -9
	v_fma_f64 v[98:99], v[104:105], v[106:107], v[98:99]
	v_movrels_b32_e32 v105, v34
	s_add_i32 m0, s8, -10
	v_movrels_b32_e32 v104, v34
	s_add_i32 m0, s8, -7
	s_waitcnt lgkmcnt(0)
	s_delay_alu instid0(VALU_DEP_1)
	v_fma_f64 v[98:99], v[104:105], v[108:109], v[98:99]
	v_movrels_b32_e32 v105, v34
	s_add_i32 m0, s8, -8
	v_movrels_b32_e32 v104, v34
	s_add_i32 m0, s8, -5
	;; [unrolled: 2-line block ×4, first 2 shown]
	v_fma_f64 v[98:99], v[104:105], v[110:111], v[98:99]
	ds_load_2addr_b64 v[104:107], v102 offset0:4 offset1:5
	ds_load_2addr_b64 v[108:111], v102 offset0:6 offset1:7
	s_waitcnt lgkmcnt(1)
	v_fma_f64 v[98:99], v[112:113], v[104:105], v[98:99]
	v_movrels_b32_e32 v105, v34
	s_add_i32 m0, s8, -4
	v_movrels_b32_e32 v104, v34
	s_add_i32 m0, s8, -1
	s_delay_alu instid0(VALU_DEP_1)
	v_fma_f64 v[98:99], v[104:105], v[106:107], v[98:99]
	v_movrels_b32_e32 v105, v34
	s_add_i32 m0, s8, -2
	s_add_u32 s2, s2, 8
	v_movrels_b32_e32 v104, v34
	s_mov_b32 m0, s8
	v_add_nc_u32_e32 v102, s2, v103
	s_addc_u32 s3, s3, 0
	s_add_i32 s8, s2, -7
	s_add_i32 s7, s7, 64
	s_delay_alu instid0(VALU_DEP_1)
	v_cmp_eq_u32_e32 vcc_lo, 20, v102
	v_mov_b32_e32 v102, s8
	s_or_b32 s6, vcc_lo, s6
	s_waitcnt lgkmcnt(0)
	v_fma_f64 v[98:99], v[104:105], v[108:109], v[98:99]
	v_movrels_b32_e32 v105, v35
	v_movrels_b32_e32 v104, v34
	s_delay_alu instid0(VALU_DEP_1)
	v_fma_f64 v[98:99], v[104:105], v[110:111], v[98:99]
	s_and_not1_b32 exec_lo, exec_lo, s6
	s_cbranch_execnz .LBB15_27
; %bb.28:
	s_or_b32 exec_lo, exec_lo, s6
.LBB15_29:
	s_delay_alu instid0(SALU_CYCLE_1) | instskip(SKIP_3) | instid1(VALU_DEP_1)
	s_or_b32 exec_lo, exec_lo, s1
	v_and_b32_e32 v101, 7, v101
	s_mov_b32 s3, 0
	s_mov_b32 s2, exec_lo
	v_cmpx_ne_u32_e32 0, v101
	s_cbranch_execz .LBB15_33
; %bb.30:
	v_lshl_add_u32 v103, v102, 3, 0x80
	v_mov_b32_e32 v104, 0
.LBB15_31:                              ; =>This Inner Loop Header: Depth=1
	v_cmp_eq_u32_e32 vcc_lo, 1, v102
	v_cmp_eq_u32_e64 s1, 2, v102
	v_add_nc_u32_e32 v101, -1, v101
	v_dual_cndmask_b32 v105, v35, v37 :: v_dual_cndmask_b32 v106, v34, v36
	v_cmp_eq_u32_e32 vcc_lo, 3, v102
	s_delay_alu instid0(VALU_DEP_2) | instskip(NEXT) | instid1(VALU_DEP_3)
	v_cndmask_b32_e64 v105, v105, v39, s1
	v_cndmask_b32_e64 v106, v106, v38, s1
	v_cmp_eq_u32_e64 s1, 4, v102
	s_delay_alu instid0(VALU_DEP_2) | instskip(SKIP_1) | instid1(VALU_DEP_2)
	v_dual_cndmask_b32 v105, v105, v41 :: v_dual_cndmask_b32 v106, v106, v40
	v_cmp_eq_u32_e32 vcc_lo, 5, v102
	v_cndmask_b32_e64 v105, v105, v43, s1
	s_delay_alu instid0(VALU_DEP_3) | instskip(SKIP_1) | instid1(VALU_DEP_2)
	v_cndmask_b32_e64 v106, v106, v42, s1
	v_cmp_eq_u32_e64 s1, 6, v102
	v_dual_cndmask_b32 v105, v105, v45 :: v_dual_cndmask_b32 v106, v106, v44
	v_cmp_eq_u32_e32 vcc_lo, 7, v102
	s_delay_alu instid0(VALU_DEP_2) | instskip(NEXT) | instid1(VALU_DEP_3)
	v_cndmask_b32_e64 v105, v105, v47, s1
	v_cndmask_b32_e64 v106, v106, v46, s1
	v_cmp_eq_u32_e64 s1, 8, v102
	s_delay_alu instid0(VALU_DEP_2) | instskip(SKIP_1) | instid1(VALU_DEP_2)
	v_dual_cndmask_b32 v105, v105, v49 :: v_dual_cndmask_b32 v106, v106, v48
	v_cmp_eq_u32_e32 vcc_lo, 9, v102
	v_cndmask_b32_e64 v105, v105, v51, s1
	s_delay_alu instid0(VALU_DEP_3) | instskip(SKIP_1) | instid1(VALU_DEP_2)
	v_cndmask_b32_e64 v106, v106, v50, s1
	v_cmp_eq_u32_e64 s1, 10, v102
	v_dual_cndmask_b32 v105, v105, v53 :: v_dual_cndmask_b32 v106, v106, v52
	v_cmp_eq_u32_e32 vcc_lo, 11, v102
	s_delay_alu instid0(VALU_DEP_2) | instskip(NEXT) | instid1(VALU_DEP_3)
	v_cndmask_b32_e64 v105, v105, v55, s1
	v_cndmask_b32_e64 v106, v106, v54, s1
	v_cmp_eq_u32_e64 s1, 12, v102
	s_delay_alu instid0(VALU_DEP_2)
	v_dual_cndmask_b32 v107, v105, v57 :: v_dual_cndmask_b32 v108, v106, v56
	ds_load_b64 v[105:106], v103
	v_cmp_eq_u32_e32 vcc_lo, 13, v102
	v_add_nc_u32_e32 v103, 8, v103
	v_cndmask_b32_e64 v107, v107, v59, s1
	v_cndmask_b32_e64 v108, v108, v58, s1
	v_cmp_eq_u32_e64 s1, 14, v102
	s_delay_alu instid0(VALU_DEP_2) | instskip(SKIP_1) | instid1(VALU_DEP_2)
	v_dual_cndmask_b32 v107, v107, v61 :: v_dual_cndmask_b32 v108, v108, v60
	v_cmp_eq_u32_e32 vcc_lo, 15, v102
	v_cndmask_b32_e64 v107, v107, v63, s1
	s_delay_alu instid0(VALU_DEP_3) | instskip(SKIP_1) | instid1(VALU_DEP_1)
	v_cndmask_b32_e64 v109, v108, v62, s1
	v_add_co_u32 v102, s1, v102, 1
	v_add_co_ci_u32_e64 v104, s1, 0, v104, s1
	s_delay_alu instid0(VALU_DEP_3) | instskip(SKIP_2) | instid1(VALU_DEP_2)
	v_dual_cndmask_b32 v108, v107, v65 :: v_dual_cndmask_b32 v107, v109, v64
	v_cmp_eq_u32_e32 vcc_lo, 0, v101
	s_waitcnt lgkmcnt(0)
	v_fma_f64 v[98:99], v[107:108], v[105:106], v[98:99]
	s_or_b32 s3, vcc_lo, s3
	s_delay_alu instid0(SALU_CYCLE_1)
	s_and_not1_b32 exec_lo, exec_lo, s3
	s_cbranch_execnz .LBB15_31
; %bb.32:
	s_or_b32 exec_lo, exec_lo, s3
.LBB15_33:
	s_delay_alu instid0(SALU_CYCLE_1)
	s_or_b32 exec_lo, exec_lo, s2
.LBB15_34:
	s_delay_alu instid0(SALU_CYCLE_1)
	s_or_b32 exec_lo, exec_lo, s5
	v_mov_b32_e32 v58, 0
	ds_load_b64 v[58:59], v58 offset:96
	s_waitcnt lgkmcnt(0)
	v_mul_f64 v[58:59], v[98:99], v[58:59]
.LBB15_35:
	s_or_b32 exec_lo, exec_lo, s4
	v_cmp_lt_u32_e64 s1, 11, v0
	ds_store_b64 v100, v[56:57]
	s_waitcnt lgkmcnt(0)
	s_barrier
	buffer_gl0_inv
	s_and_saveexec_b32 s4, s1
	s_cbranch_execz .LBB15_51
; %bb.36:
	s_and_not1_b32 vcc_lo, exec_lo, s18
	s_cbranch_vccnz .LBB15_38
; %bb.37:
	v_cmp_eq_u32_e32 vcc_lo, 1, v0
	v_dual_cndmask_b32 v98, v35, v37 :: v_dual_cndmask_b32 v99, v34, v36
	v_cmp_eq_u32_e32 vcc_lo, 2, v0
	s_delay_alu instid0(VALU_DEP_2) | instskip(SKIP_1) | instid1(VALU_DEP_2)
	v_dual_cndmask_b32 v98, v98, v39 :: v_dual_cndmask_b32 v99, v99, v38
	v_cmp_eq_u32_e32 vcc_lo, 3, v0
	v_dual_cndmask_b32 v98, v98, v41 :: v_dual_cndmask_b32 v99, v99, v40
	v_cmp_eq_u32_e32 vcc_lo, 4, v0
	s_delay_alu instid0(VALU_DEP_2) | instskip(SKIP_1) | instid1(VALU_DEP_2)
	v_dual_cndmask_b32 v98, v98, v43 :: v_dual_cndmask_b32 v99, v99, v42
	;; [unrolled: 5-line block ×5, first 2 shown]
	v_cmp_eq_u32_e32 vcc_lo, 11, v0
	v_dual_cndmask_b32 v98, v98, v57 :: v_dual_cndmask_b32 v99, v99, v56
	v_cmp_eq_u32_e32 vcc_lo, 12, v0
	s_delay_alu instid0(VALU_DEP_2) | instskip(SKIP_4) | instid1(VALU_DEP_2)
	v_dual_cndmask_b32 v101, v98, v59 :: v_dual_cndmask_b32 v102, v99, v58
	v_cmp_eq_u32_e32 vcc_lo, 13, v0
	ds_load_b64 v[98:99], v100
	v_dual_cndmask_b32 v101, v101, v61 :: v_dual_cndmask_b32 v102, v102, v60
	v_cmp_eq_u32_e32 vcc_lo, 14, v0
	v_cndmask_b32_e32 v101, v101, v63, vcc_lo
	s_delay_alu instid0(VALU_DEP_3) | instskip(SKIP_1) | instid1(VALU_DEP_2)
	v_cndmask_b32_e32 v103, v102, v62, vcc_lo
	v_cmp_eq_u32_e32 vcc_lo, 15, v0
	v_dual_cndmask_b32 v102, v101, v65 :: v_dual_cndmask_b32 v101, v103, v64
	s_waitcnt lgkmcnt(0)
	s_delay_alu instid0(VALU_DEP_1)
	v_mul_f64 v[98:99], v[101:102], v[98:99]
	s_cbranch_execz .LBB15_39
	s_branch .LBB15_40
.LBB15_38:
                                        ; implicit-def: $vgpr98_vgpr99
.LBB15_39:
	ds_load_b64 v[98:99], v100
.LBB15_40:
	s_and_saveexec_b32 s5, s0
	s_cbranch_execz .LBB15_50
; %bb.41:
	v_add_nc_u32_e32 v102, -13, v0
	v_add_nc_u32_e32 v101, -12, v0
	s_delay_alu instid0(VALU_DEP_2)
	v_cmp_lt_u32_e32 vcc_lo, 6, v102
	v_mov_b32_e32 v102, 12
	s_and_saveexec_b32 s0, vcc_lo
	s_cbranch_execz .LBB15_45
; %bb.42:
	v_and_b32_e32 v102, -8, v101
	s_mov_b32 s6, 0
	s_mov_b64 s[2:3], 19
	s_movk_i32 s7, 0xe0
	s_delay_alu instid0(VALU_DEP_1)
	v_sub_nc_u32_e32 v103, 0, v102
.LBB15_43:                              ; =>This Inner Loop Header: Depth=1
	v_mov_b32_e32 v102, s7
	s_lshl_b32 s8, s2, 1
	s_delay_alu instid0(SALU_CYCLE_1)
	s_add_i32 m0, s8, -13
	v_movrels_b32_e32 v113, v34
	ds_load_b128 v[104:107], v102
	ds_load_b128 v[108:111], v102 offset:16
	s_add_i32 m0, s8, -14
	v_movrels_b32_e32 v112, v34
	s_add_i32 m0, s8, -11
	s_waitcnt lgkmcnt(1)
	s_delay_alu instid0(VALU_DEP_1) | instskip(SKIP_4) | instid1(VALU_DEP_1)
	v_fma_f64 v[98:99], v[112:113], v[104:105], v[98:99]
	v_movrels_b32_e32 v105, v34
	s_add_i32 m0, s8, -12
	v_movrels_b32_e32 v104, v34
	s_add_i32 m0, s8, -9
	v_fma_f64 v[98:99], v[104:105], v[106:107], v[98:99]
	v_movrels_b32_e32 v105, v34
	s_add_i32 m0, s8, -10
	v_movrels_b32_e32 v104, v34
	s_add_i32 m0, s8, -7
	s_waitcnt lgkmcnt(0)
	s_delay_alu instid0(VALU_DEP_1)
	v_fma_f64 v[98:99], v[104:105], v[108:109], v[98:99]
	v_movrels_b32_e32 v105, v34
	s_add_i32 m0, s8, -8
	v_movrels_b32_e32 v104, v34
	s_add_i32 m0, s8, -5
	v_movrels_b32_e32 v113, v34
	s_add_i32 m0, s8, -6
	v_movrels_b32_e32 v112, v34
	s_add_i32 m0, s8, -3
	v_fma_f64 v[98:99], v[104:105], v[110:111], v[98:99]
	ds_load_b128 v[104:107], v102 offset:32
	ds_load_b128 v[108:111], v102 offset:48
	s_waitcnt lgkmcnt(1)
	v_fma_f64 v[98:99], v[112:113], v[104:105], v[98:99]
	v_movrels_b32_e32 v105, v34
	s_add_i32 m0, s8, -4
	v_movrels_b32_e32 v104, v34
	s_add_i32 m0, s8, -1
	s_delay_alu instid0(VALU_DEP_1)
	v_fma_f64 v[98:99], v[104:105], v[106:107], v[98:99]
	v_movrels_b32_e32 v105, v34
	s_add_i32 m0, s8, -2
	s_add_u32 s2, s2, 8
	v_movrels_b32_e32 v104, v34
	s_mov_b32 m0, s8
	v_add_nc_u32_e32 v102, s2, v103
	s_addc_u32 s3, s3, 0
	s_add_i32 s8, s2, -7
	s_add_i32 s7, s7, 64
	s_delay_alu instid0(VALU_DEP_1)
	v_cmp_eq_u32_e32 vcc_lo, 19, v102
	v_mov_b32_e32 v102, s8
	s_or_b32 s6, vcc_lo, s6
	s_waitcnt lgkmcnt(0)
	v_fma_f64 v[98:99], v[104:105], v[108:109], v[98:99]
	v_movrels_b32_e32 v105, v35
	v_movrels_b32_e32 v104, v34
	s_delay_alu instid0(VALU_DEP_1)
	v_fma_f64 v[98:99], v[104:105], v[110:111], v[98:99]
	s_and_not1_b32 exec_lo, exec_lo, s6
	s_cbranch_execnz .LBB15_43
; %bb.44:
	s_or_b32 exec_lo, exec_lo, s6
.LBB15_45:
	s_delay_alu instid0(SALU_CYCLE_1) | instskip(SKIP_3) | instid1(VALU_DEP_1)
	s_or_b32 exec_lo, exec_lo, s0
	v_and_b32_e32 v101, 7, v101
	s_mov_b32 s3, 0
	s_mov_b32 s2, exec_lo
	v_cmpx_ne_u32_e32 0, v101
	s_cbranch_execz .LBB15_49
; %bb.46:
	v_lshl_add_u32 v103, v102, 3, 0x80
	v_mov_b32_e32 v104, 0
.LBB15_47:                              ; =>This Inner Loop Header: Depth=1
	v_cmp_eq_u32_e32 vcc_lo, 1, v102
	v_cmp_eq_u32_e64 s0, 2, v102
	v_add_nc_u32_e32 v101, -1, v101
	v_dual_cndmask_b32 v105, v35, v37 :: v_dual_cndmask_b32 v106, v34, v36
	v_cmp_eq_u32_e32 vcc_lo, 3, v102
	s_delay_alu instid0(VALU_DEP_2) | instskip(NEXT) | instid1(VALU_DEP_3)
	v_cndmask_b32_e64 v105, v105, v39, s0
	v_cndmask_b32_e64 v106, v106, v38, s0
	v_cmp_eq_u32_e64 s0, 4, v102
	s_delay_alu instid0(VALU_DEP_2) | instskip(SKIP_1) | instid1(VALU_DEP_2)
	v_dual_cndmask_b32 v105, v105, v41 :: v_dual_cndmask_b32 v106, v106, v40
	v_cmp_eq_u32_e32 vcc_lo, 5, v102
	v_cndmask_b32_e64 v105, v105, v43, s0
	s_delay_alu instid0(VALU_DEP_3) | instskip(SKIP_1) | instid1(VALU_DEP_2)
	v_cndmask_b32_e64 v106, v106, v42, s0
	v_cmp_eq_u32_e64 s0, 6, v102
	v_dual_cndmask_b32 v105, v105, v45 :: v_dual_cndmask_b32 v106, v106, v44
	v_cmp_eq_u32_e32 vcc_lo, 7, v102
	s_delay_alu instid0(VALU_DEP_2) | instskip(NEXT) | instid1(VALU_DEP_3)
	v_cndmask_b32_e64 v105, v105, v47, s0
	v_cndmask_b32_e64 v106, v106, v46, s0
	v_cmp_eq_u32_e64 s0, 8, v102
	s_delay_alu instid0(VALU_DEP_2) | instskip(SKIP_1) | instid1(VALU_DEP_2)
	v_dual_cndmask_b32 v105, v105, v49 :: v_dual_cndmask_b32 v106, v106, v48
	v_cmp_eq_u32_e32 vcc_lo, 9, v102
	v_cndmask_b32_e64 v105, v105, v51, s0
	s_delay_alu instid0(VALU_DEP_3) | instskip(SKIP_1) | instid1(VALU_DEP_2)
	v_cndmask_b32_e64 v106, v106, v50, s0
	v_cmp_eq_u32_e64 s0, 10, v102
	v_dual_cndmask_b32 v105, v105, v53 :: v_dual_cndmask_b32 v106, v106, v52
	v_cmp_eq_u32_e32 vcc_lo, 11, v102
	s_delay_alu instid0(VALU_DEP_2) | instskip(NEXT) | instid1(VALU_DEP_3)
	v_cndmask_b32_e64 v105, v105, v55, s0
	v_cndmask_b32_e64 v106, v106, v54, s0
	v_cmp_eq_u32_e64 s0, 12, v102
	s_delay_alu instid0(VALU_DEP_2)
	v_dual_cndmask_b32 v107, v105, v57 :: v_dual_cndmask_b32 v108, v106, v56
	ds_load_b64 v[105:106], v103
	v_cmp_eq_u32_e32 vcc_lo, 13, v102
	v_add_nc_u32_e32 v103, 8, v103
	v_cndmask_b32_e64 v107, v107, v59, s0
	v_cndmask_b32_e64 v108, v108, v58, s0
	v_cmp_eq_u32_e64 s0, 14, v102
	s_delay_alu instid0(VALU_DEP_2) | instskip(SKIP_1) | instid1(VALU_DEP_2)
	v_dual_cndmask_b32 v107, v107, v61 :: v_dual_cndmask_b32 v108, v108, v60
	v_cmp_eq_u32_e32 vcc_lo, 15, v102
	v_cndmask_b32_e64 v107, v107, v63, s0
	s_delay_alu instid0(VALU_DEP_3) | instskip(SKIP_1) | instid1(VALU_DEP_1)
	v_cndmask_b32_e64 v109, v108, v62, s0
	v_add_co_u32 v102, s0, v102, 1
	v_add_co_ci_u32_e64 v104, s0, 0, v104, s0
	s_delay_alu instid0(VALU_DEP_3) | instskip(SKIP_2) | instid1(VALU_DEP_2)
	v_dual_cndmask_b32 v108, v107, v65 :: v_dual_cndmask_b32 v107, v109, v64
	v_cmp_eq_u32_e32 vcc_lo, 0, v101
	s_waitcnt lgkmcnt(0)
	v_fma_f64 v[98:99], v[107:108], v[105:106], v[98:99]
	s_or_b32 s3, vcc_lo, s3
	s_delay_alu instid0(SALU_CYCLE_1)
	s_and_not1_b32 exec_lo, exec_lo, s3
	s_cbranch_execnz .LBB15_47
; %bb.48:
	s_or_b32 exec_lo, exec_lo, s3
.LBB15_49:
	s_delay_alu instid0(SALU_CYCLE_1)
	s_or_b32 exec_lo, exec_lo, s2
.LBB15_50:
	s_delay_alu instid0(SALU_CYCLE_1)
	s_or_b32 exec_lo, exec_lo, s5
	v_mov_b32_e32 v56, 0
	ds_load_b64 v[56:57], v56 offset:88
	s_waitcnt lgkmcnt(0)
	v_mul_f64 v[56:57], v[98:99], v[56:57]
.LBB15_51:
	s_or_b32 exec_lo, exec_lo, s4
	v_cmp_lt_u32_e64 s0, 10, v0
	ds_store_b64 v100, v[54:55]
	s_waitcnt lgkmcnt(0)
	s_barrier
	buffer_gl0_inv
	s_and_saveexec_b32 s4, s0
	s_cbranch_execz .LBB15_67
; %bb.52:
	s_and_not1_b32 vcc_lo, exec_lo, s18
	s_cbranch_vccnz .LBB15_54
; %bb.53:
	v_cmp_eq_u32_e32 vcc_lo, 1, v0
	v_dual_cndmask_b32 v98, v35, v37 :: v_dual_cndmask_b32 v99, v34, v36
	v_cmp_eq_u32_e32 vcc_lo, 2, v0
	s_delay_alu instid0(VALU_DEP_2) | instskip(SKIP_1) | instid1(VALU_DEP_2)
	v_dual_cndmask_b32 v98, v98, v39 :: v_dual_cndmask_b32 v99, v99, v38
	v_cmp_eq_u32_e32 vcc_lo, 3, v0
	v_dual_cndmask_b32 v98, v98, v41 :: v_dual_cndmask_b32 v99, v99, v40
	v_cmp_eq_u32_e32 vcc_lo, 4, v0
	s_delay_alu instid0(VALU_DEP_2) | instskip(SKIP_1) | instid1(VALU_DEP_2)
	v_dual_cndmask_b32 v98, v98, v43 :: v_dual_cndmask_b32 v99, v99, v42
	;; [unrolled: 5-line block ×5, first 2 shown]
	v_cmp_eq_u32_e32 vcc_lo, 11, v0
	v_dual_cndmask_b32 v98, v98, v57 :: v_dual_cndmask_b32 v99, v99, v56
	v_cmp_eq_u32_e32 vcc_lo, 12, v0
	s_delay_alu instid0(VALU_DEP_2) | instskip(SKIP_4) | instid1(VALU_DEP_2)
	v_dual_cndmask_b32 v101, v98, v59 :: v_dual_cndmask_b32 v102, v99, v58
	v_cmp_eq_u32_e32 vcc_lo, 13, v0
	ds_load_b64 v[98:99], v100
	v_dual_cndmask_b32 v101, v101, v61 :: v_dual_cndmask_b32 v102, v102, v60
	v_cmp_eq_u32_e32 vcc_lo, 14, v0
	v_cndmask_b32_e32 v101, v101, v63, vcc_lo
	s_delay_alu instid0(VALU_DEP_3) | instskip(SKIP_1) | instid1(VALU_DEP_2)
	v_cndmask_b32_e32 v103, v102, v62, vcc_lo
	v_cmp_eq_u32_e32 vcc_lo, 15, v0
	v_dual_cndmask_b32 v102, v101, v65 :: v_dual_cndmask_b32 v101, v103, v64
	s_waitcnt lgkmcnt(0)
	s_delay_alu instid0(VALU_DEP_1)
	v_mul_f64 v[98:99], v[101:102], v[98:99]
	s_cbranch_execz .LBB15_55
	s_branch .LBB15_56
.LBB15_54:
                                        ; implicit-def: $vgpr98_vgpr99
.LBB15_55:
	ds_load_b64 v[98:99], v100
.LBB15_56:
	s_and_saveexec_b32 s5, s1
	s_cbranch_execz .LBB15_66
; %bb.57:
	v_add_nc_u32_e32 v102, -12, v0
	v_add_nc_u32_e32 v101, -11, v0
	s_delay_alu instid0(VALU_DEP_2)
	v_cmp_lt_u32_e32 vcc_lo, 6, v102
	v_mov_b32_e32 v102, 11
	s_and_saveexec_b32 s1, vcc_lo
	s_cbranch_execz .LBB15_61
; %bb.58:
	v_and_b32_e32 v102, -8, v101
	s_mov_b32 s6, 0
	s_mov_b64 s[2:3], 18
	s_movk_i32 s7, 0xd8
	s_delay_alu instid0(VALU_DEP_1)
	v_sub_nc_u32_e32 v103, 0, v102
.LBB15_59:                              ; =>This Inner Loop Header: Depth=1
	v_mov_b32_e32 v102, s7
	s_lshl_b32 s8, s2, 1
	s_delay_alu instid0(SALU_CYCLE_1)
	s_add_i32 m0, s8, -13
	v_movrels_b32_e32 v113, v34
	ds_load_2addr_b64 v[104:107], v102 offset1:1
	ds_load_2addr_b64 v[108:111], v102 offset0:2 offset1:3
	s_add_i32 m0, s8, -14
	v_movrels_b32_e32 v112, v34
	s_add_i32 m0, s8, -11
	s_waitcnt lgkmcnt(1)
	s_delay_alu instid0(VALU_DEP_1) | instskip(SKIP_4) | instid1(VALU_DEP_1)
	v_fma_f64 v[98:99], v[112:113], v[104:105], v[98:99]
	v_movrels_b32_e32 v105, v34
	s_add_i32 m0, s8, -12
	v_movrels_b32_e32 v104, v34
	s_add_i32 m0, s8, -9
	v_fma_f64 v[98:99], v[104:105], v[106:107], v[98:99]
	v_movrels_b32_e32 v105, v34
	s_add_i32 m0, s8, -10
	v_movrels_b32_e32 v104, v34
	s_add_i32 m0, s8, -7
	s_waitcnt lgkmcnt(0)
	s_delay_alu instid0(VALU_DEP_1)
	v_fma_f64 v[98:99], v[104:105], v[108:109], v[98:99]
	v_movrels_b32_e32 v105, v34
	s_add_i32 m0, s8, -8
	v_movrels_b32_e32 v104, v34
	s_add_i32 m0, s8, -5
	v_movrels_b32_e32 v113, v34
	s_add_i32 m0, s8, -6
	v_movrels_b32_e32 v112, v34
	s_add_i32 m0, s8, -3
	v_fma_f64 v[98:99], v[104:105], v[110:111], v[98:99]
	ds_load_2addr_b64 v[104:107], v102 offset0:4 offset1:5
	ds_load_2addr_b64 v[108:111], v102 offset0:6 offset1:7
	s_waitcnt lgkmcnt(1)
	v_fma_f64 v[98:99], v[112:113], v[104:105], v[98:99]
	v_movrels_b32_e32 v105, v34
	s_add_i32 m0, s8, -4
	v_movrels_b32_e32 v104, v34
	s_add_i32 m0, s8, -1
	s_delay_alu instid0(VALU_DEP_1)
	v_fma_f64 v[98:99], v[104:105], v[106:107], v[98:99]
	v_movrels_b32_e32 v105, v34
	s_add_i32 m0, s8, -2
	s_add_u32 s2, s2, 8
	v_movrels_b32_e32 v104, v34
	s_mov_b32 m0, s8
	v_add_nc_u32_e32 v102, s2, v103
	s_addc_u32 s3, s3, 0
	s_add_i32 s8, s2, -7
	s_add_i32 s7, s7, 64
	s_delay_alu instid0(VALU_DEP_1)
	v_cmp_eq_u32_e32 vcc_lo, 18, v102
	v_mov_b32_e32 v102, s8
	s_or_b32 s6, vcc_lo, s6
	s_waitcnt lgkmcnt(0)
	v_fma_f64 v[98:99], v[104:105], v[108:109], v[98:99]
	v_movrels_b32_e32 v105, v35
	v_movrels_b32_e32 v104, v34
	s_delay_alu instid0(VALU_DEP_1)
	v_fma_f64 v[98:99], v[104:105], v[110:111], v[98:99]
	s_and_not1_b32 exec_lo, exec_lo, s6
	s_cbranch_execnz .LBB15_59
; %bb.60:
	s_or_b32 exec_lo, exec_lo, s6
.LBB15_61:
	s_delay_alu instid0(SALU_CYCLE_1) | instskip(SKIP_3) | instid1(VALU_DEP_1)
	s_or_b32 exec_lo, exec_lo, s1
	v_and_b32_e32 v101, 7, v101
	s_mov_b32 s3, 0
	s_mov_b32 s2, exec_lo
	v_cmpx_ne_u32_e32 0, v101
	s_cbranch_execz .LBB15_65
; %bb.62:
	v_lshl_add_u32 v103, v102, 3, 0x80
	v_mov_b32_e32 v104, 0
.LBB15_63:                              ; =>This Inner Loop Header: Depth=1
	v_cmp_eq_u32_e32 vcc_lo, 1, v102
	v_cmp_eq_u32_e64 s1, 2, v102
	v_add_nc_u32_e32 v101, -1, v101
	v_dual_cndmask_b32 v105, v35, v37 :: v_dual_cndmask_b32 v106, v34, v36
	v_cmp_eq_u32_e32 vcc_lo, 3, v102
	s_delay_alu instid0(VALU_DEP_2) | instskip(NEXT) | instid1(VALU_DEP_3)
	v_cndmask_b32_e64 v105, v105, v39, s1
	v_cndmask_b32_e64 v106, v106, v38, s1
	v_cmp_eq_u32_e64 s1, 4, v102
	s_delay_alu instid0(VALU_DEP_2) | instskip(SKIP_1) | instid1(VALU_DEP_2)
	v_dual_cndmask_b32 v105, v105, v41 :: v_dual_cndmask_b32 v106, v106, v40
	v_cmp_eq_u32_e32 vcc_lo, 5, v102
	v_cndmask_b32_e64 v105, v105, v43, s1
	s_delay_alu instid0(VALU_DEP_3) | instskip(SKIP_1) | instid1(VALU_DEP_2)
	v_cndmask_b32_e64 v106, v106, v42, s1
	v_cmp_eq_u32_e64 s1, 6, v102
	v_dual_cndmask_b32 v105, v105, v45 :: v_dual_cndmask_b32 v106, v106, v44
	v_cmp_eq_u32_e32 vcc_lo, 7, v102
	s_delay_alu instid0(VALU_DEP_2) | instskip(NEXT) | instid1(VALU_DEP_3)
	v_cndmask_b32_e64 v105, v105, v47, s1
	v_cndmask_b32_e64 v106, v106, v46, s1
	v_cmp_eq_u32_e64 s1, 8, v102
	s_delay_alu instid0(VALU_DEP_2) | instskip(SKIP_1) | instid1(VALU_DEP_2)
	v_dual_cndmask_b32 v105, v105, v49 :: v_dual_cndmask_b32 v106, v106, v48
	v_cmp_eq_u32_e32 vcc_lo, 9, v102
	v_cndmask_b32_e64 v105, v105, v51, s1
	s_delay_alu instid0(VALU_DEP_3) | instskip(SKIP_1) | instid1(VALU_DEP_2)
	v_cndmask_b32_e64 v106, v106, v50, s1
	v_cmp_eq_u32_e64 s1, 10, v102
	v_dual_cndmask_b32 v105, v105, v53 :: v_dual_cndmask_b32 v106, v106, v52
	v_cmp_eq_u32_e32 vcc_lo, 11, v102
	s_delay_alu instid0(VALU_DEP_2) | instskip(NEXT) | instid1(VALU_DEP_3)
	v_cndmask_b32_e64 v105, v105, v55, s1
	v_cndmask_b32_e64 v106, v106, v54, s1
	v_cmp_eq_u32_e64 s1, 12, v102
	s_delay_alu instid0(VALU_DEP_2)
	v_dual_cndmask_b32 v107, v105, v57 :: v_dual_cndmask_b32 v108, v106, v56
	ds_load_b64 v[105:106], v103
	v_cmp_eq_u32_e32 vcc_lo, 13, v102
	v_add_nc_u32_e32 v103, 8, v103
	v_cndmask_b32_e64 v107, v107, v59, s1
	v_cndmask_b32_e64 v108, v108, v58, s1
	v_cmp_eq_u32_e64 s1, 14, v102
	s_delay_alu instid0(VALU_DEP_2) | instskip(SKIP_1) | instid1(VALU_DEP_2)
	v_dual_cndmask_b32 v107, v107, v61 :: v_dual_cndmask_b32 v108, v108, v60
	v_cmp_eq_u32_e32 vcc_lo, 15, v102
	v_cndmask_b32_e64 v107, v107, v63, s1
	s_delay_alu instid0(VALU_DEP_3) | instskip(SKIP_1) | instid1(VALU_DEP_1)
	v_cndmask_b32_e64 v109, v108, v62, s1
	v_add_co_u32 v102, s1, v102, 1
	v_add_co_ci_u32_e64 v104, s1, 0, v104, s1
	s_delay_alu instid0(VALU_DEP_3) | instskip(SKIP_2) | instid1(VALU_DEP_2)
	v_dual_cndmask_b32 v108, v107, v65 :: v_dual_cndmask_b32 v107, v109, v64
	v_cmp_eq_u32_e32 vcc_lo, 0, v101
	s_waitcnt lgkmcnt(0)
	v_fma_f64 v[98:99], v[107:108], v[105:106], v[98:99]
	s_or_b32 s3, vcc_lo, s3
	s_delay_alu instid0(SALU_CYCLE_1)
	s_and_not1_b32 exec_lo, exec_lo, s3
	s_cbranch_execnz .LBB15_63
; %bb.64:
	s_or_b32 exec_lo, exec_lo, s3
.LBB15_65:
	s_delay_alu instid0(SALU_CYCLE_1)
	s_or_b32 exec_lo, exec_lo, s2
.LBB15_66:
	s_delay_alu instid0(SALU_CYCLE_1)
	s_or_b32 exec_lo, exec_lo, s5
	v_mov_b32_e32 v54, 0
	ds_load_b64 v[54:55], v54 offset:80
	s_waitcnt lgkmcnt(0)
	v_mul_f64 v[54:55], v[98:99], v[54:55]
.LBB15_67:
	s_or_b32 exec_lo, exec_lo, s4
	v_cmp_lt_u32_e64 s1, 9, v0
	ds_store_b64 v100, v[52:53]
	s_waitcnt lgkmcnt(0)
	s_barrier
	buffer_gl0_inv
	s_and_saveexec_b32 s4, s1
	s_cbranch_execz .LBB15_83
; %bb.68:
	s_and_not1_b32 vcc_lo, exec_lo, s18
	s_cbranch_vccnz .LBB15_70
; %bb.69:
	v_cmp_eq_u32_e32 vcc_lo, 1, v0
	v_dual_cndmask_b32 v98, v35, v37 :: v_dual_cndmask_b32 v99, v34, v36
	v_cmp_eq_u32_e32 vcc_lo, 2, v0
	s_delay_alu instid0(VALU_DEP_2) | instskip(SKIP_1) | instid1(VALU_DEP_2)
	v_dual_cndmask_b32 v98, v98, v39 :: v_dual_cndmask_b32 v99, v99, v38
	v_cmp_eq_u32_e32 vcc_lo, 3, v0
	v_dual_cndmask_b32 v98, v98, v41 :: v_dual_cndmask_b32 v99, v99, v40
	v_cmp_eq_u32_e32 vcc_lo, 4, v0
	s_delay_alu instid0(VALU_DEP_2) | instskip(SKIP_1) | instid1(VALU_DEP_2)
	v_dual_cndmask_b32 v98, v98, v43 :: v_dual_cndmask_b32 v99, v99, v42
	;; [unrolled: 5-line block ×5, first 2 shown]
	v_cmp_eq_u32_e32 vcc_lo, 11, v0
	v_dual_cndmask_b32 v98, v98, v57 :: v_dual_cndmask_b32 v99, v99, v56
	v_cmp_eq_u32_e32 vcc_lo, 12, v0
	s_delay_alu instid0(VALU_DEP_2) | instskip(SKIP_4) | instid1(VALU_DEP_2)
	v_dual_cndmask_b32 v101, v98, v59 :: v_dual_cndmask_b32 v102, v99, v58
	v_cmp_eq_u32_e32 vcc_lo, 13, v0
	ds_load_b64 v[98:99], v100
	v_dual_cndmask_b32 v101, v101, v61 :: v_dual_cndmask_b32 v102, v102, v60
	v_cmp_eq_u32_e32 vcc_lo, 14, v0
	v_cndmask_b32_e32 v101, v101, v63, vcc_lo
	s_delay_alu instid0(VALU_DEP_3) | instskip(SKIP_1) | instid1(VALU_DEP_2)
	v_cndmask_b32_e32 v103, v102, v62, vcc_lo
	v_cmp_eq_u32_e32 vcc_lo, 15, v0
	v_dual_cndmask_b32 v102, v101, v65 :: v_dual_cndmask_b32 v101, v103, v64
	s_waitcnt lgkmcnt(0)
	s_delay_alu instid0(VALU_DEP_1)
	v_mul_f64 v[98:99], v[101:102], v[98:99]
	s_cbranch_execz .LBB15_71
	s_branch .LBB15_72
.LBB15_70:
                                        ; implicit-def: $vgpr98_vgpr99
.LBB15_71:
	ds_load_b64 v[98:99], v100
.LBB15_72:
	s_and_saveexec_b32 s5, s0
	s_cbranch_execz .LBB15_82
; %bb.73:
	v_add_nc_u32_e32 v102, -11, v0
	v_add_nc_u32_e32 v101, -10, v0
	s_delay_alu instid0(VALU_DEP_2)
	v_cmp_lt_u32_e32 vcc_lo, 6, v102
	v_mov_b32_e32 v102, 10
	s_and_saveexec_b32 s0, vcc_lo
	s_cbranch_execz .LBB15_77
; %bb.74:
	v_and_b32_e32 v102, -8, v101
	s_mov_b32 s6, 0
	s_mov_b64 s[2:3], 17
	s_movk_i32 s7, 0xd0
	s_delay_alu instid0(VALU_DEP_1)
	v_sub_nc_u32_e32 v103, 0, v102
.LBB15_75:                              ; =>This Inner Loop Header: Depth=1
	v_mov_b32_e32 v102, s7
	s_lshl_b32 s8, s2, 1
	s_delay_alu instid0(SALU_CYCLE_1)
	s_add_i32 m0, s8, -13
	v_movrels_b32_e32 v113, v34
	ds_load_b128 v[104:107], v102
	ds_load_b128 v[108:111], v102 offset:16
	s_add_i32 m0, s8, -14
	v_movrels_b32_e32 v112, v34
	s_add_i32 m0, s8, -11
	s_waitcnt lgkmcnt(1)
	s_delay_alu instid0(VALU_DEP_1) | instskip(SKIP_4) | instid1(VALU_DEP_1)
	v_fma_f64 v[98:99], v[112:113], v[104:105], v[98:99]
	v_movrels_b32_e32 v105, v34
	s_add_i32 m0, s8, -12
	v_movrels_b32_e32 v104, v34
	s_add_i32 m0, s8, -9
	v_fma_f64 v[98:99], v[104:105], v[106:107], v[98:99]
	v_movrels_b32_e32 v105, v34
	s_add_i32 m0, s8, -10
	v_movrels_b32_e32 v104, v34
	s_add_i32 m0, s8, -7
	s_waitcnt lgkmcnt(0)
	s_delay_alu instid0(VALU_DEP_1)
	v_fma_f64 v[98:99], v[104:105], v[108:109], v[98:99]
	v_movrels_b32_e32 v105, v34
	s_add_i32 m0, s8, -8
	v_movrels_b32_e32 v104, v34
	s_add_i32 m0, s8, -5
	;; [unrolled: 2-line block ×4, first 2 shown]
	v_fma_f64 v[98:99], v[104:105], v[110:111], v[98:99]
	ds_load_b128 v[104:107], v102 offset:32
	ds_load_b128 v[108:111], v102 offset:48
	s_waitcnt lgkmcnt(1)
	v_fma_f64 v[98:99], v[112:113], v[104:105], v[98:99]
	v_movrels_b32_e32 v105, v34
	s_add_i32 m0, s8, -4
	v_movrels_b32_e32 v104, v34
	s_add_i32 m0, s8, -1
	s_delay_alu instid0(VALU_DEP_1)
	v_fma_f64 v[98:99], v[104:105], v[106:107], v[98:99]
	v_movrels_b32_e32 v105, v34
	s_add_i32 m0, s8, -2
	s_add_u32 s2, s2, 8
	v_movrels_b32_e32 v104, v34
	s_mov_b32 m0, s8
	v_add_nc_u32_e32 v102, s2, v103
	s_addc_u32 s3, s3, 0
	s_add_i32 s8, s2, -7
	s_add_i32 s7, s7, 64
	s_delay_alu instid0(VALU_DEP_1)
	v_cmp_eq_u32_e32 vcc_lo, 17, v102
	v_mov_b32_e32 v102, s8
	s_or_b32 s6, vcc_lo, s6
	s_waitcnt lgkmcnt(0)
	v_fma_f64 v[98:99], v[104:105], v[108:109], v[98:99]
	v_movrels_b32_e32 v105, v35
	v_movrels_b32_e32 v104, v34
	s_delay_alu instid0(VALU_DEP_1)
	v_fma_f64 v[98:99], v[104:105], v[110:111], v[98:99]
	s_and_not1_b32 exec_lo, exec_lo, s6
	s_cbranch_execnz .LBB15_75
; %bb.76:
	s_or_b32 exec_lo, exec_lo, s6
.LBB15_77:
	s_delay_alu instid0(SALU_CYCLE_1) | instskip(SKIP_3) | instid1(VALU_DEP_1)
	s_or_b32 exec_lo, exec_lo, s0
	v_and_b32_e32 v101, 7, v101
	s_mov_b32 s3, 0
	s_mov_b32 s2, exec_lo
	v_cmpx_ne_u32_e32 0, v101
	s_cbranch_execz .LBB15_81
; %bb.78:
	v_lshl_add_u32 v103, v102, 3, 0x80
	v_mov_b32_e32 v104, 0
.LBB15_79:                              ; =>This Inner Loop Header: Depth=1
	v_cmp_eq_u32_e32 vcc_lo, 1, v102
	v_cmp_eq_u32_e64 s0, 2, v102
	v_add_nc_u32_e32 v101, -1, v101
	v_dual_cndmask_b32 v105, v35, v37 :: v_dual_cndmask_b32 v106, v34, v36
	v_cmp_eq_u32_e32 vcc_lo, 3, v102
	s_delay_alu instid0(VALU_DEP_2) | instskip(NEXT) | instid1(VALU_DEP_3)
	v_cndmask_b32_e64 v105, v105, v39, s0
	v_cndmask_b32_e64 v106, v106, v38, s0
	v_cmp_eq_u32_e64 s0, 4, v102
	s_delay_alu instid0(VALU_DEP_2) | instskip(SKIP_1) | instid1(VALU_DEP_2)
	v_dual_cndmask_b32 v105, v105, v41 :: v_dual_cndmask_b32 v106, v106, v40
	v_cmp_eq_u32_e32 vcc_lo, 5, v102
	v_cndmask_b32_e64 v105, v105, v43, s0
	s_delay_alu instid0(VALU_DEP_3) | instskip(SKIP_1) | instid1(VALU_DEP_2)
	v_cndmask_b32_e64 v106, v106, v42, s0
	v_cmp_eq_u32_e64 s0, 6, v102
	v_dual_cndmask_b32 v105, v105, v45 :: v_dual_cndmask_b32 v106, v106, v44
	v_cmp_eq_u32_e32 vcc_lo, 7, v102
	s_delay_alu instid0(VALU_DEP_2) | instskip(NEXT) | instid1(VALU_DEP_3)
	v_cndmask_b32_e64 v105, v105, v47, s0
	v_cndmask_b32_e64 v106, v106, v46, s0
	v_cmp_eq_u32_e64 s0, 8, v102
	s_delay_alu instid0(VALU_DEP_2) | instskip(SKIP_1) | instid1(VALU_DEP_2)
	v_dual_cndmask_b32 v105, v105, v49 :: v_dual_cndmask_b32 v106, v106, v48
	v_cmp_eq_u32_e32 vcc_lo, 9, v102
	v_cndmask_b32_e64 v105, v105, v51, s0
	s_delay_alu instid0(VALU_DEP_3) | instskip(SKIP_1) | instid1(VALU_DEP_2)
	v_cndmask_b32_e64 v106, v106, v50, s0
	v_cmp_eq_u32_e64 s0, 10, v102
	v_dual_cndmask_b32 v105, v105, v53 :: v_dual_cndmask_b32 v106, v106, v52
	v_cmp_eq_u32_e32 vcc_lo, 11, v102
	s_delay_alu instid0(VALU_DEP_2) | instskip(NEXT) | instid1(VALU_DEP_3)
	v_cndmask_b32_e64 v105, v105, v55, s0
	v_cndmask_b32_e64 v106, v106, v54, s0
	v_cmp_eq_u32_e64 s0, 12, v102
	s_delay_alu instid0(VALU_DEP_2)
	v_dual_cndmask_b32 v107, v105, v57 :: v_dual_cndmask_b32 v108, v106, v56
	ds_load_b64 v[105:106], v103
	v_cmp_eq_u32_e32 vcc_lo, 13, v102
	v_add_nc_u32_e32 v103, 8, v103
	v_cndmask_b32_e64 v107, v107, v59, s0
	v_cndmask_b32_e64 v108, v108, v58, s0
	v_cmp_eq_u32_e64 s0, 14, v102
	s_delay_alu instid0(VALU_DEP_2) | instskip(SKIP_1) | instid1(VALU_DEP_2)
	v_dual_cndmask_b32 v107, v107, v61 :: v_dual_cndmask_b32 v108, v108, v60
	v_cmp_eq_u32_e32 vcc_lo, 15, v102
	v_cndmask_b32_e64 v107, v107, v63, s0
	s_delay_alu instid0(VALU_DEP_3) | instskip(SKIP_1) | instid1(VALU_DEP_1)
	v_cndmask_b32_e64 v109, v108, v62, s0
	v_add_co_u32 v102, s0, v102, 1
	v_add_co_ci_u32_e64 v104, s0, 0, v104, s0
	s_delay_alu instid0(VALU_DEP_3) | instskip(SKIP_2) | instid1(VALU_DEP_2)
	v_dual_cndmask_b32 v108, v107, v65 :: v_dual_cndmask_b32 v107, v109, v64
	v_cmp_eq_u32_e32 vcc_lo, 0, v101
	s_waitcnt lgkmcnt(0)
	v_fma_f64 v[98:99], v[107:108], v[105:106], v[98:99]
	s_or_b32 s3, vcc_lo, s3
	s_delay_alu instid0(SALU_CYCLE_1)
	s_and_not1_b32 exec_lo, exec_lo, s3
	s_cbranch_execnz .LBB15_79
; %bb.80:
	s_or_b32 exec_lo, exec_lo, s3
.LBB15_81:
	s_delay_alu instid0(SALU_CYCLE_1)
	s_or_b32 exec_lo, exec_lo, s2
.LBB15_82:
	s_delay_alu instid0(SALU_CYCLE_1)
	s_or_b32 exec_lo, exec_lo, s5
	v_mov_b32_e32 v52, 0
	ds_load_b64 v[52:53], v52 offset:72
	s_waitcnt lgkmcnt(0)
	v_mul_f64 v[52:53], v[98:99], v[52:53]
.LBB15_83:
	s_or_b32 exec_lo, exec_lo, s4
	v_cmp_lt_u32_e64 s0, 8, v0
	ds_store_b64 v100, v[50:51]
	s_waitcnt lgkmcnt(0)
	s_barrier
	buffer_gl0_inv
	s_and_saveexec_b32 s4, s0
	s_cbranch_execz .LBB15_99
; %bb.84:
	s_and_not1_b32 vcc_lo, exec_lo, s18
	s_cbranch_vccnz .LBB15_86
; %bb.85:
	v_cmp_eq_u32_e32 vcc_lo, 1, v0
	v_dual_cndmask_b32 v98, v35, v37 :: v_dual_cndmask_b32 v99, v34, v36
	v_cmp_eq_u32_e32 vcc_lo, 2, v0
	s_delay_alu instid0(VALU_DEP_2) | instskip(SKIP_1) | instid1(VALU_DEP_2)
	v_dual_cndmask_b32 v98, v98, v39 :: v_dual_cndmask_b32 v99, v99, v38
	v_cmp_eq_u32_e32 vcc_lo, 3, v0
	v_dual_cndmask_b32 v98, v98, v41 :: v_dual_cndmask_b32 v99, v99, v40
	v_cmp_eq_u32_e32 vcc_lo, 4, v0
	s_delay_alu instid0(VALU_DEP_2) | instskip(SKIP_1) | instid1(VALU_DEP_2)
	v_dual_cndmask_b32 v98, v98, v43 :: v_dual_cndmask_b32 v99, v99, v42
	v_cmp_eq_u32_e32 vcc_lo, 5, v0
	v_dual_cndmask_b32 v98, v98, v45 :: v_dual_cndmask_b32 v99, v99, v44
	v_cmp_eq_u32_e32 vcc_lo, 6, v0
	s_delay_alu instid0(VALU_DEP_2) | instskip(SKIP_1) | instid1(VALU_DEP_2)
	v_dual_cndmask_b32 v98, v98, v47 :: v_dual_cndmask_b32 v99, v99, v46
	v_cmp_eq_u32_e32 vcc_lo, 7, v0
	v_dual_cndmask_b32 v98, v98, v49 :: v_dual_cndmask_b32 v99, v99, v48
	v_cmp_eq_u32_e32 vcc_lo, 8, v0
	s_delay_alu instid0(VALU_DEP_2) | instskip(SKIP_1) | instid1(VALU_DEP_2)
	v_dual_cndmask_b32 v98, v98, v51 :: v_dual_cndmask_b32 v99, v99, v50
	v_cmp_eq_u32_e32 vcc_lo, 9, v0
	v_dual_cndmask_b32 v98, v98, v53 :: v_dual_cndmask_b32 v99, v99, v52
	v_cmp_eq_u32_e32 vcc_lo, 10, v0
	s_delay_alu instid0(VALU_DEP_2) | instskip(SKIP_1) | instid1(VALU_DEP_2)
	v_dual_cndmask_b32 v98, v98, v55 :: v_dual_cndmask_b32 v99, v99, v54
	v_cmp_eq_u32_e32 vcc_lo, 11, v0
	v_dual_cndmask_b32 v98, v98, v57 :: v_dual_cndmask_b32 v99, v99, v56
	v_cmp_eq_u32_e32 vcc_lo, 12, v0
	s_delay_alu instid0(VALU_DEP_2) | instskip(SKIP_4) | instid1(VALU_DEP_2)
	v_dual_cndmask_b32 v101, v98, v59 :: v_dual_cndmask_b32 v102, v99, v58
	v_cmp_eq_u32_e32 vcc_lo, 13, v0
	ds_load_b64 v[98:99], v100
	v_dual_cndmask_b32 v101, v101, v61 :: v_dual_cndmask_b32 v102, v102, v60
	v_cmp_eq_u32_e32 vcc_lo, 14, v0
	v_cndmask_b32_e32 v101, v101, v63, vcc_lo
	s_delay_alu instid0(VALU_DEP_3) | instskip(SKIP_1) | instid1(VALU_DEP_2)
	v_cndmask_b32_e32 v103, v102, v62, vcc_lo
	v_cmp_eq_u32_e32 vcc_lo, 15, v0
	v_dual_cndmask_b32 v102, v101, v65 :: v_dual_cndmask_b32 v101, v103, v64
	s_waitcnt lgkmcnt(0)
	s_delay_alu instid0(VALU_DEP_1)
	v_mul_f64 v[98:99], v[101:102], v[98:99]
	s_cbranch_execz .LBB15_87
	s_branch .LBB15_88
.LBB15_86:
                                        ; implicit-def: $vgpr98_vgpr99
.LBB15_87:
	ds_load_b64 v[98:99], v100
.LBB15_88:
	s_and_saveexec_b32 s5, s1
	s_cbranch_execz .LBB15_98
; %bb.89:
	v_add_nc_u32_e32 v102, -10, v0
	v_add_nc_u32_e32 v101, -9, v0
	s_delay_alu instid0(VALU_DEP_2)
	v_cmp_lt_u32_e32 vcc_lo, 6, v102
	v_mov_b32_e32 v102, 9
	s_and_saveexec_b32 s1, vcc_lo
	s_cbranch_execz .LBB15_93
; %bb.90:
	v_and_b32_e32 v102, -8, v101
	s_mov_b32 s6, 0
	s_mov_b64 s[2:3], 16
	s_movk_i32 s7, 0xc8
	s_delay_alu instid0(VALU_DEP_1)
	v_sub_nc_u32_e32 v103, 0, v102
.LBB15_91:                              ; =>This Inner Loop Header: Depth=1
	v_mov_b32_e32 v102, s7
	s_lshl_b32 s8, s2, 1
	s_delay_alu instid0(SALU_CYCLE_1)
	s_add_i32 m0, s8, -13
	v_movrels_b32_e32 v113, v34
	ds_load_2addr_b64 v[104:107], v102 offset1:1
	ds_load_2addr_b64 v[108:111], v102 offset0:2 offset1:3
	s_add_i32 m0, s8, -14
	v_movrels_b32_e32 v112, v34
	s_add_i32 m0, s8, -11
	s_waitcnt lgkmcnt(1)
	s_delay_alu instid0(VALU_DEP_1) | instskip(SKIP_4) | instid1(VALU_DEP_1)
	v_fma_f64 v[98:99], v[112:113], v[104:105], v[98:99]
	v_movrels_b32_e32 v105, v34
	s_add_i32 m0, s8, -12
	v_movrels_b32_e32 v104, v34
	s_add_i32 m0, s8, -9
	v_fma_f64 v[98:99], v[104:105], v[106:107], v[98:99]
	v_movrels_b32_e32 v105, v34
	s_add_i32 m0, s8, -10
	v_movrels_b32_e32 v104, v34
	s_add_i32 m0, s8, -7
	s_waitcnt lgkmcnt(0)
	s_delay_alu instid0(VALU_DEP_1)
	v_fma_f64 v[98:99], v[104:105], v[108:109], v[98:99]
	v_movrels_b32_e32 v105, v34
	s_add_i32 m0, s8, -8
	v_movrels_b32_e32 v104, v34
	s_add_i32 m0, s8, -5
	;; [unrolled: 2-line block ×4, first 2 shown]
	v_fma_f64 v[98:99], v[104:105], v[110:111], v[98:99]
	ds_load_2addr_b64 v[104:107], v102 offset0:4 offset1:5
	ds_load_2addr_b64 v[108:111], v102 offset0:6 offset1:7
	s_waitcnt lgkmcnt(1)
	v_fma_f64 v[98:99], v[112:113], v[104:105], v[98:99]
	v_movrels_b32_e32 v105, v34
	s_add_i32 m0, s8, -4
	v_movrels_b32_e32 v104, v34
	s_add_i32 m0, s8, -1
	s_delay_alu instid0(VALU_DEP_1)
	v_fma_f64 v[98:99], v[104:105], v[106:107], v[98:99]
	v_movrels_b32_e32 v105, v34
	s_add_i32 m0, s8, -2
	s_add_u32 s2, s2, 8
	v_movrels_b32_e32 v104, v34
	s_mov_b32 m0, s8
	v_add_nc_u32_e32 v102, s2, v103
	s_addc_u32 s3, s3, 0
	s_add_i32 s8, s2, -7
	s_add_i32 s7, s7, 64
	s_delay_alu instid0(VALU_DEP_1)
	v_cmp_eq_u32_e32 vcc_lo, 16, v102
	v_mov_b32_e32 v102, s8
	s_or_b32 s6, vcc_lo, s6
	s_waitcnt lgkmcnt(0)
	v_fma_f64 v[98:99], v[104:105], v[108:109], v[98:99]
	v_movrels_b32_e32 v105, v35
	v_movrels_b32_e32 v104, v34
	s_delay_alu instid0(VALU_DEP_1)
	v_fma_f64 v[98:99], v[104:105], v[110:111], v[98:99]
	s_and_not1_b32 exec_lo, exec_lo, s6
	s_cbranch_execnz .LBB15_91
; %bb.92:
	s_or_b32 exec_lo, exec_lo, s6
.LBB15_93:
	s_delay_alu instid0(SALU_CYCLE_1) | instskip(SKIP_3) | instid1(VALU_DEP_1)
	s_or_b32 exec_lo, exec_lo, s1
	v_and_b32_e32 v101, 7, v101
	s_mov_b32 s3, 0
	s_mov_b32 s2, exec_lo
	v_cmpx_ne_u32_e32 0, v101
	s_cbranch_execz .LBB15_97
; %bb.94:
	v_lshl_add_u32 v103, v102, 3, 0x80
	v_mov_b32_e32 v104, 0
.LBB15_95:                              ; =>This Inner Loop Header: Depth=1
	v_cmp_eq_u32_e32 vcc_lo, 1, v102
	v_cmp_eq_u32_e64 s1, 2, v102
	v_add_nc_u32_e32 v101, -1, v101
	v_dual_cndmask_b32 v105, v35, v37 :: v_dual_cndmask_b32 v106, v34, v36
	v_cmp_eq_u32_e32 vcc_lo, 3, v102
	s_delay_alu instid0(VALU_DEP_2) | instskip(NEXT) | instid1(VALU_DEP_3)
	v_cndmask_b32_e64 v105, v105, v39, s1
	v_cndmask_b32_e64 v106, v106, v38, s1
	v_cmp_eq_u32_e64 s1, 4, v102
	s_delay_alu instid0(VALU_DEP_2) | instskip(SKIP_1) | instid1(VALU_DEP_2)
	v_dual_cndmask_b32 v105, v105, v41 :: v_dual_cndmask_b32 v106, v106, v40
	v_cmp_eq_u32_e32 vcc_lo, 5, v102
	v_cndmask_b32_e64 v105, v105, v43, s1
	s_delay_alu instid0(VALU_DEP_3) | instskip(SKIP_1) | instid1(VALU_DEP_2)
	v_cndmask_b32_e64 v106, v106, v42, s1
	v_cmp_eq_u32_e64 s1, 6, v102
	v_dual_cndmask_b32 v105, v105, v45 :: v_dual_cndmask_b32 v106, v106, v44
	v_cmp_eq_u32_e32 vcc_lo, 7, v102
	s_delay_alu instid0(VALU_DEP_2) | instskip(NEXT) | instid1(VALU_DEP_3)
	v_cndmask_b32_e64 v105, v105, v47, s1
	v_cndmask_b32_e64 v106, v106, v46, s1
	v_cmp_eq_u32_e64 s1, 8, v102
	s_delay_alu instid0(VALU_DEP_2) | instskip(SKIP_1) | instid1(VALU_DEP_2)
	v_dual_cndmask_b32 v105, v105, v49 :: v_dual_cndmask_b32 v106, v106, v48
	v_cmp_eq_u32_e32 vcc_lo, 9, v102
	v_cndmask_b32_e64 v105, v105, v51, s1
	s_delay_alu instid0(VALU_DEP_3) | instskip(SKIP_1) | instid1(VALU_DEP_2)
	v_cndmask_b32_e64 v106, v106, v50, s1
	v_cmp_eq_u32_e64 s1, 10, v102
	v_dual_cndmask_b32 v105, v105, v53 :: v_dual_cndmask_b32 v106, v106, v52
	v_cmp_eq_u32_e32 vcc_lo, 11, v102
	s_delay_alu instid0(VALU_DEP_2) | instskip(NEXT) | instid1(VALU_DEP_3)
	v_cndmask_b32_e64 v105, v105, v55, s1
	v_cndmask_b32_e64 v106, v106, v54, s1
	v_cmp_eq_u32_e64 s1, 12, v102
	s_delay_alu instid0(VALU_DEP_2)
	v_dual_cndmask_b32 v107, v105, v57 :: v_dual_cndmask_b32 v108, v106, v56
	ds_load_b64 v[105:106], v103
	v_cmp_eq_u32_e32 vcc_lo, 13, v102
	v_add_nc_u32_e32 v103, 8, v103
	v_cndmask_b32_e64 v107, v107, v59, s1
	v_cndmask_b32_e64 v108, v108, v58, s1
	v_cmp_eq_u32_e64 s1, 14, v102
	s_delay_alu instid0(VALU_DEP_2) | instskip(SKIP_1) | instid1(VALU_DEP_2)
	v_dual_cndmask_b32 v107, v107, v61 :: v_dual_cndmask_b32 v108, v108, v60
	v_cmp_eq_u32_e32 vcc_lo, 15, v102
	v_cndmask_b32_e64 v107, v107, v63, s1
	s_delay_alu instid0(VALU_DEP_3) | instskip(SKIP_1) | instid1(VALU_DEP_1)
	v_cndmask_b32_e64 v109, v108, v62, s1
	v_add_co_u32 v102, s1, v102, 1
	v_add_co_ci_u32_e64 v104, s1, 0, v104, s1
	s_delay_alu instid0(VALU_DEP_3) | instskip(SKIP_2) | instid1(VALU_DEP_2)
	v_dual_cndmask_b32 v108, v107, v65 :: v_dual_cndmask_b32 v107, v109, v64
	v_cmp_eq_u32_e32 vcc_lo, 0, v101
	s_waitcnt lgkmcnt(0)
	v_fma_f64 v[98:99], v[107:108], v[105:106], v[98:99]
	s_or_b32 s3, vcc_lo, s3
	s_delay_alu instid0(SALU_CYCLE_1)
	s_and_not1_b32 exec_lo, exec_lo, s3
	s_cbranch_execnz .LBB15_95
; %bb.96:
	s_or_b32 exec_lo, exec_lo, s3
.LBB15_97:
	s_delay_alu instid0(SALU_CYCLE_1)
	s_or_b32 exec_lo, exec_lo, s2
.LBB15_98:
	s_delay_alu instid0(SALU_CYCLE_1)
	s_or_b32 exec_lo, exec_lo, s5
	v_mov_b32_e32 v50, 0
	ds_load_b64 v[50:51], v50 offset:64
	s_waitcnt lgkmcnt(0)
	v_mul_f64 v[50:51], v[98:99], v[50:51]
.LBB15_99:
	s_or_b32 exec_lo, exec_lo, s4
	v_cmp_lt_u32_e64 s1, 7, v0
	ds_store_b64 v100, v[48:49]
	s_waitcnt lgkmcnt(0)
	s_barrier
	buffer_gl0_inv
	s_and_saveexec_b32 s4, s1
	s_cbranch_execz .LBB15_115
; %bb.100:
	s_and_not1_b32 vcc_lo, exec_lo, s18
	s_cbranch_vccnz .LBB15_102
; %bb.101:
	v_cmp_eq_u32_e32 vcc_lo, 1, v0
	v_dual_cndmask_b32 v98, v35, v37 :: v_dual_cndmask_b32 v99, v34, v36
	v_cmp_eq_u32_e32 vcc_lo, 2, v0
	s_delay_alu instid0(VALU_DEP_2) | instskip(SKIP_1) | instid1(VALU_DEP_2)
	v_dual_cndmask_b32 v98, v98, v39 :: v_dual_cndmask_b32 v99, v99, v38
	v_cmp_eq_u32_e32 vcc_lo, 3, v0
	v_dual_cndmask_b32 v98, v98, v41 :: v_dual_cndmask_b32 v99, v99, v40
	v_cmp_eq_u32_e32 vcc_lo, 4, v0
	s_delay_alu instid0(VALU_DEP_2) | instskip(SKIP_1) | instid1(VALU_DEP_2)
	v_dual_cndmask_b32 v98, v98, v43 :: v_dual_cndmask_b32 v99, v99, v42
	;; [unrolled: 5-line block ×5, first 2 shown]
	v_cmp_eq_u32_e32 vcc_lo, 11, v0
	v_dual_cndmask_b32 v98, v98, v57 :: v_dual_cndmask_b32 v99, v99, v56
	v_cmp_eq_u32_e32 vcc_lo, 12, v0
	s_delay_alu instid0(VALU_DEP_2) | instskip(SKIP_4) | instid1(VALU_DEP_2)
	v_dual_cndmask_b32 v101, v98, v59 :: v_dual_cndmask_b32 v102, v99, v58
	v_cmp_eq_u32_e32 vcc_lo, 13, v0
	ds_load_b64 v[98:99], v100
	v_dual_cndmask_b32 v101, v101, v61 :: v_dual_cndmask_b32 v102, v102, v60
	v_cmp_eq_u32_e32 vcc_lo, 14, v0
	v_cndmask_b32_e32 v101, v101, v63, vcc_lo
	s_delay_alu instid0(VALU_DEP_3) | instskip(SKIP_1) | instid1(VALU_DEP_2)
	v_cndmask_b32_e32 v103, v102, v62, vcc_lo
	v_cmp_eq_u32_e32 vcc_lo, 15, v0
	v_dual_cndmask_b32 v102, v101, v65 :: v_dual_cndmask_b32 v101, v103, v64
	s_waitcnt lgkmcnt(0)
	s_delay_alu instid0(VALU_DEP_1)
	v_mul_f64 v[98:99], v[101:102], v[98:99]
	s_cbranch_execz .LBB15_103
	s_branch .LBB15_104
.LBB15_102:
                                        ; implicit-def: $vgpr98_vgpr99
.LBB15_103:
	ds_load_b64 v[98:99], v100
.LBB15_104:
	s_and_saveexec_b32 s5, s0
	s_cbranch_execz .LBB15_114
; %bb.105:
	v_add_nc_u32_e32 v101, -9, v0
	s_delay_alu instid0(VALU_DEP_1)
	v_cmp_lt_u32_e32 vcc_lo, 6, v101
	v_mov_b32_e32 v101, 8
	s_and_saveexec_b32 s0, vcc_lo
	s_cbranch_execz .LBB15_109
; %bb.106:
	v_and_b32_e32 v101, 8, v0
	s_mov_b32 s6, 0
	s_mov_b64 s[2:3], 15
	s_movk_i32 s7, 0xc0
	s_delay_alu instid0(VALU_DEP_1)
	v_sub_nc_u32_e32 v102, 0, v101
.LBB15_107:                             ; =>This Inner Loop Header: Depth=1
	v_mov_b32_e32 v101, s7
	s_lshl_b32 s8, s2, 1
	s_delay_alu instid0(SALU_CYCLE_1)
	s_add_i32 m0, s8, -13
	v_movrels_b32_e32 v112, v34
	ds_load_b128 v[103:106], v101
	ds_load_b128 v[107:110], v101 offset:16
	s_add_i32 m0, s8, -14
	v_movrels_b32_e32 v111, v34
	s_add_i32 m0, s8, -11
	s_waitcnt lgkmcnt(1)
	s_delay_alu instid0(VALU_DEP_1) | instskip(SKIP_4) | instid1(VALU_DEP_1)
	v_fma_f64 v[98:99], v[111:112], v[103:104], v[98:99]
	v_movrels_b32_e32 v104, v34
	s_add_i32 m0, s8, -12
	v_movrels_b32_e32 v103, v34
	s_add_i32 m0, s8, -9
	v_fma_f64 v[98:99], v[103:104], v[105:106], v[98:99]
	v_movrels_b32_e32 v104, v34
	s_add_i32 m0, s8, -10
	v_movrels_b32_e32 v103, v34
	s_add_i32 m0, s8, -7
	s_waitcnt lgkmcnt(0)
	s_delay_alu instid0(VALU_DEP_1)
	v_fma_f64 v[98:99], v[103:104], v[107:108], v[98:99]
	v_movrels_b32_e32 v104, v34
	s_add_i32 m0, s8, -8
	v_movrels_b32_e32 v103, v34
	s_add_i32 m0, s8, -5
	;; [unrolled: 2-line block ×4, first 2 shown]
	v_fma_f64 v[98:99], v[103:104], v[109:110], v[98:99]
	ds_load_b128 v[103:106], v101 offset:32
	ds_load_b128 v[107:110], v101 offset:48
	s_waitcnt lgkmcnt(1)
	v_fma_f64 v[98:99], v[111:112], v[103:104], v[98:99]
	v_movrels_b32_e32 v104, v34
	s_add_i32 m0, s8, -4
	v_movrels_b32_e32 v103, v34
	s_add_i32 m0, s8, -1
	s_delay_alu instid0(VALU_DEP_1)
	v_fma_f64 v[98:99], v[103:104], v[105:106], v[98:99]
	v_movrels_b32_e32 v104, v34
	s_add_i32 m0, s8, -2
	s_add_u32 s2, s2, 8
	v_movrels_b32_e32 v103, v34
	s_mov_b32 m0, s8
	v_add_nc_u32_e32 v101, s2, v102
	s_addc_u32 s3, s3, 0
	s_add_i32 s8, s2, -7
	s_add_i32 s7, s7, 64
	s_delay_alu instid0(VALU_DEP_1)
	v_cmp_eq_u32_e32 vcc_lo, 7, v101
	v_mov_b32_e32 v101, s8
	s_or_b32 s6, vcc_lo, s6
	s_waitcnt lgkmcnt(0)
	v_fma_f64 v[98:99], v[103:104], v[107:108], v[98:99]
	v_movrels_b32_e32 v104, v35
	v_movrels_b32_e32 v103, v34
	s_delay_alu instid0(VALU_DEP_1)
	v_fma_f64 v[98:99], v[103:104], v[109:110], v[98:99]
	s_and_not1_b32 exec_lo, exec_lo, s6
	s_cbranch_execnz .LBB15_107
; %bb.108:
	s_or_b32 exec_lo, exec_lo, s6
.LBB15_109:
	s_delay_alu instid0(SALU_CYCLE_1) | instskip(SKIP_3) | instid1(VALU_DEP_1)
	s_or_b32 exec_lo, exec_lo, s0
	v_and_b32_e32 v102, 7, v0
	s_mov_b32 s3, 0
	s_mov_b32 s2, exec_lo
	v_cmpx_ne_u32_e32 0, v102
	s_cbranch_execz .LBB15_113
; %bb.110:
	v_lshl_add_u32 v103, v101, 3, 0x80
	v_mov_b32_e32 v104, 0
.LBB15_111:                             ; =>This Inner Loop Header: Depth=1
	v_cmp_eq_u32_e32 vcc_lo, 1, v101
	v_cmp_eq_u32_e64 s0, 2, v101
	v_dual_cndmask_b32 v105, v35, v37 :: v_dual_add_nc_u32 v102, -1, v102
	v_cndmask_b32_e32 v106, v34, v36, vcc_lo
	v_cmp_eq_u32_e32 vcc_lo, 3, v101
	s_delay_alu instid0(VALU_DEP_3) | instskip(NEXT) | instid1(VALU_DEP_3)
	v_cndmask_b32_e64 v105, v105, v39, s0
	v_cndmask_b32_e64 v106, v106, v38, s0
	v_cmp_eq_u32_e64 s0, 4, v101
	s_delay_alu instid0(VALU_DEP_2) | instskip(SKIP_1) | instid1(VALU_DEP_2)
	v_dual_cndmask_b32 v105, v105, v41 :: v_dual_cndmask_b32 v106, v106, v40
	v_cmp_eq_u32_e32 vcc_lo, 5, v101
	v_cndmask_b32_e64 v105, v105, v43, s0
	s_delay_alu instid0(VALU_DEP_3) | instskip(SKIP_1) | instid1(VALU_DEP_2)
	v_cndmask_b32_e64 v106, v106, v42, s0
	v_cmp_eq_u32_e64 s0, 6, v101
	v_dual_cndmask_b32 v105, v105, v45 :: v_dual_cndmask_b32 v106, v106, v44
	v_cmp_eq_u32_e32 vcc_lo, 7, v101
	s_delay_alu instid0(VALU_DEP_2) | instskip(NEXT) | instid1(VALU_DEP_3)
	v_cndmask_b32_e64 v105, v105, v47, s0
	v_cndmask_b32_e64 v106, v106, v46, s0
	v_cmp_eq_u32_e64 s0, 8, v101
	s_delay_alu instid0(VALU_DEP_2) | instskip(SKIP_1) | instid1(VALU_DEP_2)
	v_dual_cndmask_b32 v105, v105, v49 :: v_dual_cndmask_b32 v106, v106, v48
	v_cmp_eq_u32_e32 vcc_lo, 9, v101
	v_cndmask_b32_e64 v105, v105, v51, s0
	s_delay_alu instid0(VALU_DEP_3) | instskip(SKIP_1) | instid1(VALU_DEP_2)
	v_cndmask_b32_e64 v106, v106, v50, s0
	v_cmp_eq_u32_e64 s0, 10, v101
	v_dual_cndmask_b32 v105, v105, v53 :: v_dual_cndmask_b32 v106, v106, v52
	v_cmp_eq_u32_e32 vcc_lo, 11, v101
	s_delay_alu instid0(VALU_DEP_2) | instskip(NEXT) | instid1(VALU_DEP_3)
	v_cndmask_b32_e64 v105, v105, v55, s0
	v_cndmask_b32_e64 v106, v106, v54, s0
	v_cmp_eq_u32_e64 s0, 12, v101
	s_delay_alu instid0(VALU_DEP_2)
	v_dual_cndmask_b32 v107, v105, v57 :: v_dual_cndmask_b32 v108, v106, v56
	ds_load_b64 v[105:106], v103
	v_cmp_eq_u32_e32 vcc_lo, 13, v101
	v_add_nc_u32_e32 v103, 8, v103
	v_cndmask_b32_e64 v107, v107, v59, s0
	v_cndmask_b32_e64 v108, v108, v58, s0
	v_cmp_eq_u32_e64 s0, 14, v101
	s_delay_alu instid0(VALU_DEP_2) | instskip(SKIP_1) | instid1(VALU_DEP_2)
	v_dual_cndmask_b32 v107, v107, v61 :: v_dual_cndmask_b32 v108, v108, v60
	v_cmp_eq_u32_e32 vcc_lo, 15, v101
	v_cndmask_b32_e64 v107, v107, v63, s0
	s_delay_alu instid0(VALU_DEP_3) | instskip(SKIP_1) | instid1(VALU_DEP_1)
	v_cndmask_b32_e64 v109, v108, v62, s0
	v_add_co_u32 v101, s0, v101, 1
	v_add_co_ci_u32_e64 v104, s0, 0, v104, s0
	s_delay_alu instid0(VALU_DEP_3) | instskip(SKIP_2) | instid1(VALU_DEP_2)
	v_dual_cndmask_b32 v108, v107, v65 :: v_dual_cndmask_b32 v107, v109, v64
	v_cmp_eq_u32_e32 vcc_lo, 0, v102
	s_waitcnt lgkmcnt(0)
	v_fma_f64 v[98:99], v[107:108], v[105:106], v[98:99]
	s_or_b32 s3, vcc_lo, s3
	s_delay_alu instid0(SALU_CYCLE_1)
	s_and_not1_b32 exec_lo, exec_lo, s3
	s_cbranch_execnz .LBB15_111
; %bb.112:
	s_or_b32 exec_lo, exec_lo, s3
.LBB15_113:
	s_delay_alu instid0(SALU_CYCLE_1)
	s_or_b32 exec_lo, exec_lo, s2
.LBB15_114:
	s_delay_alu instid0(SALU_CYCLE_1)
	s_or_b32 exec_lo, exec_lo, s5
	v_mov_b32_e32 v48, 0
	ds_load_b64 v[48:49], v48 offset:56
	s_waitcnt lgkmcnt(0)
	v_mul_f64 v[48:49], v[98:99], v[48:49]
.LBB15_115:
	s_or_b32 exec_lo, exec_lo, s4
	v_cmp_lt_u32_e64 s0, 6, v0
	ds_store_b64 v100, v[46:47]
	s_waitcnt lgkmcnt(0)
	s_barrier
	buffer_gl0_inv
	s_and_saveexec_b32 s4, s0
	s_cbranch_execz .LBB15_131
; %bb.116:
	s_and_not1_b32 vcc_lo, exec_lo, s18
	s_cbranch_vccnz .LBB15_118
; %bb.117:
	v_cmp_eq_u32_e32 vcc_lo, 1, v0
	v_dual_cndmask_b32 v98, v35, v37 :: v_dual_cndmask_b32 v99, v34, v36
	v_cmp_eq_u32_e32 vcc_lo, 2, v0
	s_delay_alu instid0(VALU_DEP_2) | instskip(SKIP_1) | instid1(VALU_DEP_2)
	v_dual_cndmask_b32 v98, v98, v39 :: v_dual_cndmask_b32 v99, v99, v38
	v_cmp_eq_u32_e32 vcc_lo, 3, v0
	v_dual_cndmask_b32 v98, v98, v41 :: v_dual_cndmask_b32 v99, v99, v40
	v_cmp_eq_u32_e32 vcc_lo, 4, v0
	s_delay_alu instid0(VALU_DEP_2) | instskip(SKIP_1) | instid1(VALU_DEP_2)
	v_dual_cndmask_b32 v98, v98, v43 :: v_dual_cndmask_b32 v99, v99, v42
	;; [unrolled: 5-line block ×5, first 2 shown]
	v_cmp_eq_u32_e32 vcc_lo, 11, v0
	v_dual_cndmask_b32 v98, v98, v57 :: v_dual_cndmask_b32 v99, v99, v56
	v_cmp_eq_u32_e32 vcc_lo, 12, v0
	s_delay_alu instid0(VALU_DEP_2) | instskip(SKIP_4) | instid1(VALU_DEP_2)
	v_dual_cndmask_b32 v101, v98, v59 :: v_dual_cndmask_b32 v102, v99, v58
	v_cmp_eq_u32_e32 vcc_lo, 13, v0
	ds_load_b64 v[98:99], v100
	v_dual_cndmask_b32 v101, v101, v61 :: v_dual_cndmask_b32 v102, v102, v60
	v_cmp_eq_u32_e32 vcc_lo, 14, v0
	v_cndmask_b32_e32 v101, v101, v63, vcc_lo
	s_delay_alu instid0(VALU_DEP_3) | instskip(SKIP_1) | instid1(VALU_DEP_2)
	v_cndmask_b32_e32 v103, v102, v62, vcc_lo
	v_cmp_eq_u32_e32 vcc_lo, 15, v0
	v_dual_cndmask_b32 v102, v101, v65 :: v_dual_cndmask_b32 v101, v103, v64
	s_waitcnt lgkmcnt(0)
	s_delay_alu instid0(VALU_DEP_1)
	v_mul_f64 v[98:99], v[101:102], v[98:99]
	s_cbranch_execz .LBB15_119
	s_branch .LBB15_120
.LBB15_118:
                                        ; implicit-def: $vgpr98_vgpr99
.LBB15_119:
	ds_load_b64 v[98:99], v100
.LBB15_120:
	s_and_saveexec_b32 s5, s1
	s_cbranch_execz .LBB15_130
; %bb.121:
	v_add_nc_u32_e32 v102, -8, v0
	v_add_nc_u32_e32 v101, -7, v0
	s_delay_alu instid0(VALU_DEP_2)
	v_cmp_lt_u32_e32 vcc_lo, 6, v102
	v_mov_b32_e32 v102, 7
	s_and_saveexec_b32 s1, vcc_lo
	s_cbranch_execz .LBB15_125
; %bb.122:
	v_and_b32_e32 v102, -8, v101
	s_mov_b32 s6, 0
	s_mov_b64 s[2:3], 14
	s_movk_i32 s7, 0xb8
	s_delay_alu instid0(VALU_DEP_1)
	v_sub_nc_u32_e32 v103, 0, v102
.LBB15_123:                             ; =>This Inner Loop Header: Depth=1
	v_mov_b32_e32 v102, s7
	s_lshl_b32 s8, s2, 1
	s_delay_alu instid0(SALU_CYCLE_1)
	s_add_i32 m0, s8, -13
	v_movrels_b32_e32 v113, v34
	ds_load_2addr_b64 v[104:107], v102 offset1:1
	ds_load_2addr_b64 v[108:111], v102 offset0:2 offset1:3
	s_add_i32 m0, s8, -14
	v_movrels_b32_e32 v112, v34
	s_add_i32 m0, s8, -11
	s_waitcnt lgkmcnt(1)
	s_delay_alu instid0(VALU_DEP_1) | instskip(SKIP_4) | instid1(VALU_DEP_1)
	v_fma_f64 v[98:99], v[112:113], v[104:105], v[98:99]
	v_movrels_b32_e32 v105, v34
	s_add_i32 m0, s8, -12
	v_movrels_b32_e32 v104, v34
	s_add_i32 m0, s8, -9
	v_fma_f64 v[98:99], v[104:105], v[106:107], v[98:99]
	v_movrels_b32_e32 v105, v34
	s_add_i32 m0, s8, -10
	v_movrels_b32_e32 v104, v34
	s_add_i32 m0, s8, -7
	s_waitcnt lgkmcnt(0)
	s_delay_alu instid0(VALU_DEP_1)
	v_fma_f64 v[98:99], v[104:105], v[108:109], v[98:99]
	v_movrels_b32_e32 v105, v34
	s_add_i32 m0, s8, -8
	v_movrels_b32_e32 v104, v34
	s_add_i32 m0, s8, -5
	;; [unrolled: 2-line block ×4, first 2 shown]
	v_fma_f64 v[98:99], v[104:105], v[110:111], v[98:99]
	ds_load_2addr_b64 v[104:107], v102 offset0:4 offset1:5
	ds_load_2addr_b64 v[108:111], v102 offset0:6 offset1:7
	s_waitcnt lgkmcnt(1)
	v_fma_f64 v[98:99], v[112:113], v[104:105], v[98:99]
	v_movrels_b32_e32 v105, v34
	s_add_i32 m0, s8, -4
	v_movrels_b32_e32 v104, v34
	s_add_i32 m0, s8, -1
	s_delay_alu instid0(VALU_DEP_1)
	v_fma_f64 v[98:99], v[104:105], v[106:107], v[98:99]
	v_movrels_b32_e32 v105, v34
	s_add_i32 m0, s8, -2
	s_add_u32 s2, s2, 8
	v_movrels_b32_e32 v104, v34
	s_mov_b32 m0, s8
	v_add_nc_u32_e32 v102, s2, v103
	s_addc_u32 s3, s3, 0
	s_add_i32 s8, s2, -7
	s_add_i32 s7, s7, 64
	s_delay_alu instid0(VALU_DEP_1)
	v_cmp_eq_u32_e32 vcc_lo, 14, v102
	v_mov_b32_e32 v102, s8
	s_or_b32 s6, vcc_lo, s6
	s_waitcnt lgkmcnt(0)
	v_fma_f64 v[98:99], v[104:105], v[108:109], v[98:99]
	v_movrels_b32_e32 v105, v35
	v_movrels_b32_e32 v104, v34
	s_delay_alu instid0(VALU_DEP_1)
	v_fma_f64 v[98:99], v[104:105], v[110:111], v[98:99]
	s_and_not1_b32 exec_lo, exec_lo, s6
	s_cbranch_execnz .LBB15_123
; %bb.124:
	s_or_b32 exec_lo, exec_lo, s6
.LBB15_125:
	s_delay_alu instid0(SALU_CYCLE_1) | instskip(SKIP_3) | instid1(VALU_DEP_1)
	s_or_b32 exec_lo, exec_lo, s1
	v_and_b32_e32 v101, 7, v101
	s_mov_b32 s3, 0
	s_mov_b32 s2, exec_lo
	v_cmpx_ne_u32_e32 0, v101
	s_cbranch_execz .LBB15_129
; %bb.126:
	v_lshl_add_u32 v103, v102, 3, 0x80
	v_mov_b32_e32 v104, 0
.LBB15_127:                             ; =>This Inner Loop Header: Depth=1
	v_cmp_eq_u32_e32 vcc_lo, 1, v102
	v_cmp_eq_u32_e64 s1, 2, v102
	v_add_nc_u32_e32 v101, -1, v101
	v_dual_cndmask_b32 v105, v35, v37 :: v_dual_cndmask_b32 v106, v34, v36
	v_cmp_eq_u32_e32 vcc_lo, 3, v102
	s_delay_alu instid0(VALU_DEP_2) | instskip(NEXT) | instid1(VALU_DEP_3)
	v_cndmask_b32_e64 v105, v105, v39, s1
	v_cndmask_b32_e64 v106, v106, v38, s1
	v_cmp_eq_u32_e64 s1, 4, v102
	s_delay_alu instid0(VALU_DEP_2) | instskip(SKIP_1) | instid1(VALU_DEP_2)
	v_dual_cndmask_b32 v105, v105, v41 :: v_dual_cndmask_b32 v106, v106, v40
	v_cmp_eq_u32_e32 vcc_lo, 5, v102
	v_cndmask_b32_e64 v105, v105, v43, s1
	s_delay_alu instid0(VALU_DEP_3) | instskip(SKIP_1) | instid1(VALU_DEP_2)
	v_cndmask_b32_e64 v106, v106, v42, s1
	v_cmp_eq_u32_e64 s1, 6, v102
	v_dual_cndmask_b32 v105, v105, v45 :: v_dual_cndmask_b32 v106, v106, v44
	v_cmp_eq_u32_e32 vcc_lo, 7, v102
	s_delay_alu instid0(VALU_DEP_2) | instskip(NEXT) | instid1(VALU_DEP_3)
	v_cndmask_b32_e64 v105, v105, v47, s1
	v_cndmask_b32_e64 v106, v106, v46, s1
	v_cmp_eq_u32_e64 s1, 8, v102
	s_delay_alu instid0(VALU_DEP_2) | instskip(SKIP_1) | instid1(VALU_DEP_2)
	v_dual_cndmask_b32 v105, v105, v49 :: v_dual_cndmask_b32 v106, v106, v48
	v_cmp_eq_u32_e32 vcc_lo, 9, v102
	v_cndmask_b32_e64 v105, v105, v51, s1
	s_delay_alu instid0(VALU_DEP_3) | instskip(SKIP_1) | instid1(VALU_DEP_2)
	v_cndmask_b32_e64 v106, v106, v50, s1
	v_cmp_eq_u32_e64 s1, 10, v102
	v_dual_cndmask_b32 v105, v105, v53 :: v_dual_cndmask_b32 v106, v106, v52
	v_cmp_eq_u32_e32 vcc_lo, 11, v102
	s_delay_alu instid0(VALU_DEP_2) | instskip(NEXT) | instid1(VALU_DEP_3)
	v_cndmask_b32_e64 v105, v105, v55, s1
	v_cndmask_b32_e64 v106, v106, v54, s1
	v_cmp_eq_u32_e64 s1, 12, v102
	s_delay_alu instid0(VALU_DEP_2)
	v_dual_cndmask_b32 v107, v105, v57 :: v_dual_cndmask_b32 v108, v106, v56
	ds_load_b64 v[105:106], v103
	v_cmp_eq_u32_e32 vcc_lo, 13, v102
	v_add_nc_u32_e32 v103, 8, v103
	v_cndmask_b32_e64 v107, v107, v59, s1
	v_cndmask_b32_e64 v108, v108, v58, s1
	v_cmp_eq_u32_e64 s1, 14, v102
	s_delay_alu instid0(VALU_DEP_2) | instskip(SKIP_1) | instid1(VALU_DEP_2)
	v_dual_cndmask_b32 v107, v107, v61 :: v_dual_cndmask_b32 v108, v108, v60
	v_cmp_eq_u32_e32 vcc_lo, 15, v102
	v_cndmask_b32_e64 v107, v107, v63, s1
	s_delay_alu instid0(VALU_DEP_3) | instskip(SKIP_1) | instid1(VALU_DEP_1)
	v_cndmask_b32_e64 v109, v108, v62, s1
	v_add_co_u32 v102, s1, v102, 1
	v_add_co_ci_u32_e64 v104, s1, 0, v104, s1
	s_delay_alu instid0(VALU_DEP_3) | instskip(SKIP_2) | instid1(VALU_DEP_2)
	v_dual_cndmask_b32 v108, v107, v65 :: v_dual_cndmask_b32 v107, v109, v64
	v_cmp_eq_u32_e32 vcc_lo, 0, v101
	s_waitcnt lgkmcnt(0)
	v_fma_f64 v[98:99], v[107:108], v[105:106], v[98:99]
	s_or_b32 s3, vcc_lo, s3
	s_delay_alu instid0(SALU_CYCLE_1)
	s_and_not1_b32 exec_lo, exec_lo, s3
	s_cbranch_execnz .LBB15_127
; %bb.128:
	s_or_b32 exec_lo, exec_lo, s3
.LBB15_129:
	s_delay_alu instid0(SALU_CYCLE_1)
	s_or_b32 exec_lo, exec_lo, s2
.LBB15_130:
	s_delay_alu instid0(SALU_CYCLE_1)
	s_or_b32 exec_lo, exec_lo, s5
	v_mov_b32_e32 v46, 0
	ds_load_b64 v[46:47], v46 offset:48
	s_waitcnt lgkmcnt(0)
	v_mul_f64 v[46:47], v[98:99], v[46:47]
.LBB15_131:
	s_or_b32 exec_lo, exec_lo, s4
	v_cmp_lt_u32_e64 s2, 5, v0
	ds_store_b64 v100, v[44:45]
	s_waitcnt lgkmcnt(0)
	s_barrier
	buffer_gl0_inv
	s_and_saveexec_b32 s3, s2
	s_cbranch_execz .LBB15_147
; %bb.132:
	s_and_not1_b32 vcc_lo, exec_lo, s18
	s_cbranch_vccnz .LBB15_134
; %bb.133:
	v_cmp_eq_u32_e32 vcc_lo, 1, v0
	v_dual_cndmask_b32 v98, v35, v37 :: v_dual_cndmask_b32 v99, v34, v36
	v_cmp_eq_u32_e32 vcc_lo, 2, v0
	s_delay_alu instid0(VALU_DEP_2) | instskip(SKIP_1) | instid1(VALU_DEP_2)
	v_dual_cndmask_b32 v98, v98, v39 :: v_dual_cndmask_b32 v99, v99, v38
	v_cmp_eq_u32_e32 vcc_lo, 3, v0
	v_dual_cndmask_b32 v98, v98, v41 :: v_dual_cndmask_b32 v99, v99, v40
	v_cmp_eq_u32_e32 vcc_lo, 4, v0
	s_delay_alu instid0(VALU_DEP_2) | instskip(SKIP_1) | instid1(VALU_DEP_2)
	v_dual_cndmask_b32 v98, v98, v43 :: v_dual_cndmask_b32 v99, v99, v42
	;; [unrolled: 5-line block ×5, first 2 shown]
	v_cmp_eq_u32_e32 vcc_lo, 11, v0
	v_dual_cndmask_b32 v98, v98, v57 :: v_dual_cndmask_b32 v99, v99, v56
	v_cmp_eq_u32_e32 vcc_lo, 12, v0
	s_delay_alu instid0(VALU_DEP_2) | instskip(SKIP_4) | instid1(VALU_DEP_2)
	v_dual_cndmask_b32 v101, v98, v59 :: v_dual_cndmask_b32 v102, v99, v58
	v_cmp_eq_u32_e32 vcc_lo, 13, v0
	ds_load_b64 v[98:99], v100
	v_dual_cndmask_b32 v101, v101, v61 :: v_dual_cndmask_b32 v102, v102, v60
	v_cmp_eq_u32_e32 vcc_lo, 14, v0
	v_cndmask_b32_e32 v101, v101, v63, vcc_lo
	s_delay_alu instid0(VALU_DEP_3) | instskip(SKIP_1) | instid1(VALU_DEP_2)
	v_cndmask_b32_e32 v103, v102, v62, vcc_lo
	v_cmp_eq_u32_e32 vcc_lo, 15, v0
	v_dual_cndmask_b32 v102, v101, v65 :: v_dual_cndmask_b32 v101, v103, v64
	s_waitcnt lgkmcnt(0)
	s_delay_alu instid0(VALU_DEP_1)
	v_mul_f64 v[98:99], v[101:102], v[98:99]
	s_cbranch_execz .LBB15_135
	s_branch .LBB15_136
.LBB15_134:
                                        ; implicit-def: $vgpr98_vgpr99
.LBB15_135:
	ds_load_b64 v[98:99], v100
.LBB15_136:
	s_and_saveexec_b32 s4, s0
	s_cbranch_execz .LBB15_146
; %bb.137:
	v_add_nc_u32_e32 v102, -7, v0
	v_add_nc_u32_e32 v101, -6, v0
	s_delay_alu instid0(VALU_DEP_2)
	v_cmp_lt_u32_e32 vcc_lo, 6, v102
	v_mov_b32_e32 v102, 6
	s_and_saveexec_b32 s5, vcc_lo
	s_cbranch_execz .LBB15_141
; %bb.138:
	v_and_b32_e32 v102, -8, v101
	s_mov_b32 s6, 0
	s_mov_b64 s[0:1], 13
	s_movk_i32 s7, 0xb0
	s_delay_alu instid0(VALU_DEP_1)
	v_sub_nc_u32_e32 v103, 0, v102
.LBB15_139:                             ; =>This Inner Loop Header: Depth=1
	v_mov_b32_e32 v102, s7
	s_lshl_b32 s8, s0, 1
	s_delay_alu instid0(SALU_CYCLE_1)
	s_add_i32 m0, s8, -13
	v_movrels_b32_e32 v113, v34
	ds_load_b128 v[104:107], v102
	ds_load_b128 v[108:111], v102 offset:16
	s_add_i32 m0, s8, -14
	v_movrels_b32_e32 v112, v34
	s_add_i32 m0, s8, -11
	s_waitcnt lgkmcnt(1)
	s_delay_alu instid0(VALU_DEP_1) | instskip(SKIP_4) | instid1(VALU_DEP_1)
	v_fma_f64 v[98:99], v[112:113], v[104:105], v[98:99]
	v_movrels_b32_e32 v105, v34
	s_add_i32 m0, s8, -12
	v_movrels_b32_e32 v104, v34
	s_add_i32 m0, s8, -9
	v_fma_f64 v[98:99], v[104:105], v[106:107], v[98:99]
	v_movrels_b32_e32 v105, v34
	s_add_i32 m0, s8, -10
	v_movrels_b32_e32 v104, v34
	s_add_i32 m0, s8, -7
	s_waitcnt lgkmcnt(0)
	s_delay_alu instid0(VALU_DEP_1)
	v_fma_f64 v[98:99], v[104:105], v[108:109], v[98:99]
	v_movrels_b32_e32 v105, v34
	s_add_i32 m0, s8, -8
	v_movrels_b32_e32 v104, v34
	s_add_i32 m0, s8, -5
	;; [unrolled: 2-line block ×4, first 2 shown]
	v_fma_f64 v[98:99], v[104:105], v[110:111], v[98:99]
	ds_load_b128 v[104:107], v102 offset:32
	ds_load_b128 v[108:111], v102 offset:48
	s_waitcnt lgkmcnt(1)
	v_fma_f64 v[98:99], v[112:113], v[104:105], v[98:99]
	v_movrels_b32_e32 v105, v34
	s_add_i32 m0, s8, -4
	v_movrels_b32_e32 v104, v34
	s_add_i32 m0, s8, -1
	s_delay_alu instid0(VALU_DEP_1)
	v_fma_f64 v[98:99], v[104:105], v[106:107], v[98:99]
	v_movrels_b32_e32 v105, v34
	s_add_i32 m0, s8, -2
	s_add_u32 s0, s0, 8
	v_movrels_b32_e32 v104, v34
	s_mov_b32 m0, s8
	v_add_nc_u32_e32 v102, s0, v103
	s_addc_u32 s1, s1, 0
	s_add_i32 s8, s0, -7
	s_add_i32 s7, s7, 64
	s_delay_alu instid0(VALU_DEP_1)
	v_cmp_eq_u32_e32 vcc_lo, 13, v102
	v_mov_b32_e32 v102, s8
	s_or_b32 s6, vcc_lo, s6
	s_waitcnt lgkmcnt(0)
	v_fma_f64 v[98:99], v[104:105], v[108:109], v[98:99]
	v_movrels_b32_e32 v105, v35
	v_movrels_b32_e32 v104, v34
	s_delay_alu instid0(VALU_DEP_1)
	v_fma_f64 v[98:99], v[104:105], v[110:111], v[98:99]
	s_and_not1_b32 exec_lo, exec_lo, s6
	s_cbranch_execnz .LBB15_139
; %bb.140:
	s_or_b32 exec_lo, exec_lo, s6
.LBB15_141:
	s_delay_alu instid0(SALU_CYCLE_1) | instskip(SKIP_3) | instid1(VALU_DEP_1)
	s_or_b32 exec_lo, exec_lo, s5
	v_and_b32_e32 v101, 7, v101
	s_mov_b32 s5, 0
	s_mov_b32 s1, exec_lo
	v_cmpx_ne_u32_e32 0, v101
	s_cbranch_execz .LBB15_145
; %bb.142:
	v_lshl_add_u32 v103, v102, 3, 0x80
	v_mov_b32_e32 v104, 0
.LBB15_143:                             ; =>This Inner Loop Header: Depth=1
	v_cmp_eq_u32_e32 vcc_lo, 1, v102
	v_cmp_eq_u32_e64 s0, 2, v102
	v_add_nc_u32_e32 v101, -1, v101
	v_dual_cndmask_b32 v105, v35, v37 :: v_dual_cndmask_b32 v106, v34, v36
	v_cmp_eq_u32_e32 vcc_lo, 3, v102
	s_delay_alu instid0(VALU_DEP_2) | instskip(NEXT) | instid1(VALU_DEP_3)
	v_cndmask_b32_e64 v105, v105, v39, s0
	v_cndmask_b32_e64 v106, v106, v38, s0
	v_cmp_eq_u32_e64 s0, 4, v102
	s_delay_alu instid0(VALU_DEP_2) | instskip(SKIP_1) | instid1(VALU_DEP_2)
	v_dual_cndmask_b32 v105, v105, v41 :: v_dual_cndmask_b32 v106, v106, v40
	v_cmp_eq_u32_e32 vcc_lo, 5, v102
	v_cndmask_b32_e64 v105, v105, v43, s0
	s_delay_alu instid0(VALU_DEP_3) | instskip(SKIP_1) | instid1(VALU_DEP_2)
	v_cndmask_b32_e64 v106, v106, v42, s0
	v_cmp_eq_u32_e64 s0, 6, v102
	v_dual_cndmask_b32 v105, v105, v45 :: v_dual_cndmask_b32 v106, v106, v44
	v_cmp_eq_u32_e32 vcc_lo, 7, v102
	s_delay_alu instid0(VALU_DEP_2) | instskip(NEXT) | instid1(VALU_DEP_3)
	v_cndmask_b32_e64 v105, v105, v47, s0
	v_cndmask_b32_e64 v106, v106, v46, s0
	v_cmp_eq_u32_e64 s0, 8, v102
	s_delay_alu instid0(VALU_DEP_2) | instskip(SKIP_1) | instid1(VALU_DEP_2)
	v_dual_cndmask_b32 v105, v105, v49 :: v_dual_cndmask_b32 v106, v106, v48
	v_cmp_eq_u32_e32 vcc_lo, 9, v102
	v_cndmask_b32_e64 v105, v105, v51, s0
	s_delay_alu instid0(VALU_DEP_3) | instskip(SKIP_1) | instid1(VALU_DEP_2)
	v_cndmask_b32_e64 v106, v106, v50, s0
	v_cmp_eq_u32_e64 s0, 10, v102
	v_dual_cndmask_b32 v105, v105, v53 :: v_dual_cndmask_b32 v106, v106, v52
	v_cmp_eq_u32_e32 vcc_lo, 11, v102
	s_delay_alu instid0(VALU_DEP_2) | instskip(NEXT) | instid1(VALU_DEP_3)
	v_cndmask_b32_e64 v105, v105, v55, s0
	v_cndmask_b32_e64 v106, v106, v54, s0
	v_cmp_eq_u32_e64 s0, 12, v102
	s_delay_alu instid0(VALU_DEP_2)
	v_dual_cndmask_b32 v107, v105, v57 :: v_dual_cndmask_b32 v108, v106, v56
	ds_load_b64 v[105:106], v103
	v_cmp_eq_u32_e32 vcc_lo, 13, v102
	v_add_nc_u32_e32 v103, 8, v103
	v_cndmask_b32_e64 v107, v107, v59, s0
	v_cndmask_b32_e64 v108, v108, v58, s0
	v_cmp_eq_u32_e64 s0, 14, v102
	s_delay_alu instid0(VALU_DEP_2) | instskip(SKIP_1) | instid1(VALU_DEP_2)
	v_dual_cndmask_b32 v107, v107, v61 :: v_dual_cndmask_b32 v108, v108, v60
	v_cmp_eq_u32_e32 vcc_lo, 15, v102
	v_cndmask_b32_e64 v107, v107, v63, s0
	s_delay_alu instid0(VALU_DEP_3) | instskip(SKIP_1) | instid1(VALU_DEP_1)
	v_cndmask_b32_e64 v109, v108, v62, s0
	v_add_co_u32 v102, s0, v102, 1
	v_add_co_ci_u32_e64 v104, s0, 0, v104, s0
	s_delay_alu instid0(VALU_DEP_3) | instskip(SKIP_2) | instid1(VALU_DEP_2)
	v_dual_cndmask_b32 v108, v107, v65 :: v_dual_cndmask_b32 v107, v109, v64
	v_cmp_eq_u32_e32 vcc_lo, 0, v101
	s_waitcnt lgkmcnt(0)
	v_fma_f64 v[98:99], v[107:108], v[105:106], v[98:99]
	s_or_b32 s5, vcc_lo, s5
	s_delay_alu instid0(SALU_CYCLE_1)
	s_and_not1_b32 exec_lo, exec_lo, s5
	s_cbranch_execnz .LBB15_143
; %bb.144:
	s_or_b32 exec_lo, exec_lo, s5
.LBB15_145:
	s_delay_alu instid0(SALU_CYCLE_1)
	s_or_b32 exec_lo, exec_lo, s1
.LBB15_146:
	s_delay_alu instid0(SALU_CYCLE_1)
	s_or_b32 exec_lo, exec_lo, s4
	v_mov_b32_e32 v44, 0
	ds_load_b64 v[44:45], v44 offset:40
	s_waitcnt lgkmcnt(0)
	v_mul_f64 v[44:45], v[98:99], v[44:45]
.LBB15_147:
	s_or_b32 exec_lo, exec_lo, s3
	v_cmp_lt_u32_e64 s1, 4, v0
	ds_store_b64 v100, v[42:43]
	s_waitcnt lgkmcnt(0)
	s_barrier
	buffer_gl0_inv
	s_and_saveexec_b32 s4, s1
	s_cbranch_execz .LBB15_163
; %bb.148:
	s_and_not1_b32 vcc_lo, exec_lo, s18
	s_cbranch_vccnz .LBB15_150
; %bb.149:
	v_cmp_eq_u32_e32 vcc_lo, 1, v0
	v_dual_cndmask_b32 v98, v35, v37 :: v_dual_cndmask_b32 v99, v34, v36
	v_cmp_eq_u32_e32 vcc_lo, 2, v0
	s_delay_alu instid0(VALU_DEP_2) | instskip(SKIP_1) | instid1(VALU_DEP_2)
	v_dual_cndmask_b32 v98, v98, v39 :: v_dual_cndmask_b32 v99, v99, v38
	v_cmp_eq_u32_e32 vcc_lo, 3, v0
	v_dual_cndmask_b32 v98, v98, v41 :: v_dual_cndmask_b32 v99, v99, v40
	v_cmp_eq_u32_e32 vcc_lo, 4, v0
	s_delay_alu instid0(VALU_DEP_2) | instskip(SKIP_1) | instid1(VALU_DEP_2)
	v_dual_cndmask_b32 v98, v98, v43 :: v_dual_cndmask_b32 v99, v99, v42
	v_cmp_eq_u32_e32 vcc_lo, 5, v0
	v_dual_cndmask_b32 v98, v98, v45 :: v_dual_cndmask_b32 v99, v99, v44
	v_cmp_eq_u32_e32 vcc_lo, 6, v0
	s_delay_alu instid0(VALU_DEP_2) | instskip(SKIP_1) | instid1(VALU_DEP_2)
	v_dual_cndmask_b32 v98, v98, v47 :: v_dual_cndmask_b32 v99, v99, v46
	v_cmp_eq_u32_e32 vcc_lo, 7, v0
	v_dual_cndmask_b32 v98, v98, v49 :: v_dual_cndmask_b32 v99, v99, v48
	v_cmp_eq_u32_e32 vcc_lo, 8, v0
	s_delay_alu instid0(VALU_DEP_2) | instskip(SKIP_1) | instid1(VALU_DEP_2)
	v_dual_cndmask_b32 v98, v98, v51 :: v_dual_cndmask_b32 v99, v99, v50
	v_cmp_eq_u32_e32 vcc_lo, 9, v0
	v_dual_cndmask_b32 v98, v98, v53 :: v_dual_cndmask_b32 v99, v99, v52
	v_cmp_eq_u32_e32 vcc_lo, 10, v0
	s_delay_alu instid0(VALU_DEP_2) | instskip(SKIP_1) | instid1(VALU_DEP_2)
	v_dual_cndmask_b32 v98, v98, v55 :: v_dual_cndmask_b32 v99, v99, v54
	v_cmp_eq_u32_e32 vcc_lo, 11, v0
	v_dual_cndmask_b32 v98, v98, v57 :: v_dual_cndmask_b32 v99, v99, v56
	v_cmp_eq_u32_e32 vcc_lo, 12, v0
	s_delay_alu instid0(VALU_DEP_2) | instskip(SKIP_4) | instid1(VALU_DEP_2)
	v_dual_cndmask_b32 v101, v98, v59 :: v_dual_cndmask_b32 v102, v99, v58
	v_cmp_eq_u32_e32 vcc_lo, 13, v0
	ds_load_b64 v[98:99], v100
	v_dual_cndmask_b32 v101, v101, v61 :: v_dual_cndmask_b32 v102, v102, v60
	v_cmp_eq_u32_e32 vcc_lo, 14, v0
	v_cndmask_b32_e32 v101, v101, v63, vcc_lo
	s_delay_alu instid0(VALU_DEP_3) | instskip(SKIP_1) | instid1(VALU_DEP_2)
	v_cndmask_b32_e32 v103, v102, v62, vcc_lo
	v_cmp_eq_u32_e32 vcc_lo, 15, v0
	v_dual_cndmask_b32 v102, v101, v65 :: v_dual_cndmask_b32 v101, v103, v64
	s_waitcnt lgkmcnt(0)
	s_delay_alu instid0(VALU_DEP_1)
	v_mul_f64 v[98:99], v[101:102], v[98:99]
	s_cbranch_execz .LBB15_151
	s_branch .LBB15_152
.LBB15_150:
                                        ; implicit-def: $vgpr98_vgpr99
.LBB15_151:
	ds_load_b64 v[98:99], v100
.LBB15_152:
	s_and_saveexec_b32 s5, s2
	s_cbranch_execz .LBB15_162
; %bb.153:
	v_add_nc_u32_e32 v102, -6, v0
	v_add_nc_u32_e32 v101, -5, v0
	s_delay_alu instid0(VALU_DEP_2)
	v_cmp_lt_u32_e32 vcc_lo, 6, v102
	v_mov_b32_e32 v102, 5
	s_and_saveexec_b32 s0, vcc_lo
	s_cbranch_execz .LBB15_157
; %bb.154:
	v_and_b32_e32 v102, -8, v101
	s_mov_b32 s6, 0
	s_mov_b64 s[2:3], 12
	s_movk_i32 s7, 0xa8
	s_delay_alu instid0(VALU_DEP_1)
	v_sub_nc_u32_e32 v103, 0, v102
.LBB15_155:                             ; =>This Inner Loop Header: Depth=1
	v_mov_b32_e32 v102, s7
	s_lshl_b32 s8, s2, 1
	s_delay_alu instid0(SALU_CYCLE_1)
	s_add_i32 m0, s8, -13
	v_movrels_b32_e32 v113, v34
	ds_load_2addr_b64 v[104:107], v102 offset1:1
	ds_load_2addr_b64 v[108:111], v102 offset0:2 offset1:3
	s_add_i32 m0, s8, -14
	v_movrels_b32_e32 v112, v34
	s_add_i32 m0, s8, -11
	s_waitcnt lgkmcnt(1)
	s_delay_alu instid0(VALU_DEP_1) | instskip(SKIP_4) | instid1(VALU_DEP_1)
	v_fma_f64 v[98:99], v[112:113], v[104:105], v[98:99]
	v_movrels_b32_e32 v105, v34
	s_add_i32 m0, s8, -12
	v_movrels_b32_e32 v104, v34
	s_add_i32 m0, s8, -9
	v_fma_f64 v[98:99], v[104:105], v[106:107], v[98:99]
	v_movrels_b32_e32 v105, v34
	s_add_i32 m0, s8, -10
	v_movrels_b32_e32 v104, v34
	s_add_i32 m0, s8, -7
	s_waitcnt lgkmcnt(0)
	s_delay_alu instid0(VALU_DEP_1)
	v_fma_f64 v[98:99], v[104:105], v[108:109], v[98:99]
	v_movrels_b32_e32 v105, v34
	s_add_i32 m0, s8, -8
	v_movrels_b32_e32 v104, v34
	s_add_i32 m0, s8, -5
	;; [unrolled: 2-line block ×4, first 2 shown]
	v_fma_f64 v[98:99], v[104:105], v[110:111], v[98:99]
	ds_load_2addr_b64 v[104:107], v102 offset0:4 offset1:5
	ds_load_2addr_b64 v[108:111], v102 offset0:6 offset1:7
	s_waitcnt lgkmcnt(1)
	v_fma_f64 v[98:99], v[112:113], v[104:105], v[98:99]
	v_movrels_b32_e32 v105, v34
	s_add_i32 m0, s8, -4
	v_movrels_b32_e32 v104, v34
	s_add_i32 m0, s8, -1
	s_delay_alu instid0(VALU_DEP_1)
	v_fma_f64 v[98:99], v[104:105], v[106:107], v[98:99]
	v_movrels_b32_e32 v105, v34
	s_add_i32 m0, s8, -2
	s_add_u32 s2, s2, 8
	v_movrels_b32_e32 v104, v34
	s_mov_b32 m0, s8
	v_add_nc_u32_e32 v102, s2, v103
	s_addc_u32 s3, s3, 0
	s_add_i32 s8, s2, -7
	s_add_i32 s7, s7, 64
	s_delay_alu instid0(VALU_DEP_1)
	v_cmp_eq_u32_e32 vcc_lo, 12, v102
	v_mov_b32_e32 v102, s8
	s_or_b32 s6, vcc_lo, s6
	s_waitcnt lgkmcnt(0)
	v_fma_f64 v[98:99], v[104:105], v[108:109], v[98:99]
	v_movrels_b32_e32 v105, v35
	v_movrels_b32_e32 v104, v34
	s_delay_alu instid0(VALU_DEP_1)
	v_fma_f64 v[98:99], v[104:105], v[110:111], v[98:99]
	s_and_not1_b32 exec_lo, exec_lo, s6
	s_cbranch_execnz .LBB15_155
; %bb.156:
	s_or_b32 exec_lo, exec_lo, s6
.LBB15_157:
	s_delay_alu instid0(SALU_CYCLE_1) | instskip(SKIP_3) | instid1(VALU_DEP_1)
	s_or_b32 exec_lo, exec_lo, s0
	v_and_b32_e32 v101, 7, v101
	s_mov_b32 s3, 0
	s_mov_b32 s2, exec_lo
	v_cmpx_ne_u32_e32 0, v101
	s_cbranch_execz .LBB15_161
; %bb.158:
	v_lshl_add_u32 v103, v102, 3, 0x80
	v_mov_b32_e32 v104, 0
.LBB15_159:                             ; =>This Inner Loop Header: Depth=1
	v_cmp_eq_u32_e32 vcc_lo, 1, v102
	v_cmp_eq_u32_e64 s0, 2, v102
	v_add_nc_u32_e32 v101, -1, v101
	v_dual_cndmask_b32 v105, v35, v37 :: v_dual_cndmask_b32 v106, v34, v36
	v_cmp_eq_u32_e32 vcc_lo, 3, v102
	s_delay_alu instid0(VALU_DEP_2) | instskip(NEXT) | instid1(VALU_DEP_3)
	v_cndmask_b32_e64 v105, v105, v39, s0
	v_cndmask_b32_e64 v106, v106, v38, s0
	v_cmp_eq_u32_e64 s0, 4, v102
	s_delay_alu instid0(VALU_DEP_2) | instskip(SKIP_1) | instid1(VALU_DEP_2)
	v_dual_cndmask_b32 v105, v105, v41 :: v_dual_cndmask_b32 v106, v106, v40
	v_cmp_eq_u32_e32 vcc_lo, 5, v102
	v_cndmask_b32_e64 v105, v105, v43, s0
	s_delay_alu instid0(VALU_DEP_3) | instskip(SKIP_1) | instid1(VALU_DEP_2)
	v_cndmask_b32_e64 v106, v106, v42, s0
	v_cmp_eq_u32_e64 s0, 6, v102
	v_dual_cndmask_b32 v105, v105, v45 :: v_dual_cndmask_b32 v106, v106, v44
	v_cmp_eq_u32_e32 vcc_lo, 7, v102
	s_delay_alu instid0(VALU_DEP_2) | instskip(NEXT) | instid1(VALU_DEP_3)
	v_cndmask_b32_e64 v105, v105, v47, s0
	v_cndmask_b32_e64 v106, v106, v46, s0
	v_cmp_eq_u32_e64 s0, 8, v102
	s_delay_alu instid0(VALU_DEP_2) | instskip(SKIP_1) | instid1(VALU_DEP_2)
	v_dual_cndmask_b32 v105, v105, v49 :: v_dual_cndmask_b32 v106, v106, v48
	v_cmp_eq_u32_e32 vcc_lo, 9, v102
	v_cndmask_b32_e64 v105, v105, v51, s0
	s_delay_alu instid0(VALU_DEP_3) | instskip(SKIP_1) | instid1(VALU_DEP_2)
	v_cndmask_b32_e64 v106, v106, v50, s0
	v_cmp_eq_u32_e64 s0, 10, v102
	v_dual_cndmask_b32 v105, v105, v53 :: v_dual_cndmask_b32 v106, v106, v52
	v_cmp_eq_u32_e32 vcc_lo, 11, v102
	s_delay_alu instid0(VALU_DEP_2) | instskip(NEXT) | instid1(VALU_DEP_3)
	v_cndmask_b32_e64 v105, v105, v55, s0
	v_cndmask_b32_e64 v106, v106, v54, s0
	v_cmp_eq_u32_e64 s0, 12, v102
	s_delay_alu instid0(VALU_DEP_2)
	v_dual_cndmask_b32 v107, v105, v57 :: v_dual_cndmask_b32 v108, v106, v56
	ds_load_b64 v[105:106], v103
	v_cmp_eq_u32_e32 vcc_lo, 13, v102
	v_add_nc_u32_e32 v103, 8, v103
	v_cndmask_b32_e64 v107, v107, v59, s0
	v_cndmask_b32_e64 v108, v108, v58, s0
	v_cmp_eq_u32_e64 s0, 14, v102
	s_delay_alu instid0(VALU_DEP_2) | instskip(SKIP_1) | instid1(VALU_DEP_2)
	v_dual_cndmask_b32 v107, v107, v61 :: v_dual_cndmask_b32 v108, v108, v60
	v_cmp_eq_u32_e32 vcc_lo, 15, v102
	v_cndmask_b32_e64 v107, v107, v63, s0
	s_delay_alu instid0(VALU_DEP_3) | instskip(SKIP_1) | instid1(VALU_DEP_1)
	v_cndmask_b32_e64 v109, v108, v62, s0
	v_add_co_u32 v102, s0, v102, 1
	v_add_co_ci_u32_e64 v104, s0, 0, v104, s0
	s_delay_alu instid0(VALU_DEP_3) | instskip(SKIP_2) | instid1(VALU_DEP_2)
	v_dual_cndmask_b32 v108, v107, v65 :: v_dual_cndmask_b32 v107, v109, v64
	v_cmp_eq_u32_e32 vcc_lo, 0, v101
	s_waitcnt lgkmcnt(0)
	v_fma_f64 v[98:99], v[107:108], v[105:106], v[98:99]
	s_or_b32 s3, vcc_lo, s3
	s_delay_alu instid0(SALU_CYCLE_1)
	s_and_not1_b32 exec_lo, exec_lo, s3
	s_cbranch_execnz .LBB15_159
; %bb.160:
	s_or_b32 exec_lo, exec_lo, s3
.LBB15_161:
	s_delay_alu instid0(SALU_CYCLE_1)
	s_or_b32 exec_lo, exec_lo, s2
.LBB15_162:
	s_delay_alu instid0(SALU_CYCLE_1)
	s_or_b32 exec_lo, exec_lo, s5
	v_mov_b32_e32 v42, 0
	ds_load_b64 v[42:43], v42 offset:32
	s_waitcnt lgkmcnt(0)
	v_mul_f64 v[42:43], v[98:99], v[42:43]
.LBB15_163:
	s_or_b32 exec_lo, exec_lo, s4
	v_cmp_lt_u32_e64 s0, 3, v0
	ds_store_b64 v100, v[40:41]
	s_waitcnt lgkmcnt(0)
	s_barrier
	buffer_gl0_inv
	s_and_saveexec_b32 s4, s0
	s_cbranch_execz .LBB15_179
; %bb.164:
	s_and_not1_b32 vcc_lo, exec_lo, s18
	s_cbranch_vccnz .LBB15_166
; %bb.165:
	v_cmp_eq_u32_e32 vcc_lo, 1, v0
	v_dual_cndmask_b32 v98, v35, v37 :: v_dual_cndmask_b32 v99, v34, v36
	v_cmp_eq_u32_e32 vcc_lo, 2, v0
	s_delay_alu instid0(VALU_DEP_2) | instskip(SKIP_1) | instid1(VALU_DEP_2)
	v_dual_cndmask_b32 v98, v98, v39 :: v_dual_cndmask_b32 v99, v99, v38
	v_cmp_eq_u32_e32 vcc_lo, 3, v0
	v_dual_cndmask_b32 v98, v98, v41 :: v_dual_cndmask_b32 v99, v99, v40
	v_cmp_eq_u32_e32 vcc_lo, 4, v0
	s_delay_alu instid0(VALU_DEP_2) | instskip(SKIP_1) | instid1(VALU_DEP_2)
	v_dual_cndmask_b32 v98, v98, v43 :: v_dual_cndmask_b32 v99, v99, v42
	;; [unrolled: 5-line block ×5, first 2 shown]
	v_cmp_eq_u32_e32 vcc_lo, 11, v0
	v_dual_cndmask_b32 v98, v98, v57 :: v_dual_cndmask_b32 v99, v99, v56
	v_cmp_eq_u32_e32 vcc_lo, 12, v0
	s_delay_alu instid0(VALU_DEP_2) | instskip(SKIP_4) | instid1(VALU_DEP_2)
	v_dual_cndmask_b32 v101, v98, v59 :: v_dual_cndmask_b32 v102, v99, v58
	v_cmp_eq_u32_e32 vcc_lo, 13, v0
	ds_load_b64 v[98:99], v100
	v_dual_cndmask_b32 v101, v101, v61 :: v_dual_cndmask_b32 v102, v102, v60
	v_cmp_eq_u32_e32 vcc_lo, 14, v0
	v_cndmask_b32_e32 v101, v101, v63, vcc_lo
	s_delay_alu instid0(VALU_DEP_3) | instskip(SKIP_1) | instid1(VALU_DEP_2)
	v_cndmask_b32_e32 v103, v102, v62, vcc_lo
	v_cmp_eq_u32_e32 vcc_lo, 15, v0
	v_dual_cndmask_b32 v102, v101, v65 :: v_dual_cndmask_b32 v101, v103, v64
	s_waitcnt lgkmcnt(0)
	s_delay_alu instid0(VALU_DEP_1)
	v_mul_f64 v[98:99], v[101:102], v[98:99]
	s_cbranch_execz .LBB15_167
	s_branch .LBB15_168
.LBB15_166:
                                        ; implicit-def: $vgpr98_vgpr99
.LBB15_167:
	ds_load_b64 v[98:99], v100
.LBB15_168:
	s_and_saveexec_b32 s5, s1
	s_cbranch_execz .LBB15_178
; %bb.169:
	v_dual_mov_b32 v103, 4 :: v_dual_add_nc_u32 v102, -5, v0
	v_add_nc_u32_e32 v101, -4, v0
	s_mov_b32 s1, exec_lo
	s_delay_alu instid0(VALU_DEP_2)
	v_cmpx_lt_u32_e32 6, v102
	s_cbranch_execz .LBB15_173
; %bb.170:
	s_delay_alu instid0(VALU_DEP_2) | instskip(SKIP_3) | instid1(VALU_DEP_1)
	v_and_b32_e32 v102, -8, v101
	s_mov_b32 s6, 0
	s_mov_b64 s[2:3], 5
	s_movk_i32 s7, 0xa0
	v_sub_nc_u32_e32 v102, 0, v102
.LBB15_171:                             ; =>This Inner Loop Header: Depth=1
	v_mov_b32_e32 v113, s7
	s_lshl_b32 s8, s2, 1
	s_delay_alu instid0(SALU_CYCLE_1)
	s_add_i32 m0, s8, -1
	s_add_i32 s9, s8, 3
	ds_load_b128 v[103:106], v113
	ds_load_b128 v[107:110], v113 offset:16
	v_movrels_b32_e32 v112, v34
	s_add_i32 m0, s8, -2
	s_add_i32 s10, s8, 2
	v_movrels_b32_e32 v111, v34
	s_mov_b32 m0, s8
	s_waitcnt lgkmcnt(1)
	s_delay_alu instid0(VALU_DEP_1) | instskip(SKIP_4) | instid1(VALU_DEP_1)
	v_fma_f64 v[98:99], v[111:112], v[103:104], v[98:99]
	v_movrels_b32_e32 v104, v35
	v_movrels_b32_e32 v103, v34
	s_mov_b32 m0, s9
	s_add_i32 s9, s8, 5
	v_fma_f64 v[98:99], v[103:104], v[105:106], v[98:99]
	v_movrels_b32_e32 v104, v34
	s_mov_b32 m0, s10
	s_add_i32 s10, s8, 4
	v_movrels_b32_e32 v103, v34
	s_mov_b32 m0, s9
	s_add_i32 s9, s8, 7
	s_waitcnt lgkmcnt(0)
	s_delay_alu instid0(VALU_DEP_1)
	v_fma_f64 v[98:99], v[103:104], v[107:108], v[98:99]
	v_movrels_b32_e32 v104, v34
	s_mov_b32 m0, s10
	s_add_i32 s10, s8, 6
	v_movrels_b32_e32 v103, v34
	s_mov_b32 m0, s9
	s_add_i32 s9, s8, 9
	;; [unrolled: 3-line block ×4, first 2 shown]
	v_fma_f64 v[98:99], v[103:104], v[109:110], v[98:99]
	ds_load_b128 v[103:106], v113 offset:32
	ds_load_b128 v[107:110], v113 offset:48
	s_waitcnt lgkmcnt(1)
	v_fma_f64 v[98:99], v[111:112], v[103:104], v[98:99]
	v_movrels_b32_e32 v104, v34
	s_mov_b32 m0, s10
	s_add_i32 s10, s8, 10
	v_movrels_b32_e32 v103, v34
	s_mov_b32 m0, s9
	s_add_i32 s9, s8, 13
	s_add_i32 s8, s8, 12
	s_add_u32 s2, s2, 8
	s_addc_u32 s3, s3, 0
	s_add_i32 s7, s7, 64
	s_delay_alu instid0(VALU_DEP_3)
	v_fma_f64 v[98:99], v[103:104], v[105:106], v[98:99]
	v_movrels_b32_e32 v104, v34
	s_mov_b32 m0, s10
	v_movrels_b32_e32 v103, v34
	s_mov_b32 m0, s9
	s_waitcnt lgkmcnt(0)
	s_delay_alu instid0(VALU_DEP_1) | instskip(SKIP_4) | instid1(VALU_DEP_1)
	v_fma_f64 v[98:99], v[103:104], v[107:108], v[98:99]
	v_movrels_b32_e32 v104, v34
	s_mov_b32 m0, s8
	s_add_i32 s8, s2, -1
	v_movrels_b32_e32 v103, v34
	v_fma_f64 v[98:99], v[103:104], v[109:110], v[98:99]
	v_add_nc_u32_e32 v103, s2, v102
	s_delay_alu instid0(VALU_DEP_1) | instskip(SKIP_2) | instid1(SALU_CYCLE_1)
	v_cmp_eq_u32_e32 vcc_lo, 5, v103
	v_mov_b32_e32 v103, s8
	s_or_b32 s6, vcc_lo, s6
	s_and_not1_b32 exec_lo, exec_lo, s6
	s_cbranch_execnz .LBB15_171
; %bb.172:
	s_or_b32 exec_lo, exec_lo, s6
.LBB15_173:
	s_delay_alu instid0(SALU_CYCLE_1) | instskip(SKIP_3) | instid1(VALU_DEP_1)
	s_or_b32 exec_lo, exec_lo, s1
	v_and_b32_e32 v101, 7, v101
	s_mov_b32 s3, 0
	s_mov_b32 s2, exec_lo
	v_cmpx_ne_u32_e32 0, v101
	s_cbranch_execz .LBB15_177
; %bb.174:
	v_lshl_add_u32 v102, v103, 3, 0x80
	v_mov_b32_e32 v104, 0
.LBB15_175:                             ; =>This Inner Loop Header: Depth=1
	v_cmp_eq_u32_e32 vcc_lo, 1, v103
	v_cmp_eq_u32_e64 s1, 2, v103
	v_add_nc_u32_e32 v101, -1, v101
	v_dual_cndmask_b32 v105, v35, v37 :: v_dual_cndmask_b32 v106, v34, v36
	v_cmp_eq_u32_e32 vcc_lo, 3, v103
	s_delay_alu instid0(VALU_DEP_2) | instskip(NEXT) | instid1(VALU_DEP_3)
	v_cndmask_b32_e64 v105, v105, v39, s1
	v_cndmask_b32_e64 v106, v106, v38, s1
	v_cmp_eq_u32_e64 s1, 4, v103
	s_delay_alu instid0(VALU_DEP_2) | instskip(SKIP_1) | instid1(VALU_DEP_2)
	v_dual_cndmask_b32 v105, v105, v41 :: v_dual_cndmask_b32 v106, v106, v40
	v_cmp_eq_u32_e32 vcc_lo, 5, v103
	v_cndmask_b32_e64 v105, v105, v43, s1
	s_delay_alu instid0(VALU_DEP_3) | instskip(SKIP_1) | instid1(VALU_DEP_2)
	v_cndmask_b32_e64 v106, v106, v42, s1
	v_cmp_eq_u32_e64 s1, 6, v103
	v_dual_cndmask_b32 v105, v105, v45 :: v_dual_cndmask_b32 v106, v106, v44
	v_cmp_eq_u32_e32 vcc_lo, 7, v103
	s_delay_alu instid0(VALU_DEP_2) | instskip(NEXT) | instid1(VALU_DEP_3)
	v_cndmask_b32_e64 v105, v105, v47, s1
	v_cndmask_b32_e64 v106, v106, v46, s1
	v_cmp_eq_u32_e64 s1, 8, v103
	s_delay_alu instid0(VALU_DEP_2) | instskip(SKIP_1) | instid1(VALU_DEP_2)
	v_dual_cndmask_b32 v105, v105, v49 :: v_dual_cndmask_b32 v106, v106, v48
	v_cmp_eq_u32_e32 vcc_lo, 9, v103
	v_cndmask_b32_e64 v105, v105, v51, s1
	s_delay_alu instid0(VALU_DEP_3) | instskip(SKIP_1) | instid1(VALU_DEP_2)
	v_cndmask_b32_e64 v106, v106, v50, s1
	v_cmp_eq_u32_e64 s1, 10, v103
	v_dual_cndmask_b32 v105, v105, v53 :: v_dual_cndmask_b32 v106, v106, v52
	v_cmp_eq_u32_e32 vcc_lo, 11, v103
	s_delay_alu instid0(VALU_DEP_2) | instskip(NEXT) | instid1(VALU_DEP_3)
	v_cndmask_b32_e64 v105, v105, v55, s1
	v_cndmask_b32_e64 v106, v106, v54, s1
	v_cmp_eq_u32_e64 s1, 12, v103
	s_delay_alu instid0(VALU_DEP_2)
	v_dual_cndmask_b32 v107, v105, v57 :: v_dual_cndmask_b32 v108, v106, v56
	ds_load_b64 v[105:106], v102
	v_cmp_eq_u32_e32 vcc_lo, 13, v103
	v_add_nc_u32_e32 v102, 8, v102
	v_cndmask_b32_e64 v107, v107, v59, s1
	v_cndmask_b32_e64 v108, v108, v58, s1
	v_cmp_eq_u32_e64 s1, 14, v103
	s_delay_alu instid0(VALU_DEP_2) | instskip(SKIP_1) | instid1(VALU_DEP_2)
	v_dual_cndmask_b32 v107, v107, v61 :: v_dual_cndmask_b32 v108, v108, v60
	v_cmp_eq_u32_e32 vcc_lo, 15, v103
	v_cndmask_b32_e64 v107, v107, v63, s1
	s_delay_alu instid0(VALU_DEP_3) | instskip(SKIP_1) | instid1(VALU_DEP_1)
	v_cndmask_b32_e64 v109, v108, v62, s1
	v_add_co_u32 v103, s1, v103, 1
	v_add_co_ci_u32_e64 v104, s1, 0, v104, s1
	s_delay_alu instid0(VALU_DEP_3) | instskip(SKIP_2) | instid1(VALU_DEP_2)
	v_dual_cndmask_b32 v108, v107, v65 :: v_dual_cndmask_b32 v107, v109, v64
	v_cmp_eq_u32_e32 vcc_lo, 0, v101
	s_waitcnt lgkmcnt(0)
	v_fma_f64 v[98:99], v[107:108], v[105:106], v[98:99]
	s_or_b32 s3, vcc_lo, s3
	s_delay_alu instid0(SALU_CYCLE_1)
	s_and_not1_b32 exec_lo, exec_lo, s3
	s_cbranch_execnz .LBB15_175
; %bb.176:
	s_or_b32 exec_lo, exec_lo, s3
.LBB15_177:
	s_delay_alu instid0(SALU_CYCLE_1)
	s_or_b32 exec_lo, exec_lo, s2
.LBB15_178:
	s_delay_alu instid0(SALU_CYCLE_1)
	s_or_b32 exec_lo, exec_lo, s5
	v_mov_b32_e32 v40, 0
	ds_load_b64 v[40:41], v40 offset:24
	s_waitcnt lgkmcnt(0)
	v_mul_f64 v[40:41], v[98:99], v[40:41]
.LBB15_179:
	s_or_b32 exec_lo, exec_lo, s4
	v_cmp_lt_u32_e64 s1, 2, v0
	ds_store_b64 v100, v[38:39]
	s_waitcnt lgkmcnt(0)
	s_barrier
	buffer_gl0_inv
	s_and_saveexec_b32 s4, s1
	s_cbranch_execz .LBB15_195
; %bb.180:
	s_and_not1_b32 vcc_lo, exec_lo, s18
	s_cbranch_vccnz .LBB15_182
; %bb.181:
	v_cmp_eq_u32_e32 vcc_lo, 1, v0
	v_dual_cndmask_b32 v98, v35, v37 :: v_dual_cndmask_b32 v99, v34, v36
	v_cmp_eq_u32_e32 vcc_lo, 2, v0
	s_delay_alu instid0(VALU_DEP_2) | instskip(SKIP_1) | instid1(VALU_DEP_2)
	v_dual_cndmask_b32 v98, v98, v39 :: v_dual_cndmask_b32 v99, v99, v38
	v_cmp_eq_u32_e32 vcc_lo, 3, v0
	v_dual_cndmask_b32 v98, v98, v41 :: v_dual_cndmask_b32 v99, v99, v40
	v_cmp_eq_u32_e32 vcc_lo, 4, v0
	s_delay_alu instid0(VALU_DEP_2) | instskip(SKIP_1) | instid1(VALU_DEP_2)
	v_dual_cndmask_b32 v98, v98, v43 :: v_dual_cndmask_b32 v99, v99, v42
	;; [unrolled: 5-line block ×5, first 2 shown]
	v_cmp_eq_u32_e32 vcc_lo, 11, v0
	v_dual_cndmask_b32 v98, v98, v57 :: v_dual_cndmask_b32 v99, v99, v56
	v_cmp_eq_u32_e32 vcc_lo, 12, v0
	s_delay_alu instid0(VALU_DEP_2) | instskip(SKIP_4) | instid1(VALU_DEP_2)
	v_dual_cndmask_b32 v101, v98, v59 :: v_dual_cndmask_b32 v102, v99, v58
	v_cmp_eq_u32_e32 vcc_lo, 13, v0
	ds_load_b64 v[98:99], v100
	v_dual_cndmask_b32 v101, v101, v61 :: v_dual_cndmask_b32 v102, v102, v60
	v_cmp_eq_u32_e32 vcc_lo, 14, v0
	v_cndmask_b32_e32 v101, v101, v63, vcc_lo
	s_delay_alu instid0(VALU_DEP_3) | instskip(SKIP_1) | instid1(VALU_DEP_2)
	v_cndmask_b32_e32 v103, v102, v62, vcc_lo
	v_cmp_eq_u32_e32 vcc_lo, 15, v0
	v_dual_cndmask_b32 v102, v101, v65 :: v_dual_cndmask_b32 v101, v103, v64
	s_waitcnt lgkmcnt(0)
	s_delay_alu instid0(VALU_DEP_1)
	v_mul_f64 v[98:99], v[101:102], v[98:99]
	s_cbranch_execz .LBB15_183
	s_branch .LBB15_184
.LBB15_182:
                                        ; implicit-def: $vgpr98_vgpr99
.LBB15_183:
	ds_load_b64 v[98:99], v100
.LBB15_184:
	s_and_saveexec_b32 s5, s0
	s_cbranch_execz .LBB15_194
; %bb.185:
	v_add_nc_u32_e32 v102, -4, v0
	v_add_nc_u32_e32 v101, -3, v0
	s_delay_alu instid0(VALU_DEP_2)
	v_cmp_lt_u32_e32 vcc_lo, 6, v102
	v_mov_b32_e32 v102, 3
	s_and_saveexec_b32 s0, vcc_lo
	s_cbranch_execz .LBB15_189
; %bb.186:
	v_and_b32_e32 v102, -8, v101
	s_mov_b32 s6, 0
	s_mov_b64 s[2:3], 10
	s_movk_i32 s7, 0x98
	s_delay_alu instid0(VALU_DEP_1)
	v_sub_nc_u32_e32 v103, 0, v102
.LBB15_187:                             ; =>This Inner Loop Header: Depth=1
	v_mov_b32_e32 v102, s7
	s_lshl_b32 s8, s2, 1
	s_delay_alu instid0(SALU_CYCLE_1)
	s_add_i32 m0, s8, -13
	v_movrels_b32_e32 v113, v34
	ds_load_2addr_b64 v[104:107], v102 offset1:1
	ds_load_2addr_b64 v[108:111], v102 offset0:2 offset1:3
	s_add_i32 m0, s8, -14
	v_movrels_b32_e32 v112, v34
	s_add_i32 m0, s8, -11
	s_waitcnt lgkmcnt(1)
	s_delay_alu instid0(VALU_DEP_1) | instskip(SKIP_4) | instid1(VALU_DEP_1)
	v_fma_f64 v[98:99], v[112:113], v[104:105], v[98:99]
	v_movrels_b32_e32 v105, v34
	s_add_i32 m0, s8, -12
	v_movrels_b32_e32 v104, v34
	s_add_i32 m0, s8, -9
	v_fma_f64 v[98:99], v[104:105], v[106:107], v[98:99]
	v_movrels_b32_e32 v105, v34
	s_add_i32 m0, s8, -10
	v_movrels_b32_e32 v104, v34
	s_add_i32 m0, s8, -7
	s_waitcnt lgkmcnt(0)
	s_delay_alu instid0(VALU_DEP_1)
	v_fma_f64 v[98:99], v[104:105], v[108:109], v[98:99]
	v_movrels_b32_e32 v105, v34
	s_add_i32 m0, s8, -8
	v_movrels_b32_e32 v104, v34
	s_add_i32 m0, s8, -5
	;; [unrolled: 2-line block ×4, first 2 shown]
	v_fma_f64 v[98:99], v[104:105], v[110:111], v[98:99]
	ds_load_2addr_b64 v[104:107], v102 offset0:4 offset1:5
	ds_load_2addr_b64 v[108:111], v102 offset0:6 offset1:7
	s_waitcnt lgkmcnt(1)
	v_fma_f64 v[98:99], v[112:113], v[104:105], v[98:99]
	v_movrels_b32_e32 v105, v34
	s_add_i32 m0, s8, -4
	v_movrels_b32_e32 v104, v34
	s_add_i32 m0, s8, -1
	s_delay_alu instid0(VALU_DEP_1)
	v_fma_f64 v[98:99], v[104:105], v[106:107], v[98:99]
	v_movrels_b32_e32 v105, v34
	s_add_i32 m0, s8, -2
	s_add_u32 s2, s2, 8
	v_movrels_b32_e32 v104, v34
	s_mov_b32 m0, s8
	v_add_nc_u32_e32 v102, s2, v103
	s_addc_u32 s3, s3, 0
	s_add_i32 s8, s2, -7
	s_add_i32 s7, s7, 64
	s_delay_alu instid0(VALU_DEP_1)
	v_cmp_eq_u32_e32 vcc_lo, 10, v102
	v_mov_b32_e32 v102, s8
	s_or_b32 s6, vcc_lo, s6
	s_waitcnt lgkmcnt(0)
	v_fma_f64 v[98:99], v[104:105], v[108:109], v[98:99]
	v_movrels_b32_e32 v105, v35
	v_movrels_b32_e32 v104, v34
	s_delay_alu instid0(VALU_DEP_1)
	v_fma_f64 v[98:99], v[104:105], v[110:111], v[98:99]
	s_and_not1_b32 exec_lo, exec_lo, s6
	s_cbranch_execnz .LBB15_187
; %bb.188:
	s_or_b32 exec_lo, exec_lo, s6
.LBB15_189:
	s_delay_alu instid0(SALU_CYCLE_1) | instskip(SKIP_3) | instid1(VALU_DEP_1)
	s_or_b32 exec_lo, exec_lo, s0
	v_and_b32_e32 v101, 7, v101
	s_mov_b32 s3, 0
	s_mov_b32 s2, exec_lo
	v_cmpx_ne_u32_e32 0, v101
	s_cbranch_execz .LBB15_193
; %bb.190:
	v_lshl_add_u32 v103, v102, 3, 0x80
	v_mov_b32_e32 v104, 0
.LBB15_191:                             ; =>This Inner Loop Header: Depth=1
	v_cmp_eq_u32_e32 vcc_lo, 1, v102
	v_cmp_eq_u32_e64 s0, 2, v102
	v_add_nc_u32_e32 v101, -1, v101
	v_dual_cndmask_b32 v105, v35, v37 :: v_dual_cndmask_b32 v106, v34, v36
	v_cmp_eq_u32_e32 vcc_lo, 3, v102
	s_delay_alu instid0(VALU_DEP_2) | instskip(NEXT) | instid1(VALU_DEP_3)
	v_cndmask_b32_e64 v105, v105, v39, s0
	v_cndmask_b32_e64 v106, v106, v38, s0
	v_cmp_eq_u32_e64 s0, 4, v102
	s_delay_alu instid0(VALU_DEP_2) | instskip(SKIP_1) | instid1(VALU_DEP_2)
	v_dual_cndmask_b32 v105, v105, v41 :: v_dual_cndmask_b32 v106, v106, v40
	v_cmp_eq_u32_e32 vcc_lo, 5, v102
	v_cndmask_b32_e64 v105, v105, v43, s0
	s_delay_alu instid0(VALU_DEP_3) | instskip(SKIP_1) | instid1(VALU_DEP_2)
	v_cndmask_b32_e64 v106, v106, v42, s0
	v_cmp_eq_u32_e64 s0, 6, v102
	v_dual_cndmask_b32 v105, v105, v45 :: v_dual_cndmask_b32 v106, v106, v44
	v_cmp_eq_u32_e32 vcc_lo, 7, v102
	s_delay_alu instid0(VALU_DEP_2) | instskip(NEXT) | instid1(VALU_DEP_3)
	v_cndmask_b32_e64 v105, v105, v47, s0
	v_cndmask_b32_e64 v106, v106, v46, s0
	v_cmp_eq_u32_e64 s0, 8, v102
	s_delay_alu instid0(VALU_DEP_2) | instskip(SKIP_1) | instid1(VALU_DEP_2)
	v_dual_cndmask_b32 v105, v105, v49 :: v_dual_cndmask_b32 v106, v106, v48
	v_cmp_eq_u32_e32 vcc_lo, 9, v102
	v_cndmask_b32_e64 v105, v105, v51, s0
	s_delay_alu instid0(VALU_DEP_3) | instskip(SKIP_1) | instid1(VALU_DEP_2)
	v_cndmask_b32_e64 v106, v106, v50, s0
	v_cmp_eq_u32_e64 s0, 10, v102
	v_dual_cndmask_b32 v105, v105, v53 :: v_dual_cndmask_b32 v106, v106, v52
	v_cmp_eq_u32_e32 vcc_lo, 11, v102
	s_delay_alu instid0(VALU_DEP_2) | instskip(NEXT) | instid1(VALU_DEP_3)
	v_cndmask_b32_e64 v105, v105, v55, s0
	v_cndmask_b32_e64 v106, v106, v54, s0
	v_cmp_eq_u32_e64 s0, 12, v102
	s_delay_alu instid0(VALU_DEP_2)
	v_dual_cndmask_b32 v107, v105, v57 :: v_dual_cndmask_b32 v108, v106, v56
	ds_load_b64 v[105:106], v103
	v_cmp_eq_u32_e32 vcc_lo, 13, v102
	v_add_nc_u32_e32 v103, 8, v103
	v_cndmask_b32_e64 v107, v107, v59, s0
	v_cndmask_b32_e64 v108, v108, v58, s0
	v_cmp_eq_u32_e64 s0, 14, v102
	s_delay_alu instid0(VALU_DEP_2) | instskip(SKIP_1) | instid1(VALU_DEP_2)
	v_dual_cndmask_b32 v107, v107, v61 :: v_dual_cndmask_b32 v108, v108, v60
	v_cmp_eq_u32_e32 vcc_lo, 15, v102
	v_cndmask_b32_e64 v107, v107, v63, s0
	s_delay_alu instid0(VALU_DEP_3) | instskip(SKIP_1) | instid1(VALU_DEP_1)
	v_cndmask_b32_e64 v109, v108, v62, s0
	v_add_co_u32 v102, s0, v102, 1
	v_add_co_ci_u32_e64 v104, s0, 0, v104, s0
	s_delay_alu instid0(VALU_DEP_3) | instskip(SKIP_2) | instid1(VALU_DEP_2)
	v_dual_cndmask_b32 v108, v107, v65 :: v_dual_cndmask_b32 v107, v109, v64
	v_cmp_eq_u32_e32 vcc_lo, 0, v101
	s_waitcnt lgkmcnt(0)
	v_fma_f64 v[98:99], v[107:108], v[105:106], v[98:99]
	s_or_b32 s3, vcc_lo, s3
	s_delay_alu instid0(SALU_CYCLE_1)
	s_and_not1_b32 exec_lo, exec_lo, s3
	s_cbranch_execnz .LBB15_191
; %bb.192:
	s_or_b32 exec_lo, exec_lo, s3
.LBB15_193:
	s_delay_alu instid0(SALU_CYCLE_1)
	s_or_b32 exec_lo, exec_lo, s2
.LBB15_194:
	s_delay_alu instid0(SALU_CYCLE_1)
	s_or_b32 exec_lo, exec_lo, s5
	v_mov_b32_e32 v38, 0
	ds_load_b64 v[38:39], v38 offset:16
	s_waitcnt lgkmcnt(0)
	v_mul_f64 v[38:39], v[98:99], v[38:39]
.LBB15_195:
	s_or_b32 exec_lo, exec_lo, s4
	v_cmp_lt_u32_e64 s0, 1, v0
	ds_store_b64 v100, v[36:37]
	s_waitcnt lgkmcnt(0)
	s_barrier
	buffer_gl0_inv
	s_and_saveexec_b32 s4, s0
	s_cbranch_execz .LBB15_211
; %bb.196:
	s_and_not1_b32 vcc_lo, exec_lo, s18
	s_cbranch_vccnz .LBB15_198
; %bb.197:
	v_cmp_eq_u32_e32 vcc_lo, 1, v0
	v_dual_cndmask_b32 v98, v35, v37 :: v_dual_cndmask_b32 v99, v34, v36
	v_cmp_eq_u32_e32 vcc_lo, 2, v0
	s_delay_alu instid0(VALU_DEP_2) | instskip(SKIP_1) | instid1(VALU_DEP_2)
	v_dual_cndmask_b32 v98, v98, v39 :: v_dual_cndmask_b32 v99, v99, v38
	v_cmp_eq_u32_e32 vcc_lo, 3, v0
	v_dual_cndmask_b32 v98, v98, v41 :: v_dual_cndmask_b32 v99, v99, v40
	v_cmp_eq_u32_e32 vcc_lo, 4, v0
	s_delay_alu instid0(VALU_DEP_2) | instskip(SKIP_1) | instid1(VALU_DEP_2)
	v_dual_cndmask_b32 v98, v98, v43 :: v_dual_cndmask_b32 v99, v99, v42
	;; [unrolled: 5-line block ×5, first 2 shown]
	v_cmp_eq_u32_e32 vcc_lo, 11, v0
	v_dual_cndmask_b32 v98, v98, v57 :: v_dual_cndmask_b32 v99, v99, v56
	v_cmp_eq_u32_e32 vcc_lo, 12, v0
	s_delay_alu instid0(VALU_DEP_2) | instskip(SKIP_4) | instid1(VALU_DEP_2)
	v_dual_cndmask_b32 v101, v98, v59 :: v_dual_cndmask_b32 v102, v99, v58
	v_cmp_eq_u32_e32 vcc_lo, 13, v0
	ds_load_b64 v[98:99], v100
	v_dual_cndmask_b32 v101, v101, v61 :: v_dual_cndmask_b32 v102, v102, v60
	v_cmp_eq_u32_e32 vcc_lo, 14, v0
	v_cndmask_b32_e32 v101, v101, v63, vcc_lo
	s_delay_alu instid0(VALU_DEP_3) | instskip(SKIP_1) | instid1(VALU_DEP_2)
	v_cndmask_b32_e32 v103, v102, v62, vcc_lo
	v_cmp_eq_u32_e32 vcc_lo, 15, v0
	v_dual_cndmask_b32 v102, v101, v65 :: v_dual_cndmask_b32 v101, v103, v64
	s_waitcnt lgkmcnt(0)
	s_delay_alu instid0(VALU_DEP_1)
	v_mul_f64 v[98:99], v[101:102], v[98:99]
	s_cbranch_execz .LBB15_199
	s_branch .LBB15_200
.LBB15_198:
                                        ; implicit-def: $vgpr98_vgpr99
.LBB15_199:
	ds_load_b64 v[98:99], v100
.LBB15_200:
	s_and_saveexec_b32 s5, s1
	s_cbranch_execz .LBB15_210
; %bb.201:
	v_add_nc_u32_e32 v102, -3, v0
	v_add_nc_u32_e32 v101, -2, v0
	s_delay_alu instid0(VALU_DEP_2)
	v_cmp_lt_u32_e32 vcc_lo, 6, v102
	v_mov_b32_e32 v102, 2
	s_and_saveexec_b32 s1, vcc_lo
	s_cbranch_execz .LBB15_205
; %bb.202:
	v_and_b32_e32 v102, -8, v101
	s_mov_b32 s6, 0
	s_mov_b64 s[2:3], 9
	s_movk_i32 s7, 0x90
	s_delay_alu instid0(VALU_DEP_1)
	v_sub_nc_u32_e32 v103, 0, v102
.LBB15_203:                             ; =>This Inner Loop Header: Depth=1
	v_mov_b32_e32 v102, s7
	s_lshl_b32 s8, s2, 1
	s_delay_alu instid0(SALU_CYCLE_1)
	s_add_i32 m0, s8, -13
	v_movrels_b32_e32 v113, v34
	ds_load_b128 v[104:107], v102
	ds_load_b128 v[108:111], v102 offset:16
	s_add_i32 m0, s8, -14
	v_movrels_b32_e32 v112, v34
	s_add_i32 m0, s8, -11
	s_waitcnt lgkmcnt(1)
	s_delay_alu instid0(VALU_DEP_1) | instskip(SKIP_4) | instid1(VALU_DEP_1)
	v_fma_f64 v[98:99], v[112:113], v[104:105], v[98:99]
	v_movrels_b32_e32 v105, v34
	s_add_i32 m0, s8, -12
	v_movrels_b32_e32 v104, v34
	s_add_i32 m0, s8, -9
	v_fma_f64 v[98:99], v[104:105], v[106:107], v[98:99]
	v_movrels_b32_e32 v105, v34
	s_add_i32 m0, s8, -10
	v_movrels_b32_e32 v104, v34
	s_add_i32 m0, s8, -7
	s_waitcnt lgkmcnt(0)
	s_delay_alu instid0(VALU_DEP_1)
	v_fma_f64 v[98:99], v[104:105], v[108:109], v[98:99]
	v_movrels_b32_e32 v105, v34
	s_add_i32 m0, s8, -8
	v_movrels_b32_e32 v104, v34
	s_add_i32 m0, s8, -5
	v_movrels_b32_e32 v113, v34
	s_add_i32 m0, s8, -6
	v_movrels_b32_e32 v112, v34
	s_add_i32 m0, s8, -3
	v_fma_f64 v[98:99], v[104:105], v[110:111], v[98:99]
	ds_load_b128 v[104:107], v102 offset:32
	ds_load_b128 v[108:111], v102 offset:48
	s_waitcnt lgkmcnt(1)
	v_fma_f64 v[98:99], v[112:113], v[104:105], v[98:99]
	v_movrels_b32_e32 v105, v34
	s_add_i32 m0, s8, -4
	v_movrels_b32_e32 v104, v34
	s_add_i32 m0, s8, -1
	s_delay_alu instid0(VALU_DEP_1)
	v_fma_f64 v[98:99], v[104:105], v[106:107], v[98:99]
	v_movrels_b32_e32 v105, v34
	s_add_i32 m0, s8, -2
	s_add_u32 s2, s2, 8
	v_movrels_b32_e32 v104, v34
	s_mov_b32 m0, s8
	v_add_nc_u32_e32 v102, s2, v103
	s_addc_u32 s3, s3, 0
	s_add_i32 s8, s2, -7
	s_add_i32 s7, s7, 64
	s_delay_alu instid0(VALU_DEP_1)
	v_cmp_eq_u32_e32 vcc_lo, 9, v102
	v_mov_b32_e32 v102, s8
	s_or_b32 s6, vcc_lo, s6
	s_waitcnt lgkmcnt(0)
	v_fma_f64 v[98:99], v[104:105], v[108:109], v[98:99]
	v_movrels_b32_e32 v105, v35
	v_movrels_b32_e32 v104, v34
	s_delay_alu instid0(VALU_DEP_1)
	v_fma_f64 v[98:99], v[104:105], v[110:111], v[98:99]
	s_and_not1_b32 exec_lo, exec_lo, s6
	s_cbranch_execnz .LBB15_203
; %bb.204:
	s_or_b32 exec_lo, exec_lo, s6
.LBB15_205:
	s_delay_alu instid0(SALU_CYCLE_1) | instskip(SKIP_3) | instid1(VALU_DEP_1)
	s_or_b32 exec_lo, exec_lo, s1
	v_and_b32_e32 v101, 7, v101
	s_mov_b32 s3, 0
	s_mov_b32 s2, exec_lo
	v_cmpx_ne_u32_e32 0, v101
	s_cbranch_execz .LBB15_209
; %bb.206:
	v_lshl_add_u32 v103, v102, 3, 0x80
	v_mov_b32_e32 v104, 0
.LBB15_207:                             ; =>This Inner Loop Header: Depth=1
	v_cmp_eq_u32_e32 vcc_lo, 1, v102
	v_cmp_eq_u32_e64 s1, 2, v102
	v_add_nc_u32_e32 v101, -1, v101
	v_dual_cndmask_b32 v105, v35, v37 :: v_dual_cndmask_b32 v106, v34, v36
	v_cmp_eq_u32_e32 vcc_lo, 3, v102
	s_delay_alu instid0(VALU_DEP_2) | instskip(NEXT) | instid1(VALU_DEP_3)
	v_cndmask_b32_e64 v105, v105, v39, s1
	v_cndmask_b32_e64 v106, v106, v38, s1
	v_cmp_eq_u32_e64 s1, 4, v102
	s_delay_alu instid0(VALU_DEP_2) | instskip(SKIP_1) | instid1(VALU_DEP_2)
	v_dual_cndmask_b32 v105, v105, v41 :: v_dual_cndmask_b32 v106, v106, v40
	v_cmp_eq_u32_e32 vcc_lo, 5, v102
	v_cndmask_b32_e64 v105, v105, v43, s1
	s_delay_alu instid0(VALU_DEP_3) | instskip(SKIP_1) | instid1(VALU_DEP_2)
	v_cndmask_b32_e64 v106, v106, v42, s1
	v_cmp_eq_u32_e64 s1, 6, v102
	v_dual_cndmask_b32 v105, v105, v45 :: v_dual_cndmask_b32 v106, v106, v44
	v_cmp_eq_u32_e32 vcc_lo, 7, v102
	s_delay_alu instid0(VALU_DEP_2) | instskip(NEXT) | instid1(VALU_DEP_3)
	v_cndmask_b32_e64 v105, v105, v47, s1
	v_cndmask_b32_e64 v106, v106, v46, s1
	v_cmp_eq_u32_e64 s1, 8, v102
	s_delay_alu instid0(VALU_DEP_2) | instskip(SKIP_1) | instid1(VALU_DEP_2)
	v_dual_cndmask_b32 v105, v105, v49 :: v_dual_cndmask_b32 v106, v106, v48
	v_cmp_eq_u32_e32 vcc_lo, 9, v102
	v_cndmask_b32_e64 v105, v105, v51, s1
	s_delay_alu instid0(VALU_DEP_3) | instskip(SKIP_1) | instid1(VALU_DEP_2)
	v_cndmask_b32_e64 v106, v106, v50, s1
	v_cmp_eq_u32_e64 s1, 10, v102
	v_dual_cndmask_b32 v105, v105, v53 :: v_dual_cndmask_b32 v106, v106, v52
	v_cmp_eq_u32_e32 vcc_lo, 11, v102
	s_delay_alu instid0(VALU_DEP_2) | instskip(NEXT) | instid1(VALU_DEP_3)
	v_cndmask_b32_e64 v105, v105, v55, s1
	v_cndmask_b32_e64 v106, v106, v54, s1
	v_cmp_eq_u32_e64 s1, 12, v102
	s_delay_alu instid0(VALU_DEP_2)
	v_dual_cndmask_b32 v107, v105, v57 :: v_dual_cndmask_b32 v108, v106, v56
	ds_load_b64 v[105:106], v103
	v_cmp_eq_u32_e32 vcc_lo, 13, v102
	v_add_nc_u32_e32 v103, 8, v103
	v_cndmask_b32_e64 v107, v107, v59, s1
	v_cndmask_b32_e64 v108, v108, v58, s1
	v_cmp_eq_u32_e64 s1, 14, v102
	s_delay_alu instid0(VALU_DEP_2) | instskip(SKIP_1) | instid1(VALU_DEP_2)
	v_dual_cndmask_b32 v107, v107, v61 :: v_dual_cndmask_b32 v108, v108, v60
	v_cmp_eq_u32_e32 vcc_lo, 15, v102
	v_cndmask_b32_e64 v107, v107, v63, s1
	s_delay_alu instid0(VALU_DEP_3) | instskip(SKIP_1) | instid1(VALU_DEP_1)
	v_cndmask_b32_e64 v109, v108, v62, s1
	v_add_co_u32 v102, s1, v102, 1
	v_add_co_ci_u32_e64 v104, s1, 0, v104, s1
	s_delay_alu instid0(VALU_DEP_3) | instskip(SKIP_2) | instid1(VALU_DEP_2)
	v_dual_cndmask_b32 v108, v107, v65 :: v_dual_cndmask_b32 v107, v109, v64
	v_cmp_eq_u32_e32 vcc_lo, 0, v101
	s_waitcnt lgkmcnt(0)
	v_fma_f64 v[98:99], v[107:108], v[105:106], v[98:99]
	s_or_b32 s3, vcc_lo, s3
	s_delay_alu instid0(SALU_CYCLE_1)
	s_and_not1_b32 exec_lo, exec_lo, s3
	s_cbranch_execnz .LBB15_207
; %bb.208:
	s_or_b32 exec_lo, exec_lo, s3
.LBB15_209:
	s_delay_alu instid0(SALU_CYCLE_1)
	s_or_b32 exec_lo, exec_lo, s2
.LBB15_210:
	s_delay_alu instid0(SALU_CYCLE_1)
	s_or_b32 exec_lo, exec_lo, s5
	v_mov_b32_e32 v36, 0
	ds_load_b64 v[36:37], v36 offset:8
	s_waitcnt lgkmcnt(0)
	v_mul_f64 v[36:37], v[98:99], v[36:37]
.LBB15_211:
	s_or_b32 exec_lo, exec_lo, s4
	s_mov_b32 s2, 0
	s_mov_b32 s3, exec_lo
	ds_store_b64 v100, v[34:35]
	s_waitcnt lgkmcnt(0)
	s_barrier
	buffer_gl0_inv
	v_cmpx_ne_u32_e32 0, v0
	s_cbranch_execz .LBB15_227
; %bb.212:
	s_and_not1_b32 vcc_lo, exec_lo, s18
	s_cbranch_vccnz .LBB15_214
; %bb.213:
	v_cmp_eq_u32_e32 vcc_lo, 1, v0
	v_dual_cndmask_b32 v98, v35, v37 :: v_dual_cndmask_b32 v99, v34, v36
	v_cmp_eq_u32_e32 vcc_lo, 2, v0
	s_delay_alu instid0(VALU_DEP_2) | instskip(SKIP_1) | instid1(VALU_DEP_2)
	v_dual_cndmask_b32 v98, v98, v39 :: v_dual_cndmask_b32 v99, v99, v38
	v_cmp_eq_u32_e32 vcc_lo, 3, v0
	v_dual_cndmask_b32 v98, v98, v41 :: v_dual_cndmask_b32 v99, v99, v40
	v_cmp_eq_u32_e32 vcc_lo, 4, v0
	s_delay_alu instid0(VALU_DEP_2) | instskip(SKIP_1) | instid1(VALU_DEP_2)
	v_dual_cndmask_b32 v98, v98, v43 :: v_dual_cndmask_b32 v99, v99, v42
	;; [unrolled: 5-line block ×5, first 2 shown]
	v_cmp_eq_u32_e32 vcc_lo, 11, v0
	v_dual_cndmask_b32 v98, v98, v57 :: v_dual_cndmask_b32 v99, v99, v56
	v_cmp_eq_u32_e32 vcc_lo, 12, v0
	s_delay_alu instid0(VALU_DEP_2) | instskip(SKIP_4) | instid1(VALU_DEP_2)
	v_dual_cndmask_b32 v101, v98, v59 :: v_dual_cndmask_b32 v102, v99, v58
	v_cmp_eq_u32_e32 vcc_lo, 13, v0
	ds_load_b64 v[98:99], v100
	v_dual_cndmask_b32 v101, v101, v61 :: v_dual_cndmask_b32 v102, v102, v60
	v_cmp_eq_u32_e32 vcc_lo, 14, v0
	v_cndmask_b32_e32 v101, v101, v63, vcc_lo
	s_delay_alu instid0(VALU_DEP_3) | instskip(SKIP_1) | instid1(VALU_DEP_2)
	v_cndmask_b32_e32 v103, v102, v62, vcc_lo
	v_cmp_eq_u32_e32 vcc_lo, 15, v0
	v_dual_cndmask_b32 v102, v101, v65 :: v_dual_cndmask_b32 v101, v103, v64
	s_waitcnt lgkmcnt(0)
	s_delay_alu instid0(VALU_DEP_1)
	v_mul_f64 v[98:99], v[101:102], v[98:99]
	s_cbranch_execz .LBB15_215
	s_branch .LBB15_216
.LBB15_214:
                                        ; implicit-def: $vgpr98_vgpr99
.LBB15_215:
	ds_load_b64 v[98:99], v100
.LBB15_216:
	s_and_saveexec_b32 s4, s0
	s_cbranch_execz .LBB15_226
; %bb.217:
	v_add_nc_u32_e32 v102, -2, v0
	v_add_nc_u32_e32 v101, -1, v0
	s_delay_alu instid0(VALU_DEP_2)
	v_cmp_lt_u32_e32 vcc_lo, 6, v102
	v_mov_b32_e32 v102, 1
	s_and_saveexec_b32 s5, vcc_lo
	s_cbranch_execz .LBB15_221
; %bb.218:
	v_and_b32_e32 v102, -8, v101
	s_mov_b32 s6, 0
	s_mov_b64 s[0:1], 8
	s_movk_i32 s7, 0x88
	s_delay_alu instid0(VALU_DEP_1)
	v_sub_nc_u32_e32 v103, 0, v102
.LBB15_219:                             ; =>This Inner Loop Header: Depth=1
	v_mov_b32_e32 v102, s7
	s_lshl_b32 s8, s0, 1
	s_delay_alu instid0(SALU_CYCLE_1)
	s_add_i32 m0, s8, -13
	v_movrels_b32_e32 v113, v34
	ds_load_2addr_b64 v[104:107], v102 offset1:1
	ds_load_2addr_b64 v[108:111], v102 offset0:2 offset1:3
	s_add_i32 m0, s8, -14
	v_movrels_b32_e32 v112, v34
	s_add_i32 m0, s8, -11
	s_waitcnt lgkmcnt(1)
	s_delay_alu instid0(VALU_DEP_1) | instskip(SKIP_4) | instid1(VALU_DEP_1)
	v_fma_f64 v[98:99], v[112:113], v[104:105], v[98:99]
	v_movrels_b32_e32 v105, v34
	s_add_i32 m0, s8, -12
	v_movrels_b32_e32 v104, v34
	s_add_i32 m0, s8, -9
	v_fma_f64 v[98:99], v[104:105], v[106:107], v[98:99]
	v_movrels_b32_e32 v105, v34
	s_add_i32 m0, s8, -10
	v_movrels_b32_e32 v104, v34
	s_add_i32 m0, s8, -7
	s_waitcnt lgkmcnt(0)
	s_delay_alu instid0(VALU_DEP_1)
	v_fma_f64 v[98:99], v[104:105], v[108:109], v[98:99]
	v_movrels_b32_e32 v105, v34
	s_add_i32 m0, s8, -8
	v_movrels_b32_e32 v104, v34
	s_add_i32 m0, s8, -5
	;; [unrolled: 2-line block ×4, first 2 shown]
	v_fma_f64 v[98:99], v[104:105], v[110:111], v[98:99]
	ds_load_2addr_b64 v[104:107], v102 offset0:4 offset1:5
	ds_load_2addr_b64 v[108:111], v102 offset0:6 offset1:7
	s_waitcnt lgkmcnt(1)
	v_fma_f64 v[98:99], v[112:113], v[104:105], v[98:99]
	v_movrels_b32_e32 v105, v34
	s_add_i32 m0, s8, -4
	v_movrels_b32_e32 v104, v34
	s_add_i32 m0, s8, -1
	s_delay_alu instid0(VALU_DEP_1)
	v_fma_f64 v[98:99], v[104:105], v[106:107], v[98:99]
	v_movrels_b32_e32 v105, v34
	s_add_i32 m0, s8, -2
	s_add_u32 s0, s0, 8
	v_movrels_b32_e32 v104, v34
	s_mov_b32 m0, s8
	v_add_nc_u32_e32 v102, s0, v103
	s_addc_u32 s1, s1, 0
	s_add_i32 s8, s0, -7
	s_add_i32 s7, s7, 64
	s_delay_alu instid0(VALU_DEP_1)
	v_cmp_eq_u32_e32 vcc_lo, 8, v102
	v_mov_b32_e32 v102, s8
	s_or_b32 s6, vcc_lo, s6
	s_waitcnt lgkmcnt(0)
	v_fma_f64 v[98:99], v[104:105], v[108:109], v[98:99]
	v_movrels_b32_e32 v105, v35
	v_movrels_b32_e32 v104, v34
	s_delay_alu instid0(VALU_DEP_1)
	v_fma_f64 v[98:99], v[104:105], v[110:111], v[98:99]
	s_and_not1_b32 exec_lo, exec_lo, s6
	s_cbranch_execnz .LBB15_219
; %bb.220:
	s_or_b32 exec_lo, exec_lo, s6
.LBB15_221:
	s_delay_alu instid0(SALU_CYCLE_1) | instskip(SKIP_3) | instid1(VALU_DEP_1)
	s_or_b32 exec_lo, exec_lo, s5
	v_and_b32_e32 v101, 7, v101
	s_mov_b32 s5, 0
	s_mov_b32 s1, exec_lo
	v_cmpx_ne_u32_e32 0, v101
	s_cbranch_execz .LBB15_225
; %bb.222:
	v_lshl_add_u32 v103, v102, 3, 0x80
	v_mov_b32_e32 v104, 0
.LBB15_223:                             ; =>This Inner Loop Header: Depth=1
	v_cmp_eq_u32_e32 vcc_lo, 1, v102
	v_cmp_eq_u32_e64 s0, 2, v102
	v_add_nc_u32_e32 v101, -1, v101
	v_dual_cndmask_b32 v105, v35, v37 :: v_dual_cndmask_b32 v106, v34, v36
	v_cmp_eq_u32_e32 vcc_lo, 3, v102
	s_delay_alu instid0(VALU_DEP_2) | instskip(NEXT) | instid1(VALU_DEP_3)
	v_cndmask_b32_e64 v105, v105, v39, s0
	v_cndmask_b32_e64 v106, v106, v38, s0
	v_cmp_eq_u32_e64 s0, 4, v102
	s_delay_alu instid0(VALU_DEP_2) | instskip(SKIP_1) | instid1(VALU_DEP_2)
	v_dual_cndmask_b32 v105, v105, v41 :: v_dual_cndmask_b32 v106, v106, v40
	v_cmp_eq_u32_e32 vcc_lo, 5, v102
	v_cndmask_b32_e64 v105, v105, v43, s0
	s_delay_alu instid0(VALU_DEP_3) | instskip(SKIP_1) | instid1(VALU_DEP_2)
	v_cndmask_b32_e64 v106, v106, v42, s0
	v_cmp_eq_u32_e64 s0, 6, v102
	v_dual_cndmask_b32 v105, v105, v45 :: v_dual_cndmask_b32 v106, v106, v44
	v_cmp_eq_u32_e32 vcc_lo, 7, v102
	s_delay_alu instid0(VALU_DEP_2) | instskip(NEXT) | instid1(VALU_DEP_3)
	v_cndmask_b32_e64 v105, v105, v47, s0
	v_cndmask_b32_e64 v106, v106, v46, s0
	v_cmp_eq_u32_e64 s0, 8, v102
	s_delay_alu instid0(VALU_DEP_2) | instskip(SKIP_1) | instid1(VALU_DEP_2)
	v_dual_cndmask_b32 v105, v105, v49 :: v_dual_cndmask_b32 v106, v106, v48
	v_cmp_eq_u32_e32 vcc_lo, 9, v102
	v_cndmask_b32_e64 v105, v105, v51, s0
	s_delay_alu instid0(VALU_DEP_3) | instskip(SKIP_1) | instid1(VALU_DEP_2)
	v_cndmask_b32_e64 v106, v106, v50, s0
	v_cmp_eq_u32_e64 s0, 10, v102
	v_dual_cndmask_b32 v105, v105, v53 :: v_dual_cndmask_b32 v106, v106, v52
	v_cmp_eq_u32_e32 vcc_lo, 11, v102
	s_delay_alu instid0(VALU_DEP_2) | instskip(NEXT) | instid1(VALU_DEP_3)
	v_cndmask_b32_e64 v105, v105, v55, s0
	v_cndmask_b32_e64 v106, v106, v54, s0
	v_cmp_eq_u32_e64 s0, 12, v102
	s_delay_alu instid0(VALU_DEP_2)
	v_dual_cndmask_b32 v107, v105, v57 :: v_dual_cndmask_b32 v108, v106, v56
	ds_load_b64 v[105:106], v103
	v_cmp_eq_u32_e32 vcc_lo, 13, v102
	v_add_nc_u32_e32 v103, 8, v103
	v_cndmask_b32_e64 v107, v107, v59, s0
	v_cndmask_b32_e64 v108, v108, v58, s0
	v_cmp_eq_u32_e64 s0, 14, v102
	s_delay_alu instid0(VALU_DEP_2) | instskip(SKIP_1) | instid1(VALU_DEP_2)
	v_dual_cndmask_b32 v107, v107, v61 :: v_dual_cndmask_b32 v108, v108, v60
	v_cmp_eq_u32_e32 vcc_lo, 15, v102
	v_cndmask_b32_e64 v107, v107, v63, s0
	s_delay_alu instid0(VALU_DEP_3) | instskip(SKIP_1) | instid1(VALU_DEP_1)
	v_cndmask_b32_e64 v109, v108, v62, s0
	v_add_co_u32 v102, s0, v102, 1
	v_add_co_ci_u32_e64 v104, s0, 0, v104, s0
	s_delay_alu instid0(VALU_DEP_3) | instskip(SKIP_2) | instid1(VALU_DEP_2)
	v_dual_cndmask_b32 v108, v107, v65 :: v_dual_cndmask_b32 v107, v109, v64
	v_cmp_eq_u32_e32 vcc_lo, 0, v101
	s_waitcnt lgkmcnt(0)
	v_fma_f64 v[98:99], v[107:108], v[105:106], v[98:99]
	s_or_b32 s5, vcc_lo, s5
	s_delay_alu instid0(SALU_CYCLE_1)
	s_and_not1_b32 exec_lo, exec_lo, s5
	s_cbranch_execnz .LBB15_223
; %bb.224:
	s_or_b32 exec_lo, exec_lo, s5
.LBB15_225:
	s_delay_alu instid0(SALU_CYCLE_1)
	s_or_b32 exec_lo, exec_lo, s1
.LBB15_226:
	s_delay_alu instid0(SALU_CYCLE_1)
	s_or_b32 exec_lo, exec_lo, s4
	v_mov_b32_e32 v34, 0
	ds_load_b64 v[34:35], v34
	s_waitcnt lgkmcnt(0)
	v_mul_f64 v[34:35], v[98:99], v[34:35]
.LBB15_227:
	s_or_b32 exec_lo, exec_lo, s3
	s_delay_alu instid0(SALU_CYCLE_1)
	s_and_b32 vcc_lo, exec_lo, s2
	s_cbranch_vccz .LBB15_385
.LBB15_228:
	v_cmp_eq_u32_e64 s0, 0, v0
	s_waitcnt vmcnt(15)
	ds_store_b64 v100, v[4:5]
	s_waitcnt vmcnt(0) lgkmcnt(0)
	s_barrier
	buffer_gl0_inv
	s_and_saveexec_b32 s1, s0
	s_cbranch_execz .LBB15_234
; %bb.229:
	s_and_b32 vcc_lo, exec_lo, s18
	s_cbranch_vccz .LBB15_231
; %bb.230:
	v_cmp_eq_u32_e32 vcc_lo, 1, v0
	v_dual_cndmask_b32 v5, v3, v5 :: v_dual_cndmask_b32 v4, v2, v4
	v_cmp_eq_u32_e32 vcc_lo, 2, v0
	s_delay_alu instid0(VALU_DEP_2) | instskip(SKIP_1) | instid1(VALU_DEP_2)
	v_dual_cndmask_b32 v5, v5, v7 :: v_dual_cndmask_b32 v4, v4, v6
	v_cmp_eq_u32_e32 vcc_lo, 3, v0
	v_dual_cndmask_b32 v5, v5, v9 :: v_dual_cndmask_b32 v4, v4, v8
	v_cmp_eq_u32_e32 vcc_lo, 4, v0
	s_delay_alu instid0(VALU_DEP_2) | instskip(SKIP_1) | instid1(VALU_DEP_2)
	v_dual_cndmask_b32 v5, v5, v11 :: v_dual_cndmask_b32 v4, v4, v10
	;; [unrolled: 5-line block ×5, first 2 shown]
	v_cmp_eq_u32_e32 vcc_lo, 11, v0
	v_dual_cndmask_b32 v5, v5, v25 :: v_dual_cndmask_b32 v4, v4, v24
	v_cmp_eq_u32_e32 vcc_lo, 12, v0
	s_delay_alu instid0(VALU_DEP_2) | instskip(SKIP_4) | instid1(VALU_DEP_2)
	v_dual_cndmask_b32 v34, v5, v27 :: v_dual_cndmask_b32 v35, v4, v26
	v_cmp_eq_u32_e32 vcc_lo, 13, v0
	ds_load_b64 v[4:5], v100
	v_dual_cndmask_b32 v34, v34, v29 :: v_dual_cndmask_b32 v35, v35, v28
	v_cmp_eq_u32_e32 vcc_lo, 14, v0
	v_cndmask_b32_e32 v34, v34, v31, vcc_lo
	s_delay_alu instid0(VALU_DEP_3) | instskip(SKIP_1) | instid1(VALU_DEP_2)
	v_cndmask_b32_e32 v36, v35, v30, vcc_lo
	v_cmp_eq_u32_e32 vcc_lo, 15, v0
	v_dual_cndmask_b32 v35, v34, v33 :: v_dual_cndmask_b32 v34, v36, v32
	s_waitcnt lgkmcnt(0)
	s_delay_alu instid0(VALU_DEP_1)
	v_mul_f64 v[4:5], v[34:35], v[4:5]
	s_cbranch_execz .LBB15_232
	s_branch .LBB15_233
.LBB15_231:
                                        ; implicit-def: $vgpr4_vgpr5
.LBB15_232:
	ds_load_b64 v[4:5], v100
.LBB15_233:
	v_mov_b32_e32 v34, 0
	ds_load_b64 v[34:35], v34 offset:8
	s_waitcnt lgkmcnt(0)
	v_mul_f64 v[4:5], v[4:5], v[34:35]
.LBB15_234:
	s_or_b32 exec_lo, exec_lo, s1
	v_add_nc_u32_e32 v39, 1, v0
	v_cndmask_b32_e64 v38, 0, 1, s18
	s_mov_b32 s1, exec_lo
	ds_store_b64 v100, v[6:7]
	s_waitcnt lgkmcnt(0)
	s_barrier
	buffer_gl0_inv
	v_cmpx_gt_u32_e32 2, v0
	s_cbranch_execz .LBB15_242
; %bb.235:
	s_and_not1_b32 vcc_lo, exec_lo, s18
	s_cbranch_vccnz .LBB15_237
; %bb.236:
	v_cmp_eq_u32_e32 vcc_lo, 1, v0
	v_dual_cndmask_b32 v34, v3, v5 :: v_dual_cndmask_b32 v35, v2, v4
	v_cmp_eq_u32_e32 vcc_lo, 2, v0
	s_delay_alu instid0(VALU_DEP_2) | instskip(SKIP_1) | instid1(VALU_DEP_2)
	v_dual_cndmask_b32 v34, v34, v7 :: v_dual_cndmask_b32 v35, v35, v6
	v_cmp_eq_u32_e32 vcc_lo, 3, v0
	v_dual_cndmask_b32 v34, v34, v9 :: v_dual_cndmask_b32 v35, v35, v8
	v_cmp_eq_u32_e32 vcc_lo, 4, v0
	s_delay_alu instid0(VALU_DEP_2) | instskip(SKIP_1) | instid1(VALU_DEP_2)
	v_dual_cndmask_b32 v34, v34, v11 :: v_dual_cndmask_b32 v35, v35, v10
	v_cmp_eq_u32_e32 vcc_lo, 5, v0
	v_dual_cndmask_b32 v34, v34, v13 :: v_dual_cndmask_b32 v35, v35, v12
	v_cmp_eq_u32_e32 vcc_lo, 6, v0
	s_delay_alu instid0(VALU_DEP_2) | instskip(SKIP_1) | instid1(VALU_DEP_2)
	v_dual_cndmask_b32 v34, v34, v15 :: v_dual_cndmask_b32 v35, v35, v14
	v_cmp_eq_u32_e32 vcc_lo, 7, v0
	v_dual_cndmask_b32 v34, v34, v17 :: v_dual_cndmask_b32 v35, v35, v16
	v_cmp_eq_u32_e32 vcc_lo, 8, v0
	s_delay_alu instid0(VALU_DEP_2) | instskip(SKIP_1) | instid1(VALU_DEP_2)
	v_dual_cndmask_b32 v34, v34, v19 :: v_dual_cndmask_b32 v35, v35, v18
	v_cmp_eq_u32_e32 vcc_lo, 9, v0
	v_dual_cndmask_b32 v34, v34, v21 :: v_dual_cndmask_b32 v35, v35, v20
	v_cmp_eq_u32_e32 vcc_lo, 10, v0
	s_delay_alu instid0(VALU_DEP_2) | instskip(SKIP_1) | instid1(VALU_DEP_2)
	v_dual_cndmask_b32 v34, v34, v23 :: v_dual_cndmask_b32 v35, v35, v22
	v_cmp_eq_u32_e32 vcc_lo, 11, v0
	v_dual_cndmask_b32 v34, v34, v25 :: v_dual_cndmask_b32 v35, v35, v24
	v_cmp_eq_u32_e32 vcc_lo, 12, v0
	s_delay_alu instid0(VALU_DEP_2) | instskip(SKIP_4) | instid1(VALU_DEP_2)
	v_dual_cndmask_b32 v36, v34, v27 :: v_dual_cndmask_b32 v37, v35, v26
	v_cmp_eq_u32_e32 vcc_lo, 13, v0
	ds_load_b64 v[34:35], v100
	v_dual_cndmask_b32 v36, v36, v29 :: v_dual_cndmask_b32 v37, v37, v28
	v_cmp_eq_u32_e32 vcc_lo, 14, v0
	v_cndmask_b32_e32 v36, v36, v31, vcc_lo
	s_delay_alu instid0(VALU_DEP_3) | instskip(SKIP_1) | instid1(VALU_DEP_3)
	v_cndmask_b32_e32 v40, v37, v30, vcc_lo
	v_cmp_eq_u32_e32 vcc_lo, 15, v0
	v_cndmask_b32_e32 v37, v36, v33, vcc_lo
	s_delay_alu instid0(VALU_DEP_3) | instskip(SKIP_1) | instid1(VALU_DEP_1)
	v_cndmask_b32_e32 v36, v40, v32, vcc_lo
	s_waitcnt lgkmcnt(0)
	v_mul_f64 v[34:35], v[36:37], v[34:35]
	s_cbranch_execz .LBB15_238
	s_branch .LBB15_239
.LBB15_237:
                                        ; implicit-def: $vgpr34_vgpr35
.LBB15_238:
	ds_load_b64 v[34:35], v100
.LBB15_239:
	s_and_saveexec_b32 s2, s0
	s_cbranch_execz .LBB15_241
; %bb.240:
	v_cmp_eq_u32_e32 vcc_lo, 1, v39
	v_dual_cndmask_b32 v36, v3, v5 :: v_dual_cndmask_b32 v37, v2, v4
	v_cmp_eq_u32_e32 vcc_lo, 2, v39
	s_delay_alu instid0(VALU_DEP_2) | instskip(SKIP_1) | instid1(VALU_DEP_2)
	v_dual_cndmask_b32 v7, v36, v7 :: v_dual_cndmask_b32 v6, v37, v6
	v_cmp_eq_u32_e32 vcc_lo, 3, v39
	v_dual_cndmask_b32 v7, v7, v9 :: v_dual_cndmask_b32 v6, v6, v8
	v_cmp_eq_u32_e32 vcc_lo, 4, v39
	s_delay_alu instid0(VALU_DEP_2) | instskip(SKIP_1) | instid1(VALU_DEP_2)
	v_dual_cndmask_b32 v7, v7, v11 :: v_dual_cndmask_b32 v6, v6, v10
	;; [unrolled: 5-line block ×5, first 2 shown]
	v_cmp_eq_u32_e32 vcc_lo, 11, v39
	v_dual_cndmask_b32 v7, v7, v25 :: v_dual_cndmask_b32 v6, v6, v24
	v_cmp_eq_u32_e32 vcc_lo, 12, v39
	s_delay_alu instid0(VALU_DEP_2) | instskip(SKIP_4) | instid1(VALU_DEP_2)
	v_dual_cndmask_b32 v36, v7, v27 :: v_dual_cndmask_b32 v37, v6, v26
	v_cmp_eq_u32_e32 vcc_lo, 13, v39
	ds_load_b64 v[6:7], v100 offset:8
	v_dual_cndmask_b32 v36, v36, v29 :: v_dual_cndmask_b32 v37, v37, v28
	v_cmp_eq_u32_e32 vcc_lo, 14, v39
	v_cndmask_b32_e32 v36, v36, v31, vcc_lo
	s_delay_alu instid0(VALU_DEP_3) | instskip(SKIP_1) | instid1(VALU_DEP_3)
	v_cndmask_b32_e32 v40, v37, v30, vcc_lo
	v_cmp_eq_u32_e32 vcc_lo, 15, v39
	v_cndmask_b32_e32 v37, v36, v33, vcc_lo
	s_delay_alu instid0(VALU_DEP_3) | instskip(SKIP_1) | instid1(VALU_DEP_1)
	v_cndmask_b32_e32 v36, v40, v32, vcc_lo
	s_waitcnt lgkmcnt(0)
	v_fma_f64 v[34:35], v[36:37], v[6:7], v[34:35]
.LBB15_241:
	s_or_b32 exec_lo, exec_lo, s2
	v_mov_b32_e32 v6, 0
	ds_load_b64 v[6:7], v6 offset:16
	s_waitcnt lgkmcnt(0)
	v_mul_f64 v[6:7], v[34:35], v[6:7]
.LBB15_242:
	s_or_b32 exec_lo, exec_lo, s1
	v_cmp_gt_u32_e64 s1, 3, v0
	ds_store_b64 v100, v[8:9]
	s_waitcnt lgkmcnt(0)
	s_barrier
	buffer_gl0_inv
	s_and_saveexec_b32 s2, s1
	s_cbranch_execz .LBB15_252
; %bb.243:
	v_cmp_ne_u32_e32 vcc_lo, 1, v38
	s_cbranch_vccnz .LBB15_245
; %bb.244:
	v_cmp_eq_u32_e32 vcc_lo, 1, v0
	v_dual_cndmask_b32 v34, v3, v5 :: v_dual_cndmask_b32 v35, v2, v4
	v_cmp_eq_u32_e32 vcc_lo, 2, v0
	s_delay_alu instid0(VALU_DEP_2) | instskip(SKIP_1) | instid1(VALU_DEP_2)
	v_dual_cndmask_b32 v34, v34, v7 :: v_dual_cndmask_b32 v35, v35, v6
	v_cmp_eq_u32_e32 vcc_lo, 3, v0
	v_dual_cndmask_b32 v34, v34, v9 :: v_dual_cndmask_b32 v35, v35, v8
	v_cmp_eq_u32_e32 vcc_lo, 4, v0
	s_delay_alu instid0(VALU_DEP_2) | instskip(SKIP_1) | instid1(VALU_DEP_2)
	v_dual_cndmask_b32 v34, v34, v11 :: v_dual_cndmask_b32 v35, v35, v10
	;; [unrolled: 5-line block ×5, first 2 shown]
	v_cmp_eq_u32_e32 vcc_lo, 11, v0
	v_dual_cndmask_b32 v34, v34, v25 :: v_dual_cndmask_b32 v35, v35, v24
	v_cmp_eq_u32_e32 vcc_lo, 12, v0
	s_delay_alu instid0(VALU_DEP_2) | instskip(SKIP_4) | instid1(VALU_DEP_2)
	v_dual_cndmask_b32 v36, v34, v27 :: v_dual_cndmask_b32 v37, v35, v26
	v_cmp_eq_u32_e32 vcc_lo, 13, v0
	ds_load_b64 v[34:35], v100
	v_dual_cndmask_b32 v36, v36, v29 :: v_dual_cndmask_b32 v37, v37, v28
	v_cmp_eq_u32_e32 vcc_lo, 14, v0
	v_cndmask_b32_e32 v36, v36, v31, vcc_lo
	s_delay_alu instid0(VALU_DEP_3) | instskip(SKIP_1) | instid1(VALU_DEP_3)
	v_cndmask_b32_e32 v40, v37, v30, vcc_lo
	v_cmp_eq_u32_e32 vcc_lo, 15, v0
	v_cndmask_b32_e32 v37, v36, v33, vcc_lo
	s_delay_alu instid0(VALU_DEP_3) | instskip(SKIP_1) | instid1(VALU_DEP_1)
	v_cndmask_b32_e32 v36, v40, v32, vcc_lo
	s_waitcnt lgkmcnt(0)
	v_mul_f64 v[34:35], v[36:37], v[34:35]
	s_cbranch_execz .LBB15_246
	s_branch .LBB15_247
.LBB15_245:
                                        ; implicit-def: $vgpr34_vgpr35
.LBB15_246:
	ds_load_b64 v[34:35], v100
.LBB15_247:
	s_mov_b32 s3, exec_lo
	v_cmpx_ne_u32_e32 2, v0
	s_cbranch_execz .LBB15_251
; %bb.248:
	v_cmp_eq_u32_e32 vcc_lo, 1, v39
	v_dual_cndmask_b32 v36, v3, v5 :: v_dual_cndmask_b32 v37, v2, v4
	v_cmp_eq_u32_e32 vcc_lo, 2, v39
	s_delay_alu instid0(VALU_DEP_2) | instskip(SKIP_1) | instid1(VALU_DEP_2)
	v_dual_cndmask_b32 v36, v36, v7 :: v_dual_cndmask_b32 v37, v37, v6
	v_cmp_eq_u32_e32 vcc_lo, 3, v39
	v_dual_cndmask_b32 v9, v36, v9 :: v_dual_cndmask_b32 v8, v37, v8
	v_cmp_eq_u32_e32 vcc_lo, 4, v39
	s_delay_alu instid0(VALU_DEP_2) | instskip(SKIP_1) | instid1(VALU_DEP_2)
	v_dual_cndmask_b32 v9, v9, v11 :: v_dual_cndmask_b32 v8, v8, v10
	;; [unrolled: 5-line block ×5, first 2 shown]
	v_cmp_eq_u32_e32 vcc_lo, 11, v39
	v_dual_cndmask_b32 v9, v9, v25 :: v_dual_cndmask_b32 v8, v8, v24
	v_cmp_eq_u32_e32 vcc_lo, 12, v39
	s_delay_alu instid0(VALU_DEP_2) | instskip(SKIP_4) | instid1(VALU_DEP_2)
	v_dual_cndmask_b32 v36, v9, v27 :: v_dual_cndmask_b32 v37, v8, v26
	v_cmp_eq_u32_e32 vcc_lo, 13, v39
	ds_load_b64 v[8:9], v100 offset:8
	v_dual_cndmask_b32 v36, v36, v29 :: v_dual_cndmask_b32 v37, v37, v28
	v_cmp_eq_u32_e32 vcc_lo, 14, v39
	v_cndmask_b32_e32 v36, v36, v31, vcc_lo
	s_delay_alu instid0(VALU_DEP_3) | instskip(SKIP_1) | instid1(VALU_DEP_3)
	v_cndmask_b32_e32 v40, v37, v30, vcc_lo
	v_cmp_eq_u32_e32 vcc_lo, 15, v39
	v_cndmask_b32_e32 v37, v36, v33, vcc_lo
	s_delay_alu instid0(VALU_DEP_3) | instskip(SKIP_1) | instid1(VALU_DEP_1)
	v_cndmask_b32_e32 v36, v40, v32, vcc_lo
	s_waitcnt lgkmcnt(0)
	v_fma_f64 v[34:35], v[36:37], v[8:9], v[34:35]
	s_and_saveexec_b32 s4, s0
	s_cbranch_execz .LBB15_250
; %bb.249:
	v_mov_b32_e32 v8, 0
	ds_load_b64 v[8:9], v8 offset:144
	s_waitcnt lgkmcnt(0)
	v_fma_f64 v[34:35], v[6:7], v[8:9], v[34:35]
.LBB15_250:
	s_or_b32 exec_lo, exec_lo, s4
.LBB15_251:
	s_delay_alu instid0(SALU_CYCLE_1)
	s_or_b32 exec_lo, exec_lo, s3
	v_mov_b32_e32 v8, 0
	ds_load_b64 v[8:9], v8 offset:24
	s_waitcnt lgkmcnt(0)
	v_mul_f64 v[8:9], v[34:35], v[8:9]
.LBB15_252:
	s_or_b32 exec_lo, exec_lo, s2
	s_delay_alu instid0(SALU_CYCLE_1)
	s_mov_b32 s3, exec_lo
	ds_store_b64 v100, v[10:11]
	s_waitcnt lgkmcnt(0)
	s_barrier
	buffer_gl0_inv
	v_cmpx_gt_u32_e32 4, v0
	s_cbranch_execz .LBB15_262
; %bb.253:
	v_cmp_ne_u32_e32 vcc_lo, 1, v38
	s_cbranch_vccnz .LBB15_255
; %bb.254:
	v_cmp_eq_u32_e32 vcc_lo, 1, v0
	v_dual_cndmask_b32 v34, v3, v5 :: v_dual_cndmask_b32 v35, v2, v4
	v_cmp_eq_u32_e32 vcc_lo, 2, v0
	s_delay_alu instid0(VALU_DEP_2) | instskip(SKIP_1) | instid1(VALU_DEP_2)
	v_dual_cndmask_b32 v34, v34, v7 :: v_dual_cndmask_b32 v35, v35, v6
	v_cmp_eq_u32_e32 vcc_lo, 3, v0
	v_dual_cndmask_b32 v34, v34, v9 :: v_dual_cndmask_b32 v35, v35, v8
	v_cmp_eq_u32_e32 vcc_lo, 4, v0
	s_delay_alu instid0(VALU_DEP_2) | instskip(SKIP_1) | instid1(VALU_DEP_2)
	v_dual_cndmask_b32 v34, v34, v11 :: v_dual_cndmask_b32 v35, v35, v10
	;; [unrolled: 5-line block ×5, first 2 shown]
	v_cmp_eq_u32_e32 vcc_lo, 11, v0
	v_dual_cndmask_b32 v34, v34, v25 :: v_dual_cndmask_b32 v35, v35, v24
	v_cmp_eq_u32_e32 vcc_lo, 12, v0
	s_delay_alu instid0(VALU_DEP_2) | instskip(SKIP_4) | instid1(VALU_DEP_2)
	v_dual_cndmask_b32 v36, v34, v27 :: v_dual_cndmask_b32 v37, v35, v26
	v_cmp_eq_u32_e32 vcc_lo, 13, v0
	ds_load_b64 v[34:35], v100
	v_dual_cndmask_b32 v36, v36, v29 :: v_dual_cndmask_b32 v37, v37, v28
	v_cmp_eq_u32_e32 vcc_lo, 14, v0
	v_cndmask_b32_e32 v36, v36, v31, vcc_lo
	s_delay_alu instid0(VALU_DEP_3) | instskip(SKIP_1) | instid1(VALU_DEP_3)
	v_cndmask_b32_e32 v40, v37, v30, vcc_lo
	v_cmp_eq_u32_e32 vcc_lo, 15, v0
	v_cndmask_b32_e32 v37, v36, v33, vcc_lo
	s_delay_alu instid0(VALU_DEP_3) | instskip(SKIP_1) | instid1(VALU_DEP_1)
	v_cndmask_b32_e32 v36, v40, v32, vcc_lo
	s_waitcnt lgkmcnt(0)
	v_mul_f64 v[34:35], v[36:37], v[34:35]
	s_cbranch_execz .LBB15_256
	s_branch .LBB15_257
.LBB15_255:
                                        ; implicit-def: $vgpr34_vgpr35
.LBB15_256:
	ds_load_b64 v[34:35], v100
.LBB15_257:
	s_mov_b32 s4, exec_lo
	v_cmpx_ne_u32_e32 3, v0
	s_cbranch_execz .LBB15_261
; %bb.258:
	v_lshl_add_u32 v40, v0, 3, 0x88
	v_dual_mov_b32 v37, v1 :: v_dual_mov_b32 v36, v0
	s_mov_b32 s5, 0
.LBB15_259:                             ; =>This Inner Loop Header: Depth=1
	s_delay_alu instid0(VALU_DEP_1) | instskip(NEXT) | instid1(VALU_DEP_2)
	v_add_co_u32 v36, vcc_lo, v36, 1
	v_add_co_ci_u32_e32 v37, vcc_lo, 0, v37, vcc_lo
	s_delay_alu instid0(VALU_DEP_2) | instskip(SKIP_3) | instid1(VALU_DEP_2)
	v_cmp_eq_u32_e32 vcc_lo, 1, v36
	v_cmp_eq_u32_e64 s2, 2, v36
	v_dual_cndmask_b32 v41, v3, v5 :: v_dual_cndmask_b32 v42, v2, v4
	v_cmp_eq_u32_e32 vcc_lo, 3, v36
	v_cndmask_b32_e64 v41, v41, v7, s2
	s_delay_alu instid0(VALU_DEP_3) | instskip(SKIP_1) | instid1(VALU_DEP_2)
	v_cndmask_b32_e64 v42, v42, v6, s2
	v_cmp_eq_u32_e64 s2, 4, v36
	v_dual_cndmask_b32 v41, v41, v9 :: v_dual_cndmask_b32 v42, v42, v8
	v_cmp_eq_u32_e32 vcc_lo, 5, v36
	s_delay_alu instid0(VALU_DEP_2) | instskip(NEXT) | instid1(VALU_DEP_3)
	v_cndmask_b32_e64 v41, v41, v11, s2
	v_cndmask_b32_e64 v42, v42, v10, s2
	v_cmp_eq_u32_e64 s2, 6, v36
	s_delay_alu instid0(VALU_DEP_2) | instskip(SKIP_1) | instid1(VALU_DEP_2)
	v_dual_cndmask_b32 v41, v41, v13 :: v_dual_cndmask_b32 v42, v42, v12
	v_cmp_eq_u32_e32 vcc_lo, 7, v36
	v_cndmask_b32_e64 v41, v41, v15, s2
	s_delay_alu instid0(VALU_DEP_3) | instskip(SKIP_1) | instid1(VALU_DEP_2)
	v_cndmask_b32_e64 v42, v42, v14, s2
	v_cmp_eq_u32_e64 s2, 8, v36
	v_dual_cndmask_b32 v41, v41, v17 :: v_dual_cndmask_b32 v42, v42, v16
	v_cmp_eq_u32_e32 vcc_lo, 9, v36
	s_delay_alu instid0(VALU_DEP_2) | instskip(NEXT) | instid1(VALU_DEP_3)
	v_cndmask_b32_e64 v41, v41, v19, s2
	v_cndmask_b32_e64 v42, v42, v18, s2
	v_cmp_eq_u32_e64 s2, 10, v36
	s_delay_alu instid0(VALU_DEP_2) | instskip(SKIP_1) | instid1(VALU_DEP_2)
	v_dual_cndmask_b32 v41, v41, v21 :: v_dual_cndmask_b32 v42, v42, v20
	v_cmp_eq_u32_e32 vcc_lo, 11, v36
	v_cndmask_b32_e64 v41, v41, v23, s2
	s_delay_alu instid0(VALU_DEP_3) | instskip(SKIP_1) | instid1(VALU_DEP_2)
	v_cndmask_b32_e64 v42, v42, v22, s2
	v_cmp_eq_u32_e64 s2, 12, v36
	v_dual_cndmask_b32 v43, v41, v25 :: v_dual_cndmask_b32 v44, v42, v24
	ds_load_b64 v[41:42], v40
	v_cmp_eq_u32_e32 vcc_lo, 13, v36
	v_add_nc_u32_e32 v40, 8, v40
	v_cndmask_b32_e64 v43, v43, v27, s2
	v_cndmask_b32_e64 v44, v44, v26, s2
	v_cmp_eq_u32_e64 s2, 14, v36
	s_delay_alu instid0(VALU_DEP_2) | instskip(SKIP_1) | instid1(VALU_DEP_2)
	v_dual_cndmask_b32 v43, v43, v29 :: v_dual_cndmask_b32 v44, v44, v28
	v_cmp_eq_u32_e32 vcc_lo, 15, v36
	v_cndmask_b32_e64 v43, v43, v31, s2
	s_delay_alu instid0(VALU_DEP_3) | instskip(NEXT) | instid1(VALU_DEP_1)
	v_cndmask_b32_e64 v45, v44, v30, s2
	v_dual_cndmask_b32 v44, v43, v33 :: v_dual_cndmask_b32 v43, v45, v32
	v_cmp_lt_u32_e32 vcc_lo, 2, v36
	s_waitcnt lgkmcnt(0)
	s_delay_alu instid0(VALU_DEP_2) | instskip(SKIP_1) | instid1(SALU_CYCLE_1)
	v_fma_f64 v[34:35], v[43:44], v[41:42], v[34:35]
	s_or_b32 s5, vcc_lo, s5
	s_and_not1_b32 exec_lo, exec_lo, s5
	s_cbranch_execnz .LBB15_259
; %bb.260:
	s_or_b32 exec_lo, exec_lo, s5
.LBB15_261:
	s_delay_alu instid0(SALU_CYCLE_1)
	s_or_b32 exec_lo, exec_lo, s4
	v_mov_b32_e32 v10, 0
	ds_load_b64 v[10:11], v10 offset:32
	s_waitcnt lgkmcnt(0)
	v_mul_f64 v[10:11], v[34:35], v[10:11]
.LBB15_262:
	s_or_b32 exec_lo, exec_lo, s3
	v_cmp_gt_u32_e64 s2, 5, v0
	ds_store_b64 v100, v[12:13]
	s_waitcnt lgkmcnt(0)
	s_barrier
	buffer_gl0_inv
	s_and_saveexec_b32 s4, s2
	s_cbranch_execz .LBB15_272
; %bb.263:
	v_cmp_ne_u32_e32 vcc_lo, 1, v38
	s_cbranch_vccnz .LBB15_265
; %bb.264:
	v_cmp_eq_u32_e32 vcc_lo, 1, v0
	v_dual_cndmask_b32 v34, v3, v5 :: v_dual_cndmask_b32 v35, v2, v4
	v_cmp_eq_u32_e32 vcc_lo, 2, v0
	s_delay_alu instid0(VALU_DEP_2) | instskip(SKIP_1) | instid1(VALU_DEP_2)
	v_dual_cndmask_b32 v34, v34, v7 :: v_dual_cndmask_b32 v35, v35, v6
	v_cmp_eq_u32_e32 vcc_lo, 3, v0
	v_dual_cndmask_b32 v34, v34, v9 :: v_dual_cndmask_b32 v35, v35, v8
	v_cmp_eq_u32_e32 vcc_lo, 4, v0
	s_delay_alu instid0(VALU_DEP_2) | instskip(SKIP_1) | instid1(VALU_DEP_2)
	v_dual_cndmask_b32 v34, v34, v11 :: v_dual_cndmask_b32 v35, v35, v10
	;; [unrolled: 5-line block ×5, first 2 shown]
	v_cmp_eq_u32_e32 vcc_lo, 11, v0
	v_dual_cndmask_b32 v34, v34, v25 :: v_dual_cndmask_b32 v35, v35, v24
	v_cmp_eq_u32_e32 vcc_lo, 12, v0
	s_delay_alu instid0(VALU_DEP_2) | instskip(SKIP_4) | instid1(VALU_DEP_2)
	v_dual_cndmask_b32 v36, v34, v27 :: v_dual_cndmask_b32 v37, v35, v26
	v_cmp_eq_u32_e32 vcc_lo, 13, v0
	ds_load_b64 v[34:35], v100
	v_dual_cndmask_b32 v36, v36, v29 :: v_dual_cndmask_b32 v37, v37, v28
	v_cmp_eq_u32_e32 vcc_lo, 14, v0
	v_cndmask_b32_e32 v36, v36, v31, vcc_lo
	s_delay_alu instid0(VALU_DEP_3) | instskip(SKIP_1) | instid1(VALU_DEP_3)
	v_cndmask_b32_e32 v40, v37, v30, vcc_lo
	v_cmp_eq_u32_e32 vcc_lo, 15, v0
	v_cndmask_b32_e32 v37, v36, v33, vcc_lo
	s_delay_alu instid0(VALU_DEP_3) | instskip(SKIP_1) | instid1(VALU_DEP_1)
	v_cndmask_b32_e32 v36, v40, v32, vcc_lo
	s_waitcnt lgkmcnt(0)
	v_mul_f64 v[34:35], v[36:37], v[34:35]
	s_cbranch_execz .LBB15_266
	s_branch .LBB15_267
.LBB15_265:
                                        ; implicit-def: $vgpr34_vgpr35
.LBB15_266:
	ds_load_b64 v[34:35], v100
.LBB15_267:
	s_mov_b32 s5, exec_lo
	v_cmpx_ne_u32_e32 4, v0
	s_cbranch_execz .LBB15_271
; %bb.268:
	v_lshl_add_u32 v40, v0, 3, 0x88
	v_dual_mov_b32 v37, v1 :: v_dual_mov_b32 v36, v0
	s_mov_b32 s6, 0
.LBB15_269:                             ; =>This Inner Loop Header: Depth=1
	s_delay_alu instid0(VALU_DEP_1) | instskip(NEXT) | instid1(VALU_DEP_2)
	v_add_co_u32 v36, vcc_lo, v36, 1
	v_add_co_ci_u32_e32 v37, vcc_lo, 0, v37, vcc_lo
	s_delay_alu instid0(VALU_DEP_2) | instskip(SKIP_3) | instid1(VALU_DEP_2)
	v_cmp_eq_u32_e32 vcc_lo, 1, v36
	v_cmp_eq_u32_e64 s3, 2, v36
	v_dual_cndmask_b32 v41, v3, v5 :: v_dual_cndmask_b32 v42, v2, v4
	v_cmp_eq_u32_e32 vcc_lo, 3, v36
	v_cndmask_b32_e64 v41, v41, v7, s3
	s_delay_alu instid0(VALU_DEP_3) | instskip(SKIP_1) | instid1(VALU_DEP_2)
	v_cndmask_b32_e64 v42, v42, v6, s3
	v_cmp_eq_u32_e64 s3, 4, v36
	v_dual_cndmask_b32 v41, v41, v9 :: v_dual_cndmask_b32 v42, v42, v8
	v_cmp_eq_u32_e32 vcc_lo, 5, v36
	s_delay_alu instid0(VALU_DEP_2) | instskip(NEXT) | instid1(VALU_DEP_3)
	v_cndmask_b32_e64 v41, v41, v11, s3
	v_cndmask_b32_e64 v42, v42, v10, s3
	v_cmp_eq_u32_e64 s3, 6, v36
	s_delay_alu instid0(VALU_DEP_2) | instskip(SKIP_1) | instid1(VALU_DEP_2)
	v_dual_cndmask_b32 v41, v41, v13 :: v_dual_cndmask_b32 v42, v42, v12
	v_cmp_eq_u32_e32 vcc_lo, 7, v36
	v_cndmask_b32_e64 v41, v41, v15, s3
	s_delay_alu instid0(VALU_DEP_3) | instskip(SKIP_1) | instid1(VALU_DEP_2)
	v_cndmask_b32_e64 v42, v42, v14, s3
	v_cmp_eq_u32_e64 s3, 8, v36
	v_dual_cndmask_b32 v41, v41, v17 :: v_dual_cndmask_b32 v42, v42, v16
	v_cmp_eq_u32_e32 vcc_lo, 9, v36
	s_delay_alu instid0(VALU_DEP_2) | instskip(NEXT) | instid1(VALU_DEP_3)
	v_cndmask_b32_e64 v41, v41, v19, s3
	v_cndmask_b32_e64 v42, v42, v18, s3
	v_cmp_eq_u32_e64 s3, 10, v36
	s_delay_alu instid0(VALU_DEP_2) | instskip(SKIP_1) | instid1(VALU_DEP_2)
	v_dual_cndmask_b32 v41, v41, v21 :: v_dual_cndmask_b32 v42, v42, v20
	v_cmp_eq_u32_e32 vcc_lo, 11, v36
	v_cndmask_b32_e64 v41, v41, v23, s3
	s_delay_alu instid0(VALU_DEP_3) | instskip(SKIP_1) | instid1(VALU_DEP_2)
	v_cndmask_b32_e64 v42, v42, v22, s3
	v_cmp_eq_u32_e64 s3, 12, v36
	v_dual_cndmask_b32 v43, v41, v25 :: v_dual_cndmask_b32 v44, v42, v24
	ds_load_b64 v[41:42], v40
	v_cmp_eq_u32_e32 vcc_lo, 13, v36
	v_add_nc_u32_e32 v40, 8, v40
	v_cndmask_b32_e64 v43, v43, v27, s3
	v_cndmask_b32_e64 v44, v44, v26, s3
	v_cmp_eq_u32_e64 s3, 14, v36
	s_delay_alu instid0(VALU_DEP_2) | instskip(SKIP_1) | instid1(VALU_DEP_2)
	v_dual_cndmask_b32 v43, v43, v29 :: v_dual_cndmask_b32 v44, v44, v28
	v_cmp_eq_u32_e32 vcc_lo, 15, v36
	v_cndmask_b32_e64 v43, v43, v31, s3
	s_delay_alu instid0(VALU_DEP_3) | instskip(NEXT) | instid1(VALU_DEP_1)
	v_cndmask_b32_e64 v45, v44, v30, s3
	v_dual_cndmask_b32 v44, v43, v33 :: v_dual_cndmask_b32 v43, v45, v32
	v_cmp_lt_u32_e32 vcc_lo, 3, v36
	s_waitcnt lgkmcnt(0)
	s_delay_alu instid0(VALU_DEP_2) | instskip(SKIP_1) | instid1(SALU_CYCLE_1)
	v_fma_f64 v[34:35], v[43:44], v[41:42], v[34:35]
	s_or_b32 s6, vcc_lo, s6
	s_and_not1_b32 exec_lo, exec_lo, s6
	s_cbranch_execnz .LBB15_269
; %bb.270:
	s_or_b32 exec_lo, exec_lo, s6
.LBB15_271:
	s_delay_alu instid0(SALU_CYCLE_1)
	s_or_b32 exec_lo, exec_lo, s5
	v_mov_b32_e32 v12, 0
	ds_load_b64 v[12:13], v12 offset:40
	s_waitcnt lgkmcnt(0)
	v_mul_f64 v[12:13], v[34:35], v[12:13]
.LBB15_272:
	s_or_b32 exec_lo, exec_lo, s4
	s_delay_alu instid0(SALU_CYCLE_1)
	s_mov_b32 s4, exec_lo
	ds_store_b64 v100, v[14:15]
	s_waitcnt lgkmcnt(0)
	s_barrier
	buffer_gl0_inv
	v_cmpx_gt_u32_e32 6, v0
	s_cbranch_execz .LBB15_282
; %bb.273:
	v_cmp_ne_u32_e32 vcc_lo, 1, v38
	s_cbranch_vccnz .LBB15_275
; %bb.274:
	v_cmp_eq_u32_e32 vcc_lo, 1, v0
	v_dual_cndmask_b32 v34, v3, v5 :: v_dual_cndmask_b32 v35, v2, v4
	v_cmp_eq_u32_e32 vcc_lo, 2, v0
	s_delay_alu instid0(VALU_DEP_2) | instskip(SKIP_1) | instid1(VALU_DEP_2)
	v_dual_cndmask_b32 v34, v34, v7 :: v_dual_cndmask_b32 v35, v35, v6
	v_cmp_eq_u32_e32 vcc_lo, 3, v0
	v_dual_cndmask_b32 v34, v34, v9 :: v_dual_cndmask_b32 v35, v35, v8
	v_cmp_eq_u32_e32 vcc_lo, 4, v0
	s_delay_alu instid0(VALU_DEP_2) | instskip(SKIP_1) | instid1(VALU_DEP_2)
	v_dual_cndmask_b32 v34, v34, v11 :: v_dual_cndmask_b32 v35, v35, v10
	;; [unrolled: 5-line block ×5, first 2 shown]
	v_cmp_eq_u32_e32 vcc_lo, 11, v0
	v_dual_cndmask_b32 v34, v34, v25 :: v_dual_cndmask_b32 v35, v35, v24
	v_cmp_eq_u32_e32 vcc_lo, 12, v0
	s_delay_alu instid0(VALU_DEP_2) | instskip(SKIP_4) | instid1(VALU_DEP_2)
	v_dual_cndmask_b32 v36, v34, v27 :: v_dual_cndmask_b32 v37, v35, v26
	v_cmp_eq_u32_e32 vcc_lo, 13, v0
	ds_load_b64 v[34:35], v100
	v_dual_cndmask_b32 v36, v36, v29 :: v_dual_cndmask_b32 v37, v37, v28
	v_cmp_eq_u32_e32 vcc_lo, 14, v0
	v_cndmask_b32_e32 v36, v36, v31, vcc_lo
	s_delay_alu instid0(VALU_DEP_3) | instskip(SKIP_1) | instid1(VALU_DEP_3)
	v_cndmask_b32_e32 v40, v37, v30, vcc_lo
	v_cmp_eq_u32_e32 vcc_lo, 15, v0
	v_cndmask_b32_e32 v37, v36, v33, vcc_lo
	s_delay_alu instid0(VALU_DEP_3) | instskip(SKIP_1) | instid1(VALU_DEP_1)
	v_cndmask_b32_e32 v36, v40, v32, vcc_lo
	s_waitcnt lgkmcnt(0)
	v_mul_f64 v[34:35], v[36:37], v[34:35]
	s_cbranch_execz .LBB15_276
	s_branch .LBB15_277
.LBB15_275:
                                        ; implicit-def: $vgpr34_vgpr35
.LBB15_276:
	ds_load_b64 v[34:35], v100
.LBB15_277:
	s_mov_b32 s5, exec_lo
	v_cmpx_ne_u32_e32 5, v0
	s_cbranch_execz .LBB15_281
; %bb.278:
	v_lshl_add_u32 v40, v0, 3, 0x88
	v_dual_mov_b32 v37, v1 :: v_dual_mov_b32 v36, v0
	s_mov_b32 s6, 0
.LBB15_279:                             ; =>This Inner Loop Header: Depth=1
	s_delay_alu instid0(VALU_DEP_1) | instskip(NEXT) | instid1(VALU_DEP_2)
	v_add_co_u32 v36, vcc_lo, v36, 1
	v_add_co_ci_u32_e32 v37, vcc_lo, 0, v37, vcc_lo
	s_delay_alu instid0(VALU_DEP_2) | instskip(SKIP_3) | instid1(VALU_DEP_2)
	v_cmp_eq_u32_e32 vcc_lo, 1, v36
	v_cmp_eq_u32_e64 s3, 2, v36
	v_dual_cndmask_b32 v41, v3, v5 :: v_dual_cndmask_b32 v42, v2, v4
	v_cmp_eq_u32_e32 vcc_lo, 3, v36
	v_cndmask_b32_e64 v41, v41, v7, s3
	s_delay_alu instid0(VALU_DEP_3) | instskip(SKIP_1) | instid1(VALU_DEP_2)
	v_cndmask_b32_e64 v42, v42, v6, s3
	v_cmp_eq_u32_e64 s3, 4, v36
	v_dual_cndmask_b32 v41, v41, v9 :: v_dual_cndmask_b32 v42, v42, v8
	v_cmp_eq_u32_e32 vcc_lo, 5, v36
	s_delay_alu instid0(VALU_DEP_2) | instskip(NEXT) | instid1(VALU_DEP_3)
	v_cndmask_b32_e64 v41, v41, v11, s3
	v_cndmask_b32_e64 v42, v42, v10, s3
	v_cmp_eq_u32_e64 s3, 6, v36
	s_delay_alu instid0(VALU_DEP_2) | instskip(SKIP_1) | instid1(VALU_DEP_2)
	v_dual_cndmask_b32 v41, v41, v13 :: v_dual_cndmask_b32 v42, v42, v12
	v_cmp_eq_u32_e32 vcc_lo, 7, v36
	v_cndmask_b32_e64 v41, v41, v15, s3
	s_delay_alu instid0(VALU_DEP_3) | instskip(SKIP_1) | instid1(VALU_DEP_2)
	v_cndmask_b32_e64 v42, v42, v14, s3
	v_cmp_eq_u32_e64 s3, 8, v36
	v_dual_cndmask_b32 v41, v41, v17 :: v_dual_cndmask_b32 v42, v42, v16
	v_cmp_eq_u32_e32 vcc_lo, 9, v36
	s_delay_alu instid0(VALU_DEP_2) | instskip(NEXT) | instid1(VALU_DEP_3)
	v_cndmask_b32_e64 v41, v41, v19, s3
	v_cndmask_b32_e64 v42, v42, v18, s3
	v_cmp_eq_u32_e64 s3, 10, v36
	s_delay_alu instid0(VALU_DEP_2) | instskip(SKIP_1) | instid1(VALU_DEP_2)
	v_dual_cndmask_b32 v41, v41, v21 :: v_dual_cndmask_b32 v42, v42, v20
	v_cmp_eq_u32_e32 vcc_lo, 11, v36
	v_cndmask_b32_e64 v41, v41, v23, s3
	s_delay_alu instid0(VALU_DEP_3) | instskip(SKIP_1) | instid1(VALU_DEP_2)
	v_cndmask_b32_e64 v42, v42, v22, s3
	v_cmp_eq_u32_e64 s3, 12, v36
	v_dual_cndmask_b32 v43, v41, v25 :: v_dual_cndmask_b32 v44, v42, v24
	ds_load_b64 v[41:42], v40
	v_cmp_eq_u32_e32 vcc_lo, 13, v36
	v_add_nc_u32_e32 v40, 8, v40
	v_cndmask_b32_e64 v43, v43, v27, s3
	v_cndmask_b32_e64 v44, v44, v26, s3
	v_cmp_eq_u32_e64 s3, 14, v36
	s_delay_alu instid0(VALU_DEP_2) | instskip(SKIP_1) | instid1(VALU_DEP_2)
	v_dual_cndmask_b32 v43, v43, v29 :: v_dual_cndmask_b32 v44, v44, v28
	v_cmp_eq_u32_e32 vcc_lo, 15, v36
	v_cndmask_b32_e64 v43, v43, v31, s3
	s_delay_alu instid0(VALU_DEP_3) | instskip(NEXT) | instid1(VALU_DEP_1)
	v_cndmask_b32_e64 v45, v44, v30, s3
	v_dual_cndmask_b32 v44, v43, v33 :: v_dual_cndmask_b32 v43, v45, v32
	v_cmp_lt_u32_e32 vcc_lo, 4, v36
	s_waitcnt lgkmcnt(0)
	s_delay_alu instid0(VALU_DEP_2) | instskip(SKIP_1) | instid1(SALU_CYCLE_1)
	v_fma_f64 v[34:35], v[43:44], v[41:42], v[34:35]
	s_or_b32 s6, vcc_lo, s6
	s_and_not1_b32 exec_lo, exec_lo, s6
	s_cbranch_execnz .LBB15_279
; %bb.280:
	s_or_b32 exec_lo, exec_lo, s6
.LBB15_281:
	s_delay_alu instid0(SALU_CYCLE_1)
	s_or_b32 exec_lo, exec_lo, s5
	v_mov_b32_e32 v14, 0
	ds_load_b64 v[14:15], v14 offset:48
	s_waitcnt lgkmcnt(0)
	v_mul_f64 v[14:15], v[34:35], v[14:15]
.LBB15_282:
	s_or_b32 exec_lo, exec_lo, s4
	v_cmp_gt_u32_e64 s3, 7, v0
	ds_store_b64 v100, v[16:17]
	s_waitcnt lgkmcnt(0)
	s_barrier
	buffer_gl0_inv
	s_and_saveexec_b32 s5, s3
	s_cbranch_execz .LBB15_292
; %bb.283:
	v_cmp_ne_u32_e32 vcc_lo, 1, v38
	s_cbranch_vccnz .LBB15_285
; %bb.284:
	v_cmp_eq_u32_e32 vcc_lo, 1, v0
	v_dual_cndmask_b32 v34, v3, v5 :: v_dual_cndmask_b32 v35, v2, v4
	v_cmp_eq_u32_e32 vcc_lo, 2, v0
	s_delay_alu instid0(VALU_DEP_2) | instskip(SKIP_1) | instid1(VALU_DEP_2)
	v_dual_cndmask_b32 v34, v34, v7 :: v_dual_cndmask_b32 v35, v35, v6
	v_cmp_eq_u32_e32 vcc_lo, 3, v0
	v_dual_cndmask_b32 v34, v34, v9 :: v_dual_cndmask_b32 v35, v35, v8
	v_cmp_eq_u32_e32 vcc_lo, 4, v0
	s_delay_alu instid0(VALU_DEP_2) | instskip(SKIP_1) | instid1(VALU_DEP_2)
	v_dual_cndmask_b32 v34, v34, v11 :: v_dual_cndmask_b32 v35, v35, v10
	;; [unrolled: 5-line block ×5, first 2 shown]
	v_cmp_eq_u32_e32 vcc_lo, 11, v0
	v_dual_cndmask_b32 v34, v34, v25 :: v_dual_cndmask_b32 v35, v35, v24
	v_cmp_eq_u32_e32 vcc_lo, 12, v0
	s_delay_alu instid0(VALU_DEP_2) | instskip(SKIP_4) | instid1(VALU_DEP_2)
	v_dual_cndmask_b32 v36, v34, v27 :: v_dual_cndmask_b32 v37, v35, v26
	v_cmp_eq_u32_e32 vcc_lo, 13, v0
	ds_load_b64 v[34:35], v100
	v_dual_cndmask_b32 v36, v36, v29 :: v_dual_cndmask_b32 v37, v37, v28
	v_cmp_eq_u32_e32 vcc_lo, 14, v0
	v_cndmask_b32_e32 v36, v36, v31, vcc_lo
	s_delay_alu instid0(VALU_DEP_3) | instskip(SKIP_1) | instid1(VALU_DEP_3)
	v_cndmask_b32_e32 v40, v37, v30, vcc_lo
	v_cmp_eq_u32_e32 vcc_lo, 15, v0
	v_cndmask_b32_e32 v37, v36, v33, vcc_lo
	s_delay_alu instid0(VALU_DEP_3) | instskip(SKIP_1) | instid1(VALU_DEP_1)
	v_cndmask_b32_e32 v36, v40, v32, vcc_lo
	s_waitcnt lgkmcnt(0)
	v_mul_f64 v[34:35], v[36:37], v[34:35]
	s_cbranch_execz .LBB15_286
	s_branch .LBB15_287
.LBB15_285:
                                        ; implicit-def: $vgpr34_vgpr35
.LBB15_286:
	ds_load_b64 v[34:35], v100
.LBB15_287:
	s_mov_b32 s6, exec_lo
	v_cmpx_ne_u32_e32 6, v0
	s_cbranch_execz .LBB15_291
; %bb.288:
	v_lshl_add_u32 v40, v0, 3, 0x88
	v_dual_mov_b32 v37, v1 :: v_dual_mov_b32 v36, v0
	s_mov_b32 s7, 0
.LBB15_289:                             ; =>This Inner Loop Header: Depth=1
	s_delay_alu instid0(VALU_DEP_1) | instskip(NEXT) | instid1(VALU_DEP_2)
	v_add_co_u32 v36, vcc_lo, v36, 1
	v_add_co_ci_u32_e32 v37, vcc_lo, 0, v37, vcc_lo
	s_delay_alu instid0(VALU_DEP_2) | instskip(SKIP_3) | instid1(VALU_DEP_2)
	v_cmp_eq_u32_e32 vcc_lo, 1, v36
	v_cmp_eq_u32_e64 s4, 2, v36
	v_dual_cndmask_b32 v41, v3, v5 :: v_dual_cndmask_b32 v42, v2, v4
	v_cmp_eq_u32_e32 vcc_lo, 3, v36
	v_cndmask_b32_e64 v41, v41, v7, s4
	s_delay_alu instid0(VALU_DEP_3) | instskip(SKIP_1) | instid1(VALU_DEP_2)
	v_cndmask_b32_e64 v42, v42, v6, s4
	v_cmp_eq_u32_e64 s4, 4, v36
	v_dual_cndmask_b32 v41, v41, v9 :: v_dual_cndmask_b32 v42, v42, v8
	v_cmp_eq_u32_e32 vcc_lo, 5, v36
	s_delay_alu instid0(VALU_DEP_2) | instskip(NEXT) | instid1(VALU_DEP_3)
	v_cndmask_b32_e64 v41, v41, v11, s4
	v_cndmask_b32_e64 v42, v42, v10, s4
	v_cmp_eq_u32_e64 s4, 6, v36
	s_delay_alu instid0(VALU_DEP_2) | instskip(SKIP_1) | instid1(VALU_DEP_2)
	v_dual_cndmask_b32 v41, v41, v13 :: v_dual_cndmask_b32 v42, v42, v12
	v_cmp_eq_u32_e32 vcc_lo, 7, v36
	v_cndmask_b32_e64 v41, v41, v15, s4
	s_delay_alu instid0(VALU_DEP_3) | instskip(SKIP_1) | instid1(VALU_DEP_2)
	v_cndmask_b32_e64 v42, v42, v14, s4
	v_cmp_eq_u32_e64 s4, 8, v36
	v_dual_cndmask_b32 v41, v41, v17 :: v_dual_cndmask_b32 v42, v42, v16
	v_cmp_eq_u32_e32 vcc_lo, 9, v36
	s_delay_alu instid0(VALU_DEP_2) | instskip(NEXT) | instid1(VALU_DEP_3)
	v_cndmask_b32_e64 v41, v41, v19, s4
	v_cndmask_b32_e64 v42, v42, v18, s4
	v_cmp_eq_u32_e64 s4, 10, v36
	s_delay_alu instid0(VALU_DEP_2) | instskip(SKIP_1) | instid1(VALU_DEP_2)
	v_dual_cndmask_b32 v41, v41, v21 :: v_dual_cndmask_b32 v42, v42, v20
	v_cmp_eq_u32_e32 vcc_lo, 11, v36
	v_cndmask_b32_e64 v41, v41, v23, s4
	s_delay_alu instid0(VALU_DEP_3) | instskip(SKIP_1) | instid1(VALU_DEP_2)
	v_cndmask_b32_e64 v42, v42, v22, s4
	v_cmp_eq_u32_e64 s4, 12, v36
	v_dual_cndmask_b32 v43, v41, v25 :: v_dual_cndmask_b32 v44, v42, v24
	ds_load_b64 v[41:42], v40
	v_cmp_eq_u32_e32 vcc_lo, 13, v36
	v_add_nc_u32_e32 v40, 8, v40
	v_cndmask_b32_e64 v43, v43, v27, s4
	v_cndmask_b32_e64 v44, v44, v26, s4
	v_cmp_eq_u32_e64 s4, 14, v36
	s_delay_alu instid0(VALU_DEP_2) | instskip(SKIP_1) | instid1(VALU_DEP_2)
	v_dual_cndmask_b32 v43, v43, v29 :: v_dual_cndmask_b32 v44, v44, v28
	v_cmp_eq_u32_e32 vcc_lo, 15, v36
	v_cndmask_b32_e64 v43, v43, v31, s4
	s_delay_alu instid0(VALU_DEP_3) | instskip(NEXT) | instid1(VALU_DEP_1)
	v_cndmask_b32_e64 v45, v44, v30, s4
	v_dual_cndmask_b32 v44, v43, v33 :: v_dual_cndmask_b32 v43, v45, v32
	v_cmp_lt_u32_e32 vcc_lo, 5, v36
	s_waitcnt lgkmcnt(0)
	s_delay_alu instid0(VALU_DEP_2) | instskip(SKIP_1) | instid1(SALU_CYCLE_1)
	v_fma_f64 v[34:35], v[43:44], v[41:42], v[34:35]
	s_or_b32 s7, vcc_lo, s7
	s_and_not1_b32 exec_lo, exec_lo, s7
	s_cbranch_execnz .LBB15_289
; %bb.290:
	s_or_b32 exec_lo, exec_lo, s7
.LBB15_291:
	s_delay_alu instid0(SALU_CYCLE_1)
	s_or_b32 exec_lo, exec_lo, s6
	v_mov_b32_e32 v16, 0
	ds_load_b64 v[16:17], v16 offset:56
	s_waitcnt lgkmcnt(0)
	v_mul_f64 v[16:17], v[34:35], v[16:17]
.LBB15_292:
	s_or_b32 exec_lo, exec_lo, s5
	s_delay_alu instid0(SALU_CYCLE_1)
	s_mov_b32 s5, exec_lo
	ds_store_b64 v100, v[18:19]
	s_waitcnt lgkmcnt(0)
	s_barrier
	buffer_gl0_inv
	v_cmpx_gt_u32_e32 8, v0
	s_cbranch_execz .LBB15_302
; %bb.293:
	v_cmp_ne_u32_e32 vcc_lo, 1, v38
	s_cbranch_vccnz .LBB15_295
; %bb.294:
	v_cmp_eq_u32_e32 vcc_lo, 1, v0
	v_dual_cndmask_b32 v34, v3, v5 :: v_dual_cndmask_b32 v35, v2, v4
	v_cmp_eq_u32_e32 vcc_lo, 2, v0
	s_delay_alu instid0(VALU_DEP_2) | instskip(SKIP_1) | instid1(VALU_DEP_2)
	v_dual_cndmask_b32 v34, v34, v7 :: v_dual_cndmask_b32 v35, v35, v6
	v_cmp_eq_u32_e32 vcc_lo, 3, v0
	v_dual_cndmask_b32 v34, v34, v9 :: v_dual_cndmask_b32 v35, v35, v8
	v_cmp_eq_u32_e32 vcc_lo, 4, v0
	s_delay_alu instid0(VALU_DEP_2) | instskip(SKIP_1) | instid1(VALU_DEP_2)
	v_dual_cndmask_b32 v34, v34, v11 :: v_dual_cndmask_b32 v35, v35, v10
	;; [unrolled: 5-line block ×5, first 2 shown]
	v_cmp_eq_u32_e32 vcc_lo, 11, v0
	v_dual_cndmask_b32 v34, v34, v25 :: v_dual_cndmask_b32 v35, v35, v24
	v_cmp_eq_u32_e32 vcc_lo, 12, v0
	s_delay_alu instid0(VALU_DEP_2) | instskip(SKIP_4) | instid1(VALU_DEP_2)
	v_dual_cndmask_b32 v36, v34, v27 :: v_dual_cndmask_b32 v37, v35, v26
	v_cmp_eq_u32_e32 vcc_lo, 13, v0
	ds_load_b64 v[34:35], v100
	v_dual_cndmask_b32 v36, v36, v29 :: v_dual_cndmask_b32 v37, v37, v28
	v_cmp_eq_u32_e32 vcc_lo, 14, v0
	v_cndmask_b32_e32 v36, v36, v31, vcc_lo
	s_delay_alu instid0(VALU_DEP_3) | instskip(SKIP_1) | instid1(VALU_DEP_3)
	v_cndmask_b32_e32 v40, v37, v30, vcc_lo
	v_cmp_eq_u32_e32 vcc_lo, 15, v0
	v_cndmask_b32_e32 v37, v36, v33, vcc_lo
	s_delay_alu instid0(VALU_DEP_3) | instskip(SKIP_1) | instid1(VALU_DEP_1)
	v_cndmask_b32_e32 v36, v40, v32, vcc_lo
	s_waitcnt lgkmcnt(0)
	v_mul_f64 v[34:35], v[36:37], v[34:35]
	s_cbranch_execz .LBB15_296
	s_branch .LBB15_297
.LBB15_295:
                                        ; implicit-def: $vgpr34_vgpr35
.LBB15_296:
	ds_load_b64 v[34:35], v100
.LBB15_297:
	s_mov_b32 s6, exec_lo
	v_cmpx_ne_u32_e32 7, v0
	s_cbranch_execz .LBB15_301
; %bb.298:
	v_lshl_add_u32 v40, v0, 3, 0x88
	v_dual_mov_b32 v37, v1 :: v_dual_mov_b32 v36, v0
	s_mov_b32 s7, 0
.LBB15_299:                             ; =>This Inner Loop Header: Depth=1
	s_delay_alu instid0(VALU_DEP_1) | instskip(NEXT) | instid1(VALU_DEP_2)
	v_add_co_u32 v36, vcc_lo, v36, 1
	v_add_co_ci_u32_e32 v37, vcc_lo, 0, v37, vcc_lo
	s_delay_alu instid0(VALU_DEP_2) | instskip(SKIP_3) | instid1(VALU_DEP_2)
	v_cmp_eq_u32_e32 vcc_lo, 1, v36
	v_cmp_eq_u32_e64 s4, 2, v36
	v_dual_cndmask_b32 v41, v3, v5 :: v_dual_cndmask_b32 v42, v2, v4
	v_cmp_eq_u32_e32 vcc_lo, 3, v36
	v_cndmask_b32_e64 v41, v41, v7, s4
	s_delay_alu instid0(VALU_DEP_3) | instskip(SKIP_1) | instid1(VALU_DEP_2)
	v_cndmask_b32_e64 v42, v42, v6, s4
	v_cmp_eq_u32_e64 s4, 4, v36
	v_dual_cndmask_b32 v41, v41, v9 :: v_dual_cndmask_b32 v42, v42, v8
	v_cmp_eq_u32_e32 vcc_lo, 5, v36
	s_delay_alu instid0(VALU_DEP_2) | instskip(NEXT) | instid1(VALU_DEP_3)
	v_cndmask_b32_e64 v41, v41, v11, s4
	v_cndmask_b32_e64 v42, v42, v10, s4
	v_cmp_eq_u32_e64 s4, 6, v36
	s_delay_alu instid0(VALU_DEP_2) | instskip(SKIP_1) | instid1(VALU_DEP_2)
	v_dual_cndmask_b32 v41, v41, v13 :: v_dual_cndmask_b32 v42, v42, v12
	v_cmp_eq_u32_e32 vcc_lo, 7, v36
	v_cndmask_b32_e64 v41, v41, v15, s4
	s_delay_alu instid0(VALU_DEP_3) | instskip(SKIP_1) | instid1(VALU_DEP_2)
	v_cndmask_b32_e64 v42, v42, v14, s4
	v_cmp_eq_u32_e64 s4, 8, v36
	v_dual_cndmask_b32 v41, v41, v17 :: v_dual_cndmask_b32 v42, v42, v16
	v_cmp_eq_u32_e32 vcc_lo, 9, v36
	s_delay_alu instid0(VALU_DEP_2) | instskip(NEXT) | instid1(VALU_DEP_3)
	v_cndmask_b32_e64 v41, v41, v19, s4
	v_cndmask_b32_e64 v42, v42, v18, s4
	v_cmp_eq_u32_e64 s4, 10, v36
	s_delay_alu instid0(VALU_DEP_2) | instskip(SKIP_1) | instid1(VALU_DEP_2)
	v_dual_cndmask_b32 v41, v41, v21 :: v_dual_cndmask_b32 v42, v42, v20
	v_cmp_eq_u32_e32 vcc_lo, 11, v36
	v_cndmask_b32_e64 v41, v41, v23, s4
	s_delay_alu instid0(VALU_DEP_3) | instskip(SKIP_1) | instid1(VALU_DEP_2)
	v_cndmask_b32_e64 v42, v42, v22, s4
	v_cmp_eq_u32_e64 s4, 12, v36
	v_dual_cndmask_b32 v43, v41, v25 :: v_dual_cndmask_b32 v44, v42, v24
	ds_load_b64 v[41:42], v40
	v_cmp_eq_u32_e32 vcc_lo, 13, v36
	v_add_nc_u32_e32 v40, 8, v40
	v_cndmask_b32_e64 v43, v43, v27, s4
	v_cndmask_b32_e64 v44, v44, v26, s4
	v_cmp_eq_u32_e64 s4, 14, v36
	s_delay_alu instid0(VALU_DEP_2) | instskip(SKIP_1) | instid1(VALU_DEP_2)
	v_dual_cndmask_b32 v43, v43, v29 :: v_dual_cndmask_b32 v44, v44, v28
	v_cmp_eq_u32_e32 vcc_lo, 15, v36
	v_cndmask_b32_e64 v43, v43, v31, s4
	s_delay_alu instid0(VALU_DEP_3) | instskip(NEXT) | instid1(VALU_DEP_1)
	v_cndmask_b32_e64 v45, v44, v30, s4
	v_dual_cndmask_b32 v44, v43, v33 :: v_dual_cndmask_b32 v43, v45, v32
	v_cmp_lt_u32_e32 vcc_lo, 6, v36
	s_waitcnt lgkmcnt(0)
	s_delay_alu instid0(VALU_DEP_2) | instskip(SKIP_1) | instid1(SALU_CYCLE_1)
	v_fma_f64 v[34:35], v[43:44], v[41:42], v[34:35]
	s_or_b32 s7, vcc_lo, s7
	s_and_not1_b32 exec_lo, exec_lo, s7
	s_cbranch_execnz .LBB15_299
; %bb.300:
	s_or_b32 exec_lo, exec_lo, s7
.LBB15_301:
	s_delay_alu instid0(SALU_CYCLE_1)
	s_or_b32 exec_lo, exec_lo, s6
	v_mov_b32_e32 v18, 0
	ds_load_b64 v[18:19], v18 offset:64
	s_waitcnt lgkmcnt(0)
	v_mul_f64 v[18:19], v[34:35], v[18:19]
.LBB15_302:
	s_or_b32 exec_lo, exec_lo, s5
	s_delay_alu instid0(SALU_CYCLE_1)
	s_mov_b32 s4, exec_lo
	ds_store_b64 v100, v[20:21]
	s_waitcnt lgkmcnt(0)
	s_barrier
	buffer_gl0_inv
	v_cmpx_gt_u32_e32 9, v0
	s_cbranch_execz .LBB15_324
; %bb.303:
	v_cmp_ne_u32_e32 vcc_lo, 1, v38
	s_cbranch_vccnz .LBB15_305
; %bb.304:
	v_cmp_eq_u32_e32 vcc_lo, 1, v0
	v_dual_cndmask_b32 v34, v3, v5 :: v_dual_cndmask_b32 v35, v2, v4
	v_cmp_eq_u32_e32 vcc_lo, 2, v0
	s_delay_alu instid0(VALU_DEP_2) | instskip(SKIP_1) | instid1(VALU_DEP_2)
	v_dual_cndmask_b32 v34, v34, v7 :: v_dual_cndmask_b32 v35, v35, v6
	v_cmp_eq_u32_e32 vcc_lo, 3, v0
	v_dual_cndmask_b32 v34, v34, v9 :: v_dual_cndmask_b32 v35, v35, v8
	v_cmp_eq_u32_e32 vcc_lo, 4, v0
	s_delay_alu instid0(VALU_DEP_2) | instskip(SKIP_1) | instid1(VALU_DEP_2)
	v_dual_cndmask_b32 v34, v34, v11 :: v_dual_cndmask_b32 v35, v35, v10
	;; [unrolled: 5-line block ×5, first 2 shown]
	v_cmp_eq_u32_e32 vcc_lo, 11, v0
	v_dual_cndmask_b32 v34, v34, v25 :: v_dual_cndmask_b32 v35, v35, v24
	v_cmp_eq_u32_e32 vcc_lo, 12, v0
	s_delay_alu instid0(VALU_DEP_2) | instskip(SKIP_4) | instid1(VALU_DEP_2)
	v_dual_cndmask_b32 v36, v34, v27 :: v_dual_cndmask_b32 v37, v35, v26
	v_cmp_eq_u32_e32 vcc_lo, 13, v0
	ds_load_b64 v[34:35], v100
	v_dual_cndmask_b32 v36, v36, v29 :: v_dual_cndmask_b32 v37, v37, v28
	v_cmp_eq_u32_e32 vcc_lo, 14, v0
	v_cndmask_b32_e32 v36, v36, v31, vcc_lo
	s_delay_alu instid0(VALU_DEP_3) | instskip(SKIP_1) | instid1(VALU_DEP_3)
	v_cndmask_b32_e32 v40, v37, v30, vcc_lo
	v_cmp_eq_u32_e32 vcc_lo, 15, v0
	v_cndmask_b32_e32 v37, v36, v33, vcc_lo
	s_delay_alu instid0(VALU_DEP_3) | instskip(SKIP_1) | instid1(VALU_DEP_1)
	v_cndmask_b32_e32 v36, v40, v32, vcc_lo
	s_waitcnt lgkmcnt(0)
	v_mul_f64 v[34:35], v[36:37], v[34:35]
	s_cbranch_execz .LBB15_306
	s_branch .LBB15_307
.LBB15_305:
                                        ; implicit-def: $vgpr34_vgpr35
.LBB15_306:
	ds_load_b64 v[34:35], v100
.LBB15_307:
	s_mov_b32 s5, exec_lo
	v_cmpx_ne_u32_e32 8, v0
	s_cbranch_execz .LBB15_323
; %bb.308:
	v_cmp_eq_u32_e32 vcc_lo, 1, v39
	v_dual_cndmask_b32 v36, v3, v5 :: v_dual_cndmask_b32 v37, v2, v4
	v_cmp_eq_u32_e32 vcc_lo, 2, v39
	s_delay_alu instid0(VALU_DEP_2) | instskip(SKIP_1) | instid1(VALU_DEP_2)
	v_dual_cndmask_b32 v36, v36, v7 :: v_dual_cndmask_b32 v37, v37, v6
	v_cmp_eq_u32_e32 vcc_lo, 3, v39
	v_dual_cndmask_b32 v36, v36, v9 :: v_dual_cndmask_b32 v37, v37, v8
	v_cmp_eq_u32_e32 vcc_lo, 4, v39
	s_delay_alu instid0(VALU_DEP_2) | instskip(SKIP_1) | instid1(VALU_DEP_2)
	v_dual_cndmask_b32 v36, v36, v11 :: v_dual_cndmask_b32 v37, v37, v10
	;; [unrolled: 5-line block ×5, first 2 shown]
	v_cmp_eq_u32_e32 vcc_lo, 11, v39
	v_dual_cndmask_b32 v36, v36, v25 :: v_dual_cndmask_b32 v37, v37, v24
	v_cmp_eq_u32_e32 vcc_lo, 12, v39
	s_delay_alu instid0(VALU_DEP_2) | instskip(SKIP_4) | instid1(VALU_DEP_2)
	v_dual_cndmask_b32 v40, v36, v27 :: v_dual_cndmask_b32 v41, v37, v26
	v_cmp_eq_u32_e32 vcc_lo, 13, v39
	ds_load_b64 v[36:37], v100 offset:8
	v_dual_cndmask_b32 v40, v40, v29 :: v_dual_cndmask_b32 v41, v41, v28
	v_cmp_eq_u32_e32 vcc_lo, 14, v39
	v_dual_cndmask_b32 v40, v40, v31 :: v_dual_cndmask_b32 v41, v41, v30
	v_cmp_eq_u32_e32 vcc_lo, 15, v39
	s_delay_alu instid0(VALU_DEP_2) | instskip(SKIP_1) | instid1(VALU_DEP_1)
	v_dual_cndmask_b32 v40, v40, v33 :: v_dual_cndmask_b32 v39, v41, v32
	s_waitcnt lgkmcnt(0)
	v_fma_f64 v[34:35], v[39:40], v[36:37], v[34:35]
	s_and_saveexec_b32 s6, s3
	s_cbranch_execz .LBB15_322
; %bb.309:
	v_add_nc_u32_e32 v39, 2, v0
	s_mov_b32 s3, exec_lo
	s_delay_alu instid0(VALU_DEP_1) | instskip(SKIP_2) | instid1(VALU_DEP_2)
	v_cmp_eq_u32_e32 vcc_lo, 1, v39
	v_dual_cndmask_b32 v36, v3, v5 :: v_dual_cndmask_b32 v37, v2, v4
	v_cmp_eq_u32_e32 vcc_lo, 2, v39
	v_dual_cndmask_b32 v36, v36, v7 :: v_dual_cndmask_b32 v37, v37, v6
	v_cmp_eq_u32_e32 vcc_lo, 3, v39
	s_delay_alu instid0(VALU_DEP_2) | instskip(SKIP_1) | instid1(VALU_DEP_2)
	v_dual_cndmask_b32 v36, v36, v9 :: v_dual_cndmask_b32 v37, v37, v8
	v_cmp_eq_u32_e32 vcc_lo, 4, v39
	v_dual_cndmask_b32 v36, v36, v11 :: v_dual_cndmask_b32 v37, v37, v10
	v_cmp_eq_u32_e32 vcc_lo, 5, v39
	s_delay_alu instid0(VALU_DEP_2) | instskip(SKIP_1) | instid1(VALU_DEP_2)
	;; [unrolled: 5-line block ×5, first 2 shown]
	v_dual_cndmask_b32 v36, v36, v25 :: v_dual_cndmask_b32 v37, v37, v24
	v_cmp_eq_u32_e32 vcc_lo, 12, v39
	v_dual_cndmask_b32 v40, v36, v27 :: v_dual_cndmask_b32 v41, v37, v26
	v_cmp_eq_u32_e32 vcc_lo, 13, v39
	ds_load_b64 v[36:37], v100 offset:16
	v_dual_cndmask_b32 v40, v40, v29 :: v_dual_cndmask_b32 v41, v41, v28
	v_cmp_eq_u32_e32 vcc_lo, 14, v39
	s_delay_alu instid0(VALU_DEP_2) | instskip(SKIP_1) | instid1(VALU_DEP_2)
	v_dual_cndmask_b32 v40, v40, v31 :: v_dual_cndmask_b32 v41, v41, v30
	v_cmp_eq_u32_e32 vcc_lo, 15, v39
	v_dual_cndmask_b32 v40, v40, v33 :: v_dual_cndmask_b32 v39, v41, v32
	s_waitcnt lgkmcnt(0)
	s_delay_alu instid0(VALU_DEP_1)
	v_fma_f64 v[34:35], v[39:40], v[36:37], v[34:35]
	v_cmpx_ne_u32_e32 6, v0
	s_cbranch_execz .LBB15_321
; %bb.310:
	v_add_nc_u32_e32 v39, 3, v0
	s_delay_alu instid0(VALU_DEP_1) | instskip(SKIP_2) | instid1(VALU_DEP_2)
	v_cmp_eq_u32_e32 vcc_lo, 1, v39
	v_dual_cndmask_b32 v36, v3, v5 :: v_dual_cndmask_b32 v37, v2, v4
	v_cmp_eq_u32_e32 vcc_lo, 2, v39
	v_dual_cndmask_b32 v36, v36, v7 :: v_dual_cndmask_b32 v37, v37, v6
	v_cmp_eq_u32_e32 vcc_lo, 3, v39
	s_delay_alu instid0(VALU_DEP_2) | instskip(SKIP_1) | instid1(VALU_DEP_2)
	v_dual_cndmask_b32 v36, v36, v9 :: v_dual_cndmask_b32 v37, v37, v8
	v_cmp_eq_u32_e32 vcc_lo, 4, v39
	v_dual_cndmask_b32 v36, v36, v11 :: v_dual_cndmask_b32 v37, v37, v10
	v_cmp_eq_u32_e32 vcc_lo, 5, v39
	s_delay_alu instid0(VALU_DEP_2) | instskip(SKIP_1) | instid1(VALU_DEP_2)
	v_dual_cndmask_b32 v36, v36, v13 :: v_dual_cndmask_b32 v37, v37, v12
	v_cmp_eq_u32_e32 vcc_lo, 6, v39
	v_dual_cndmask_b32 v36, v36, v15 :: v_dual_cndmask_b32 v37, v37, v14
	v_cmp_eq_u32_e32 vcc_lo, 7, v39
	s_delay_alu instid0(VALU_DEP_2) | instskip(SKIP_1) | instid1(VALU_DEP_2)
	v_dual_cndmask_b32 v36, v36, v17 :: v_dual_cndmask_b32 v37, v37, v16
	v_cmp_eq_u32_e32 vcc_lo, 8, v39
	v_dual_cndmask_b32 v36, v36, v19 :: v_dual_cndmask_b32 v37, v37, v18
	v_cmp_eq_u32_e32 vcc_lo, 9, v39
	s_delay_alu instid0(VALU_DEP_2) | instskip(SKIP_1) | instid1(VALU_DEP_2)
	v_dual_cndmask_b32 v36, v36, v21 :: v_dual_cndmask_b32 v37, v37, v20
	v_cmp_eq_u32_e32 vcc_lo, 10, v39
	v_dual_cndmask_b32 v36, v36, v23 :: v_dual_cndmask_b32 v37, v37, v22
	v_cmp_eq_u32_e32 vcc_lo, 11, v39
	s_delay_alu instid0(VALU_DEP_2) | instskip(SKIP_1) | instid1(VALU_DEP_2)
	v_dual_cndmask_b32 v36, v36, v25 :: v_dual_cndmask_b32 v37, v37, v24
	v_cmp_eq_u32_e32 vcc_lo, 12, v39
	v_dual_cndmask_b32 v40, v36, v27 :: v_dual_cndmask_b32 v41, v37, v26
	v_cmp_eq_u32_e32 vcc_lo, 13, v39
	ds_load_b64 v[36:37], v100 offset:24
	v_dual_cndmask_b32 v40, v40, v29 :: v_dual_cndmask_b32 v41, v41, v28
	v_cmp_eq_u32_e32 vcc_lo, 14, v39
	s_delay_alu instid0(VALU_DEP_2) | instskip(SKIP_1) | instid1(VALU_DEP_2)
	v_dual_cndmask_b32 v40, v40, v31 :: v_dual_cndmask_b32 v41, v41, v30
	v_cmp_eq_u32_e32 vcc_lo, 15, v39
	v_dual_cndmask_b32 v40, v40, v33 :: v_dual_cndmask_b32 v39, v41, v32
	s_waitcnt lgkmcnt(0)
	s_delay_alu instid0(VALU_DEP_1)
	v_fma_f64 v[34:35], v[39:40], v[36:37], v[34:35]
	s_and_saveexec_b32 s7, s2
	s_cbranch_execz .LBB15_320
; %bb.311:
	v_add_nc_u32_e32 v39, 4, v0
	s_mov_b32 s2, exec_lo
	s_delay_alu instid0(VALU_DEP_1) | instskip(SKIP_2) | instid1(VALU_DEP_2)
	v_cmp_eq_u32_e32 vcc_lo, 1, v39
	v_dual_cndmask_b32 v36, v3, v5 :: v_dual_cndmask_b32 v37, v2, v4
	v_cmp_eq_u32_e32 vcc_lo, 2, v39
	v_dual_cndmask_b32 v36, v36, v7 :: v_dual_cndmask_b32 v37, v37, v6
	v_cmp_eq_u32_e32 vcc_lo, 3, v39
	s_delay_alu instid0(VALU_DEP_2) | instskip(SKIP_1) | instid1(VALU_DEP_2)
	v_dual_cndmask_b32 v36, v36, v9 :: v_dual_cndmask_b32 v37, v37, v8
	v_cmp_eq_u32_e32 vcc_lo, 4, v39
	v_dual_cndmask_b32 v36, v36, v11 :: v_dual_cndmask_b32 v37, v37, v10
	v_cmp_eq_u32_e32 vcc_lo, 5, v39
	s_delay_alu instid0(VALU_DEP_2) | instskip(SKIP_1) | instid1(VALU_DEP_2)
	;; [unrolled: 5-line block ×5, first 2 shown]
	v_dual_cndmask_b32 v36, v36, v25 :: v_dual_cndmask_b32 v37, v37, v24
	v_cmp_eq_u32_e32 vcc_lo, 12, v39
	v_dual_cndmask_b32 v40, v36, v27 :: v_dual_cndmask_b32 v41, v37, v26
	v_cmp_eq_u32_e32 vcc_lo, 13, v39
	ds_load_b64 v[36:37], v100 offset:32
	v_dual_cndmask_b32 v40, v40, v29 :: v_dual_cndmask_b32 v41, v41, v28
	v_cmp_eq_u32_e32 vcc_lo, 14, v39
	s_delay_alu instid0(VALU_DEP_2) | instskip(SKIP_1) | instid1(VALU_DEP_2)
	v_dual_cndmask_b32 v40, v40, v31 :: v_dual_cndmask_b32 v41, v41, v30
	v_cmp_eq_u32_e32 vcc_lo, 15, v39
	v_dual_cndmask_b32 v40, v40, v33 :: v_dual_cndmask_b32 v39, v41, v32
	s_waitcnt lgkmcnt(0)
	s_delay_alu instid0(VALU_DEP_1)
	v_fma_f64 v[34:35], v[39:40], v[36:37], v[34:35]
	v_cmpx_ne_u32_e32 4, v0
	s_cbranch_execz .LBB15_319
; %bb.312:
	v_add_nc_u32_e32 v39, 5, v0
	s_delay_alu instid0(VALU_DEP_1) | instskip(SKIP_2) | instid1(VALU_DEP_2)
	v_cmp_eq_u32_e32 vcc_lo, 1, v39
	v_dual_cndmask_b32 v36, v3, v5 :: v_dual_cndmask_b32 v37, v2, v4
	v_cmp_eq_u32_e32 vcc_lo, 2, v39
	v_dual_cndmask_b32 v36, v36, v7 :: v_dual_cndmask_b32 v37, v37, v6
	v_cmp_eq_u32_e32 vcc_lo, 3, v39
	s_delay_alu instid0(VALU_DEP_2) | instskip(SKIP_1) | instid1(VALU_DEP_2)
	v_dual_cndmask_b32 v36, v36, v9 :: v_dual_cndmask_b32 v37, v37, v8
	v_cmp_eq_u32_e32 vcc_lo, 4, v39
	v_dual_cndmask_b32 v36, v36, v11 :: v_dual_cndmask_b32 v37, v37, v10
	v_cmp_eq_u32_e32 vcc_lo, 5, v39
	s_delay_alu instid0(VALU_DEP_2) | instskip(SKIP_1) | instid1(VALU_DEP_2)
	;; [unrolled: 5-line block ×5, first 2 shown]
	v_dual_cndmask_b32 v36, v36, v25 :: v_dual_cndmask_b32 v37, v37, v24
	v_cmp_eq_u32_e32 vcc_lo, 12, v39
	v_dual_cndmask_b32 v40, v36, v27 :: v_dual_cndmask_b32 v41, v37, v26
	v_cmp_eq_u32_e32 vcc_lo, 13, v39
	ds_load_b64 v[36:37], v100 offset:40
	v_dual_cndmask_b32 v40, v40, v29 :: v_dual_cndmask_b32 v41, v41, v28
	v_cmp_eq_u32_e32 vcc_lo, 14, v39
	s_delay_alu instid0(VALU_DEP_2) | instskip(SKIP_1) | instid1(VALU_DEP_2)
	v_dual_cndmask_b32 v40, v40, v31 :: v_dual_cndmask_b32 v41, v41, v30
	v_cmp_eq_u32_e32 vcc_lo, 15, v39
	v_dual_cndmask_b32 v40, v40, v33 :: v_dual_cndmask_b32 v39, v41, v32
	s_waitcnt lgkmcnt(0)
	s_delay_alu instid0(VALU_DEP_1)
	v_fma_f64 v[34:35], v[39:40], v[36:37], v[34:35]
	s_and_saveexec_b32 s8, s1
	s_cbranch_execz .LBB15_318
; %bb.313:
	v_add_nc_u32_e32 v39, 6, v0
	s_mov_b32 s1, exec_lo
	s_delay_alu instid0(VALU_DEP_1) | instskip(SKIP_2) | instid1(VALU_DEP_2)
	v_cmp_eq_u32_e32 vcc_lo, 1, v39
	v_dual_cndmask_b32 v36, v3, v5 :: v_dual_cndmask_b32 v37, v2, v4
	v_cmp_eq_u32_e32 vcc_lo, 2, v39
	v_dual_cndmask_b32 v36, v36, v7 :: v_dual_cndmask_b32 v37, v37, v6
	v_cmp_eq_u32_e32 vcc_lo, 3, v39
	s_delay_alu instid0(VALU_DEP_2) | instskip(SKIP_1) | instid1(VALU_DEP_2)
	v_dual_cndmask_b32 v36, v36, v9 :: v_dual_cndmask_b32 v37, v37, v8
	v_cmp_eq_u32_e32 vcc_lo, 4, v39
	v_dual_cndmask_b32 v36, v36, v11 :: v_dual_cndmask_b32 v37, v37, v10
	v_cmp_eq_u32_e32 vcc_lo, 5, v39
	s_delay_alu instid0(VALU_DEP_2) | instskip(SKIP_1) | instid1(VALU_DEP_2)
	;; [unrolled: 5-line block ×5, first 2 shown]
	v_dual_cndmask_b32 v36, v36, v25 :: v_dual_cndmask_b32 v37, v37, v24
	v_cmp_eq_u32_e32 vcc_lo, 12, v39
	v_dual_cndmask_b32 v40, v36, v27 :: v_dual_cndmask_b32 v41, v37, v26
	v_cmp_eq_u32_e32 vcc_lo, 13, v39
	ds_load_b64 v[36:37], v100 offset:48
	v_dual_cndmask_b32 v40, v40, v29 :: v_dual_cndmask_b32 v41, v41, v28
	v_cmp_eq_u32_e32 vcc_lo, 14, v39
	s_delay_alu instid0(VALU_DEP_2) | instskip(SKIP_1) | instid1(VALU_DEP_2)
	v_dual_cndmask_b32 v40, v40, v31 :: v_dual_cndmask_b32 v41, v41, v30
	v_cmp_eq_u32_e32 vcc_lo, 15, v39
	v_dual_cndmask_b32 v40, v40, v33 :: v_dual_cndmask_b32 v39, v41, v32
	s_waitcnt lgkmcnt(0)
	s_delay_alu instid0(VALU_DEP_1)
	v_fma_f64 v[34:35], v[39:40], v[36:37], v[34:35]
	v_cmpx_ne_u32_e32 2, v0
	s_cbranch_execz .LBB15_317
; %bb.314:
	v_add_nc_u32_e32 v36, 7, v0
	s_delay_alu instid0(VALU_DEP_1) | instskip(SKIP_3) | instid1(VALU_DEP_3)
	v_cmp_eq_u32_e32 vcc_lo, 1, v36
	v_cndmask_b32_e32 v37, v3, v5, vcc_lo
	v_cndmask_b32_e32 v39, v2, v4, vcc_lo
	v_cmp_eq_u32_e32 vcc_lo, 2, v36
	v_cndmask_b32_e32 v37, v37, v7, vcc_lo
	s_delay_alu instid0(VALU_DEP_3) | instskip(SKIP_1) | instid1(VALU_DEP_3)
	v_cndmask_b32_e32 v39, v39, v6, vcc_lo
	v_cmp_eq_u32_e32 vcc_lo, 3, v36
	v_cndmask_b32_e32 v37, v37, v9, vcc_lo
	s_delay_alu instid0(VALU_DEP_3) | instskip(SKIP_1) | instid1(VALU_DEP_3)
	;; [unrolled: 4-line block ×6, first 2 shown]
	v_cndmask_b32_e32 v39, v39, v16, vcc_lo
	v_cmp_eq_u32_e32 vcc_lo, 8, v36
	v_cndmask_b32_e32 v37, v37, v19, vcc_lo
	s_delay_alu instid0(VALU_DEP_3) | instskip(SKIP_1) | instid1(VALU_DEP_2)
	v_cndmask_b32_e32 v39, v39, v18, vcc_lo
	v_cmp_eq_u32_e32 vcc_lo, 9, v36
	v_dual_cndmask_b32 v21, v37, v21 :: v_dual_cndmask_b32 v20, v39, v20
	v_cmp_eq_u32_e32 vcc_lo, 10, v36
	s_delay_alu instid0(VALU_DEP_2) | instskip(SKIP_1) | instid1(VALU_DEP_2)
	v_dual_cndmask_b32 v21, v21, v23 :: v_dual_cndmask_b32 v20, v20, v22
	v_cmp_eq_u32_e32 vcc_lo, 11, v36
	v_dual_cndmask_b32 v21, v21, v25 :: v_dual_cndmask_b32 v20, v20, v24
	v_cmp_eq_u32_e32 vcc_lo, 12, v36
	s_delay_alu instid0(VALU_DEP_2) | instskip(NEXT) | instid1(VALU_DEP_3)
	v_cndmask_b32_e32 v37, v21, v27, vcc_lo
	v_cndmask_b32_e32 v39, v20, v26, vcc_lo
	v_cmp_eq_u32_e32 vcc_lo, 13, v36
	ds_load_b64 v[20:21], v100 offset:56
	v_cndmask_b32_e32 v37, v37, v29, vcc_lo
	v_cndmask_b32_e32 v39, v39, v28, vcc_lo
	v_cmp_eq_u32_e32 vcc_lo, 14, v36
	s_delay_alu instid0(VALU_DEP_3) | instskip(NEXT) | instid1(VALU_DEP_3)
	v_cndmask_b32_e32 v37, v37, v31, vcc_lo
	v_cndmask_b32_e32 v39, v39, v30, vcc_lo
	v_cmp_eq_u32_e32 vcc_lo, 15, v36
	s_delay_alu instid0(VALU_DEP_2) | instskip(SKIP_1) | instid1(VALU_DEP_1)
	v_dual_cndmask_b32 v36, v39, v32 :: v_dual_cndmask_b32 v37, v37, v33
	s_waitcnt lgkmcnt(0)
	v_fma_f64 v[34:35], v[36:37], v[20:21], v[34:35]
	s_and_saveexec_b32 s9, s0
	s_cbranch_execz .LBB15_316
; %bb.315:
	ds_load_b64 v[20:21], v100 offset:64
	s_waitcnt lgkmcnt(0)
	v_fma_f64 v[34:35], v[18:19], v[20:21], v[34:35]
.LBB15_316:
	s_or_b32 exec_lo, exec_lo, s9
.LBB15_317:
	s_delay_alu instid0(SALU_CYCLE_1)
	s_or_b32 exec_lo, exec_lo, s1
.LBB15_318:
	s_delay_alu instid0(SALU_CYCLE_1)
	s_or_b32 exec_lo, exec_lo, s8
.LBB15_319:
	s_delay_alu instid0(SALU_CYCLE_1)
	s_or_b32 exec_lo, exec_lo, s2
.LBB15_320:
	s_delay_alu instid0(SALU_CYCLE_1)
	s_or_b32 exec_lo, exec_lo, s7
.LBB15_321:
	s_delay_alu instid0(SALU_CYCLE_1)
	s_or_b32 exec_lo, exec_lo, s3
.LBB15_322:
	s_delay_alu instid0(SALU_CYCLE_1)
	s_or_b32 exec_lo, exec_lo, s6
.LBB15_323:
	s_delay_alu instid0(SALU_CYCLE_1)
	s_or_b32 exec_lo, exec_lo, s5
	v_mov_b32_e32 v20, 0
	ds_load_b64 v[20:21], v20 offset:72
	s_waitcnt lgkmcnt(0)
	v_mul_f64 v[20:21], v[34:35], v[20:21]
.LBB15_324:
	s_or_b32 exec_lo, exec_lo, s4
	s_delay_alu instid0(SALU_CYCLE_1)
	s_mov_b32 s1, exec_lo
	ds_store_b64 v100, v[22:23]
	s_waitcnt lgkmcnt(0)
	s_barrier
	buffer_gl0_inv
	v_cmpx_gt_u32_e32 10, v0
	s_cbranch_execz .LBB15_334
; %bb.325:
	v_cmp_ne_u32_e32 vcc_lo, 1, v38
	s_cbranch_vccnz .LBB15_327
; %bb.326:
	v_cmp_eq_u32_e32 vcc_lo, 1, v0
	v_dual_cndmask_b32 v34, v3, v5 :: v_dual_cndmask_b32 v35, v2, v4
	v_cmp_eq_u32_e32 vcc_lo, 2, v0
	s_delay_alu instid0(VALU_DEP_2) | instskip(SKIP_1) | instid1(VALU_DEP_2)
	v_dual_cndmask_b32 v34, v34, v7 :: v_dual_cndmask_b32 v35, v35, v6
	v_cmp_eq_u32_e32 vcc_lo, 3, v0
	v_dual_cndmask_b32 v34, v34, v9 :: v_dual_cndmask_b32 v35, v35, v8
	v_cmp_eq_u32_e32 vcc_lo, 4, v0
	s_delay_alu instid0(VALU_DEP_2) | instskip(SKIP_1) | instid1(VALU_DEP_2)
	v_dual_cndmask_b32 v34, v34, v11 :: v_dual_cndmask_b32 v35, v35, v10
	v_cmp_eq_u32_e32 vcc_lo, 5, v0
	v_dual_cndmask_b32 v34, v34, v13 :: v_dual_cndmask_b32 v35, v35, v12
	v_cmp_eq_u32_e32 vcc_lo, 6, v0
	s_delay_alu instid0(VALU_DEP_2) | instskip(SKIP_1) | instid1(VALU_DEP_2)
	v_dual_cndmask_b32 v34, v34, v15 :: v_dual_cndmask_b32 v35, v35, v14
	v_cmp_eq_u32_e32 vcc_lo, 7, v0
	v_dual_cndmask_b32 v34, v34, v17 :: v_dual_cndmask_b32 v35, v35, v16
	v_cmp_eq_u32_e32 vcc_lo, 8, v0
	s_delay_alu instid0(VALU_DEP_2) | instskip(SKIP_1) | instid1(VALU_DEP_2)
	v_dual_cndmask_b32 v34, v34, v19 :: v_dual_cndmask_b32 v35, v35, v18
	v_cmp_eq_u32_e32 vcc_lo, 9, v0
	v_dual_cndmask_b32 v34, v34, v21 :: v_dual_cndmask_b32 v35, v35, v20
	v_cmp_eq_u32_e32 vcc_lo, 10, v0
	s_delay_alu instid0(VALU_DEP_2) | instskip(SKIP_1) | instid1(VALU_DEP_2)
	v_dual_cndmask_b32 v34, v34, v23 :: v_dual_cndmask_b32 v35, v35, v22
	v_cmp_eq_u32_e32 vcc_lo, 11, v0
	v_dual_cndmask_b32 v34, v34, v25 :: v_dual_cndmask_b32 v35, v35, v24
	v_cmp_eq_u32_e32 vcc_lo, 12, v0
	s_delay_alu instid0(VALU_DEP_2) | instskip(SKIP_4) | instid1(VALU_DEP_2)
	v_dual_cndmask_b32 v36, v34, v27 :: v_dual_cndmask_b32 v37, v35, v26
	v_cmp_eq_u32_e32 vcc_lo, 13, v0
	ds_load_b64 v[34:35], v100
	v_dual_cndmask_b32 v36, v36, v29 :: v_dual_cndmask_b32 v37, v37, v28
	v_cmp_eq_u32_e32 vcc_lo, 14, v0
	v_dual_cndmask_b32 v36, v36, v31 :: v_dual_cndmask_b32 v39, v37, v30
	v_cmp_eq_u32_e32 vcc_lo, 15, v0
	s_delay_alu instid0(VALU_DEP_2) | instskip(SKIP_1) | instid1(VALU_DEP_1)
	v_dual_cndmask_b32 v37, v36, v33 :: v_dual_cndmask_b32 v36, v39, v32
	s_waitcnt lgkmcnt(0)
	v_mul_f64 v[34:35], v[36:37], v[34:35]
	s_cbranch_execz .LBB15_328
	s_branch .LBB15_329
.LBB15_327:
                                        ; implicit-def: $vgpr34_vgpr35
.LBB15_328:
	ds_load_b64 v[34:35], v100
.LBB15_329:
	s_mov_b32 s2, exec_lo
	v_cmpx_ne_u32_e32 9, v0
	s_cbranch_execz .LBB15_333
; %bb.330:
	v_lshl_add_u32 v39, v0, 3, 0x88
	v_dual_mov_b32 v37, v1 :: v_dual_mov_b32 v36, v0
	s_mov_b32 s3, 0
.LBB15_331:                             ; =>This Inner Loop Header: Depth=1
	s_delay_alu instid0(VALU_DEP_1) | instskip(NEXT) | instid1(VALU_DEP_2)
	v_add_co_u32 v36, vcc_lo, v36, 1
	v_add_co_ci_u32_e32 v37, vcc_lo, 0, v37, vcc_lo
	s_delay_alu instid0(VALU_DEP_2) | instskip(SKIP_3) | instid1(VALU_DEP_2)
	v_cmp_eq_u32_e32 vcc_lo, 1, v36
	v_cmp_eq_u32_e64 s0, 2, v36
	v_dual_cndmask_b32 v40, v3, v5 :: v_dual_cndmask_b32 v41, v2, v4
	v_cmp_eq_u32_e32 vcc_lo, 3, v36
	v_cndmask_b32_e64 v40, v40, v7, s0
	s_delay_alu instid0(VALU_DEP_3) | instskip(SKIP_1) | instid1(VALU_DEP_2)
	v_cndmask_b32_e64 v41, v41, v6, s0
	v_cmp_eq_u32_e64 s0, 4, v36
	v_dual_cndmask_b32 v40, v40, v9 :: v_dual_cndmask_b32 v41, v41, v8
	v_cmp_eq_u32_e32 vcc_lo, 5, v36
	s_delay_alu instid0(VALU_DEP_2) | instskip(NEXT) | instid1(VALU_DEP_3)
	v_cndmask_b32_e64 v40, v40, v11, s0
	v_cndmask_b32_e64 v41, v41, v10, s0
	v_cmp_eq_u32_e64 s0, 6, v36
	s_delay_alu instid0(VALU_DEP_2) | instskip(SKIP_1) | instid1(VALU_DEP_2)
	v_dual_cndmask_b32 v40, v40, v13 :: v_dual_cndmask_b32 v41, v41, v12
	v_cmp_eq_u32_e32 vcc_lo, 7, v36
	v_cndmask_b32_e64 v40, v40, v15, s0
	s_delay_alu instid0(VALU_DEP_3) | instskip(SKIP_1) | instid1(VALU_DEP_2)
	v_cndmask_b32_e64 v41, v41, v14, s0
	v_cmp_eq_u32_e64 s0, 8, v36
	v_dual_cndmask_b32 v40, v40, v17 :: v_dual_cndmask_b32 v41, v41, v16
	v_cmp_eq_u32_e32 vcc_lo, 9, v36
	s_delay_alu instid0(VALU_DEP_2) | instskip(NEXT) | instid1(VALU_DEP_3)
	v_cndmask_b32_e64 v40, v40, v19, s0
	v_cndmask_b32_e64 v41, v41, v18, s0
	v_cmp_eq_u32_e64 s0, 10, v36
	s_delay_alu instid0(VALU_DEP_2) | instskip(SKIP_1) | instid1(VALU_DEP_2)
	v_dual_cndmask_b32 v40, v40, v21 :: v_dual_cndmask_b32 v41, v41, v20
	v_cmp_eq_u32_e32 vcc_lo, 11, v36
	v_cndmask_b32_e64 v40, v40, v23, s0
	s_delay_alu instid0(VALU_DEP_3) | instskip(SKIP_1) | instid1(VALU_DEP_2)
	v_cndmask_b32_e64 v41, v41, v22, s0
	v_cmp_eq_u32_e64 s0, 12, v36
	v_dual_cndmask_b32 v42, v40, v25 :: v_dual_cndmask_b32 v43, v41, v24
	ds_load_b64 v[40:41], v39
	v_cmp_eq_u32_e32 vcc_lo, 13, v36
	v_add_nc_u32_e32 v39, 8, v39
	v_cndmask_b32_e64 v42, v42, v27, s0
	v_cndmask_b32_e64 v43, v43, v26, s0
	v_cmp_eq_u32_e64 s0, 14, v36
	s_delay_alu instid0(VALU_DEP_2) | instskip(SKIP_1) | instid1(VALU_DEP_2)
	v_dual_cndmask_b32 v42, v42, v29 :: v_dual_cndmask_b32 v43, v43, v28
	v_cmp_eq_u32_e32 vcc_lo, 15, v36
	v_cndmask_b32_e64 v42, v42, v31, s0
	s_delay_alu instid0(VALU_DEP_3) | instskip(NEXT) | instid1(VALU_DEP_1)
	v_cndmask_b32_e64 v44, v43, v30, s0
	v_dual_cndmask_b32 v43, v42, v33 :: v_dual_cndmask_b32 v42, v44, v32
	v_cmp_lt_u32_e32 vcc_lo, 8, v36
	s_waitcnt lgkmcnt(0)
	s_delay_alu instid0(VALU_DEP_2) | instskip(SKIP_1) | instid1(SALU_CYCLE_1)
	v_fma_f64 v[34:35], v[42:43], v[40:41], v[34:35]
	s_or_b32 s3, vcc_lo, s3
	s_and_not1_b32 exec_lo, exec_lo, s3
	s_cbranch_execnz .LBB15_331
; %bb.332:
	s_or_b32 exec_lo, exec_lo, s3
.LBB15_333:
	s_delay_alu instid0(SALU_CYCLE_1)
	s_or_b32 exec_lo, exec_lo, s2
	v_mov_b32_e32 v22, 0
	ds_load_b64 v[22:23], v22 offset:80
	s_waitcnt lgkmcnt(0)
	v_mul_f64 v[22:23], v[34:35], v[22:23]
.LBB15_334:
	s_or_b32 exec_lo, exec_lo, s1
	s_delay_alu instid0(SALU_CYCLE_1)
	s_mov_b32 s1, exec_lo
	ds_store_b64 v100, v[24:25]
	s_waitcnt lgkmcnt(0)
	s_barrier
	buffer_gl0_inv
	v_cmpx_gt_u32_e32 11, v0
	s_cbranch_execz .LBB15_344
; %bb.335:
	v_cmp_ne_u32_e32 vcc_lo, 1, v38
	s_cbranch_vccnz .LBB15_337
; %bb.336:
	v_cmp_eq_u32_e32 vcc_lo, 1, v0
	v_dual_cndmask_b32 v34, v3, v5 :: v_dual_cndmask_b32 v35, v2, v4
	v_cmp_eq_u32_e32 vcc_lo, 2, v0
	s_delay_alu instid0(VALU_DEP_2) | instskip(SKIP_1) | instid1(VALU_DEP_2)
	v_dual_cndmask_b32 v34, v34, v7 :: v_dual_cndmask_b32 v35, v35, v6
	v_cmp_eq_u32_e32 vcc_lo, 3, v0
	v_dual_cndmask_b32 v34, v34, v9 :: v_dual_cndmask_b32 v35, v35, v8
	v_cmp_eq_u32_e32 vcc_lo, 4, v0
	s_delay_alu instid0(VALU_DEP_2) | instskip(SKIP_1) | instid1(VALU_DEP_2)
	v_dual_cndmask_b32 v34, v34, v11 :: v_dual_cndmask_b32 v35, v35, v10
	;; [unrolled: 5-line block ×5, first 2 shown]
	v_cmp_eq_u32_e32 vcc_lo, 11, v0
	v_dual_cndmask_b32 v34, v34, v25 :: v_dual_cndmask_b32 v35, v35, v24
	v_cmp_eq_u32_e32 vcc_lo, 12, v0
	s_delay_alu instid0(VALU_DEP_2) | instskip(SKIP_4) | instid1(VALU_DEP_2)
	v_dual_cndmask_b32 v36, v34, v27 :: v_dual_cndmask_b32 v37, v35, v26
	v_cmp_eq_u32_e32 vcc_lo, 13, v0
	ds_load_b64 v[34:35], v100
	v_dual_cndmask_b32 v36, v36, v29 :: v_dual_cndmask_b32 v37, v37, v28
	v_cmp_eq_u32_e32 vcc_lo, 14, v0
	v_dual_cndmask_b32 v36, v36, v31 :: v_dual_cndmask_b32 v39, v37, v30
	v_cmp_eq_u32_e32 vcc_lo, 15, v0
	s_delay_alu instid0(VALU_DEP_2) | instskip(SKIP_1) | instid1(VALU_DEP_1)
	v_dual_cndmask_b32 v37, v36, v33 :: v_dual_cndmask_b32 v36, v39, v32
	s_waitcnt lgkmcnt(0)
	v_mul_f64 v[34:35], v[36:37], v[34:35]
	s_cbranch_execz .LBB15_338
	s_branch .LBB15_339
.LBB15_337:
                                        ; implicit-def: $vgpr34_vgpr35
.LBB15_338:
	ds_load_b64 v[34:35], v100
.LBB15_339:
	s_mov_b32 s2, exec_lo
	v_cmpx_ne_u32_e32 10, v0
	s_cbranch_execz .LBB15_343
; %bb.340:
	v_lshl_add_u32 v39, v0, 3, 0x88
	v_dual_mov_b32 v37, v1 :: v_dual_mov_b32 v36, v0
	s_mov_b32 s3, 0
.LBB15_341:                             ; =>This Inner Loop Header: Depth=1
	s_delay_alu instid0(VALU_DEP_1) | instskip(NEXT) | instid1(VALU_DEP_2)
	v_add_co_u32 v36, vcc_lo, v36, 1
	v_add_co_ci_u32_e32 v37, vcc_lo, 0, v37, vcc_lo
	s_delay_alu instid0(VALU_DEP_2) | instskip(SKIP_3) | instid1(VALU_DEP_2)
	v_cmp_eq_u32_e32 vcc_lo, 1, v36
	v_cmp_eq_u32_e64 s0, 2, v36
	v_dual_cndmask_b32 v40, v3, v5 :: v_dual_cndmask_b32 v41, v2, v4
	v_cmp_eq_u32_e32 vcc_lo, 3, v36
	v_cndmask_b32_e64 v40, v40, v7, s0
	s_delay_alu instid0(VALU_DEP_3) | instskip(SKIP_1) | instid1(VALU_DEP_2)
	v_cndmask_b32_e64 v41, v41, v6, s0
	v_cmp_eq_u32_e64 s0, 4, v36
	v_dual_cndmask_b32 v40, v40, v9 :: v_dual_cndmask_b32 v41, v41, v8
	v_cmp_eq_u32_e32 vcc_lo, 5, v36
	s_delay_alu instid0(VALU_DEP_2) | instskip(NEXT) | instid1(VALU_DEP_3)
	v_cndmask_b32_e64 v40, v40, v11, s0
	v_cndmask_b32_e64 v41, v41, v10, s0
	v_cmp_eq_u32_e64 s0, 6, v36
	s_delay_alu instid0(VALU_DEP_2) | instskip(SKIP_1) | instid1(VALU_DEP_2)
	v_dual_cndmask_b32 v40, v40, v13 :: v_dual_cndmask_b32 v41, v41, v12
	v_cmp_eq_u32_e32 vcc_lo, 7, v36
	v_cndmask_b32_e64 v40, v40, v15, s0
	s_delay_alu instid0(VALU_DEP_3) | instskip(SKIP_1) | instid1(VALU_DEP_2)
	v_cndmask_b32_e64 v41, v41, v14, s0
	v_cmp_eq_u32_e64 s0, 8, v36
	v_dual_cndmask_b32 v40, v40, v17 :: v_dual_cndmask_b32 v41, v41, v16
	v_cmp_eq_u32_e32 vcc_lo, 9, v36
	s_delay_alu instid0(VALU_DEP_2) | instskip(NEXT) | instid1(VALU_DEP_3)
	v_cndmask_b32_e64 v40, v40, v19, s0
	v_cndmask_b32_e64 v41, v41, v18, s0
	v_cmp_eq_u32_e64 s0, 10, v36
	s_delay_alu instid0(VALU_DEP_2) | instskip(SKIP_1) | instid1(VALU_DEP_2)
	v_dual_cndmask_b32 v40, v40, v21 :: v_dual_cndmask_b32 v41, v41, v20
	v_cmp_eq_u32_e32 vcc_lo, 11, v36
	v_cndmask_b32_e64 v40, v40, v23, s0
	s_delay_alu instid0(VALU_DEP_3) | instskip(SKIP_1) | instid1(VALU_DEP_2)
	v_cndmask_b32_e64 v41, v41, v22, s0
	v_cmp_eq_u32_e64 s0, 12, v36
	v_dual_cndmask_b32 v42, v40, v25 :: v_dual_cndmask_b32 v43, v41, v24
	ds_load_b64 v[40:41], v39
	v_cmp_eq_u32_e32 vcc_lo, 13, v36
	v_add_nc_u32_e32 v39, 8, v39
	v_cndmask_b32_e64 v42, v42, v27, s0
	v_cndmask_b32_e64 v43, v43, v26, s0
	v_cmp_eq_u32_e64 s0, 14, v36
	s_delay_alu instid0(VALU_DEP_2) | instskip(SKIP_1) | instid1(VALU_DEP_2)
	v_dual_cndmask_b32 v42, v42, v29 :: v_dual_cndmask_b32 v43, v43, v28
	v_cmp_eq_u32_e32 vcc_lo, 15, v36
	v_cndmask_b32_e64 v42, v42, v31, s0
	s_delay_alu instid0(VALU_DEP_3) | instskip(NEXT) | instid1(VALU_DEP_1)
	v_cndmask_b32_e64 v44, v43, v30, s0
	v_dual_cndmask_b32 v43, v42, v33 :: v_dual_cndmask_b32 v42, v44, v32
	v_cmp_lt_u32_e32 vcc_lo, 9, v36
	s_waitcnt lgkmcnt(0)
	s_delay_alu instid0(VALU_DEP_2) | instskip(SKIP_1) | instid1(SALU_CYCLE_1)
	v_fma_f64 v[34:35], v[42:43], v[40:41], v[34:35]
	s_or_b32 s3, vcc_lo, s3
	s_and_not1_b32 exec_lo, exec_lo, s3
	s_cbranch_execnz .LBB15_341
; %bb.342:
	s_or_b32 exec_lo, exec_lo, s3
.LBB15_343:
	s_delay_alu instid0(SALU_CYCLE_1)
	s_or_b32 exec_lo, exec_lo, s2
	v_mov_b32_e32 v24, 0
	ds_load_b64 v[24:25], v24 offset:88
	s_waitcnt lgkmcnt(0)
	v_mul_f64 v[24:25], v[34:35], v[24:25]
.LBB15_344:
	s_or_b32 exec_lo, exec_lo, s1
	s_delay_alu instid0(SALU_CYCLE_1)
	s_mov_b32 s1, exec_lo
	ds_store_b64 v100, v[26:27]
	s_waitcnt lgkmcnt(0)
	s_barrier
	buffer_gl0_inv
	v_cmpx_gt_u32_e32 12, v0
	s_cbranch_execz .LBB15_354
; %bb.345:
	v_cmp_ne_u32_e32 vcc_lo, 1, v38
	s_cbranch_vccnz .LBB15_347
; %bb.346:
	v_cmp_eq_u32_e32 vcc_lo, 1, v0
	v_dual_cndmask_b32 v34, v3, v5 :: v_dual_cndmask_b32 v35, v2, v4
	v_cmp_eq_u32_e32 vcc_lo, 2, v0
	s_delay_alu instid0(VALU_DEP_2) | instskip(SKIP_1) | instid1(VALU_DEP_2)
	v_dual_cndmask_b32 v34, v34, v7 :: v_dual_cndmask_b32 v35, v35, v6
	v_cmp_eq_u32_e32 vcc_lo, 3, v0
	v_dual_cndmask_b32 v34, v34, v9 :: v_dual_cndmask_b32 v35, v35, v8
	v_cmp_eq_u32_e32 vcc_lo, 4, v0
	s_delay_alu instid0(VALU_DEP_2) | instskip(SKIP_1) | instid1(VALU_DEP_2)
	v_dual_cndmask_b32 v34, v34, v11 :: v_dual_cndmask_b32 v35, v35, v10
	;; [unrolled: 5-line block ×5, first 2 shown]
	v_cmp_eq_u32_e32 vcc_lo, 11, v0
	v_dual_cndmask_b32 v34, v34, v25 :: v_dual_cndmask_b32 v35, v35, v24
	v_cmp_eq_u32_e32 vcc_lo, 12, v0
	s_delay_alu instid0(VALU_DEP_2) | instskip(SKIP_4) | instid1(VALU_DEP_2)
	v_dual_cndmask_b32 v36, v34, v27 :: v_dual_cndmask_b32 v37, v35, v26
	v_cmp_eq_u32_e32 vcc_lo, 13, v0
	ds_load_b64 v[34:35], v100
	v_dual_cndmask_b32 v36, v36, v29 :: v_dual_cndmask_b32 v37, v37, v28
	v_cmp_eq_u32_e32 vcc_lo, 14, v0
	v_dual_cndmask_b32 v36, v36, v31 :: v_dual_cndmask_b32 v39, v37, v30
	v_cmp_eq_u32_e32 vcc_lo, 15, v0
	s_delay_alu instid0(VALU_DEP_2) | instskip(SKIP_1) | instid1(VALU_DEP_1)
	v_dual_cndmask_b32 v37, v36, v33 :: v_dual_cndmask_b32 v36, v39, v32
	s_waitcnt lgkmcnt(0)
	v_mul_f64 v[34:35], v[36:37], v[34:35]
	s_cbranch_execz .LBB15_348
	s_branch .LBB15_349
.LBB15_347:
                                        ; implicit-def: $vgpr34_vgpr35
.LBB15_348:
	ds_load_b64 v[34:35], v100
.LBB15_349:
	s_mov_b32 s2, exec_lo
	v_cmpx_ne_u32_e32 11, v0
	s_cbranch_execz .LBB15_353
; %bb.350:
	v_lshl_add_u32 v39, v0, 3, 0x88
	v_dual_mov_b32 v37, v1 :: v_dual_mov_b32 v36, v0
	s_mov_b32 s3, 0
.LBB15_351:                             ; =>This Inner Loop Header: Depth=1
	s_delay_alu instid0(VALU_DEP_1) | instskip(NEXT) | instid1(VALU_DEP_2)
	v_add_co_u32 v36, vcc_lo, v36, 1
	v_add_co_ci_u32_e32 v37, vcc_lo, 0, v37, vcc_lo
	s_delay_alu instid0(VALU_DEP_2) | instskip(SKIP_3) | instid1(VALU_DEP_2)
	v_cmp_eq_u32_e32 vcc_lo, 1, v36
	v_cmp_eq_u32_e64 s0, 2, v36
	v_dual_cndmask_b32 v40, v3, v5 :: v_dual_cndmask_b32 v41, v2, v4
	v_cmp_eq_u32_e32 vcc_lo, 3, v36
	v_cndmask_b32_e64 v40, v40, v7, s0
	s_delay_alu instid0(VALU_DEP_3) | instskip(SKIP_1) | instid1(VALU_DEP_2)
	v_cndmask_b32_e64 v41, v41, v6, s0
	v_cmp_eq_u32_e64 s0, 4, v36
	v_dual_cndmask_b32 v40, v40, v9 :: v_dual_cndmask_b32 v41, v41, v8
	v_cmp_eq_u32_e32 vcc_lo, 5, v36
	s_delay_alu instid0(VALU_DEP_2) | instskip(NEXT) | instid1(VALU_DEP_3)
	v_cndmask_b32_e64 v40, v40, v11, s0
	v_cndmask_b32_e64 v41, v41, v10, s0
	v_cmp_eq_u32_e64 s0, 6, v36
	s_delay_alu instid0(VALU_DEP_2) | instskip(SKIP_1) | instid1(VALU_DEP_2)
	v_dual_cndmask_b32 v40, v40, v13 :: v_dual_cndmask_b32 v41, v41, v12
	v_cmp_eq_u32_e32 vcc_lo, 7, v36
	v_cndmask_b32_e64 v40, v40, v15, s0
	s_delay_alu instid0(VALU_DEP_3) | instskip(SKIP_1) | instid1(VALU_DEP_2)
	v_cndmask_b32_e64 v41, v41, v14, s0
	v_cmp_eq_u32_e64 s0, 8, v36
	v_dual_cndmask_b32 v40, v40, v17 :: v_dual_cndmask_b32 v41, v41, v16
	v_cmp_eq_u32_e32 vcc_lo, 9, v36
	s_delay_alu instid0(VALU_DEP_2) | instskip(NEXT) | instid1(VALU_DEP_3)
	v_cndmask_b32_e64 v40, v40, v19, s0
	v_cndmask_b32_e64 v41, v41, v18, s0
	v_cmp_eq_u32_e64 s0, 10, v36
	s_delay_alu instid0(VALU_DEP_2) | instskip(SKIP_1) | instid1(VALU_DEP_2)
	v_dual_cndmask_b32 v40, v40, v21 :: v_dual_cndmask_b32 v41, v41, v20
	v_cmp_eq_u32_e32 vcc_lo, 11, v36
	v_cndmask_b32_e64 v40, v40, v23, s0
	s_delay_alu instid0(VALU_DEP_3) | instskip(SKIP_1) | instid1(VALU_DEP_2)
	v_cndmask_b32_e64 v41, v41, v22, s0
	v_cmp_eq_u32_e64 s0, 12, v36
	v_dual_cndmask_b32 v42, v40, v25 :: v_dual_cndmask_b32 v43, v41, v24
	ds_load_b64 v[40:41], v39
	v_cmp_eq_u32_e32 vcc_lo, 13, v36
	v_add_nc_u32_e32 v39, 8, v39
	v_cndmask_b32_e64 v42, v42, v27, s0
	v_cndmask_b32_e64 v43, v43, v26, s0
	v_cmp_eq_u32_e64 s0, 14, v36
	s_delay_alu instid0(VALU_DEP_2) | instskip(SKIP_1) | instid1(VALU_DEP_2)
	v_dual_cndmask_b32 v42, v42, v29 :: v_dual_cndmask_b32 v43, v43, v28
	v_cmp_eq_u32_e32 vcc_lo, 15, v36
	v_cndmask_b32_e64 v42, v42, v31, s0
	s_delay_alu instid0(VALU_DEP_3) | instskip(NEXT) | instid1(VALU_DEP_1)
	v_cndmask_b32_e64 v44, v43, v30, s0
	v_dual_cndmask_b32 v43, v42, v33 :: v_dual_cndmask_b32 v42, v44, v32
	v_cmp_lt_u32_e32 vcc_lo, 10, v36
	s_waitcnt lgkmcnt(0)
	s_delay_alu instid0(VALU_DEP_2) | instskip(SKIP_1) | instid1(SALU_CYCLE_1)
	v_fma_f64 v[34:35], v[42:43], v[40:41], v[34:35]
	s_or_b32 s3, vcc_lo, s3
	s_and_not1_b32 exec_lo, exec_lo, s3
	s_cbranch_execnz .LBB15_351
; %bb.352:
	s_or_b32 exec_lo, exec_lo, s3
.LBB15_353:
	s_delay_alu instid0(SALU_CYCLE_1)
	s_or_b32 exec_lo, exec_lo, s2
	v_mov_b32_e32 v26, 0
	ds_load_b64 v[26:27], v26 offset:96
	s_waitcnt lgkmcnt(0)
	v_mul_f64 v[26:27], v[34:35], v[26:27]
.LBB15_354:
	s_or_b32 exec_lo, exec_lo, s1
	s_delay_alu instid0(SALU_CYCLE_1)
	s_mov_b32 s1, exec_lo
	ds_store_b64 v100, v[28:29]
	s_waitcnt lgkmcnt(0)
	s_barrier
	buffer_gl0_inv
	v_cmpx_gt_u32_e32 13, v0
	s_cbranch_execz .LBB15_364
; %bb.355:
	v_cmp_ne_u32_e32 vcc_lo, 1, v38
	s_cbranch_vccnz .LBB15_357
; %bb.356:
	v_cmp_eq_u32_e32 vcc_lo, 1, v0
	v_dual_cndmask_b32 v34, v3, v5 :: v_dual_cndmask_b32 v35, v2, v4
	v_cmp_eq_u32_e32 vcc_lo, 2, v0
	s_delay_alu instid0(VALU_DEP_2) | instskip(SKIP_1) | instid1(VALU_DEP_2)
	v_dual_cndmask_b32 v34, v34, v7 :: v_dual_cndmask_b32 v35, v35, v6
	v_cmp_eq_u32_e32 vcc_lo, 3, v0
	v_dual_cndmask_b32 v34, v34, v9 :: v_dual_cndmask_b32 v35, v35, v8
	v_cmp_eq_u32_e32 vcc_lo, 4, v0
	s_delay_alu instid0(VALU_DEP_2) | instskip(SKIP_1) | instid1(VALU_DEP_2)
	v_dual_cndmask_b32 v34, v34, v11 :: v_dual_cndmask_b32 v35, v35, v10
	v_cmp_eq_u32_e32 vcc_lo, 5, v0
	v_dual_cndmask_b32 v34, v34, v13 :: v_dual_cndmask_b32 v35, v35, v12
	v_cmp_eq_u32_e32 vcc_lo, 6, v0
	s_delay_alu instid0(VALU_DEP_2) | instskip(SKIP_1) | instid1(VALU_DEP_2)
	v_dual_cndmask_b32 v34, v34, v15 :: v_dual_cndmask_b32 v35, v35, v14
	v_cmp_eq_u32_e32 vcc_lo, 7, v0
	v_dual_cndmask_b32 v34, v34, v17 :: v_dual_cndmask_b32 v35, v35, v16
	v_cmp_eq_u32_e32 vcc_lo, 8, v0
	s_delay_alu instid0(VALU_DEP_2) | instskip(SKIP_1) | instid1(VALU_DEP_2)
	v_dual_cndmask_b32 v34, v34, v19 :: v_dual_cndmask_b32 v35, v35, v18
	v_cmp_eq_u32_e32 vcc_lo, 9, v0
	v_dual_cndmask_b32 v34, v34, v21 :: v_dual_cndmask_b32 v35, v35, v20
	v_cmp_eq_u32_e32 vcc_lo, 10, v0
	s_delay_alu instid0(VALU_DEP_2) | instskip(SKIP_1) | instid1(VALU_DEP_2)
	v_dual_cndmask_b32 v34, v34, v23 :: v_dual_cndmask_b32 v35, v35, v22
	v_cmp_eq_u32_e32 vcc_lo, 11, v0
	v_dual_cndmask_b32 v34, v34, v25 :: v_dual_cndmask_b32 v35, v35, v24
	v_cmp_eq_u32_e32 vcc_lo, 12, v0
	s_delay_alu instid0(VALU_DEP_2) | instskip(SKIP_4) | instid1(VALU_DEP_2)
	v_dual_cndmask_b32 v36, v34, v27 :: v_dual_cndmask_b32 v37, v35, v26
	v_cmp_eq_u32_e32 vcc_lo, 13, v0
	ds_load_b64 v[34:35], v100
	v_dual_cndmask_b32 v36, v36, v29 :: v_dual_cndmask_b32 v37, v37, v28
	v_cmp_eq_u32_e32 vcc_lo, 14, v0
	v_dual_cndmask_b32 v36, v36, v31 :: v_dual_cndmask_b32 v39, v37, v30
	v_cmp_eq_u32_e32 vcc_lo, 15, v0
	s_delay_alu instid0(VALU_DEP_2) | instskip(SKIP_1) | instid1(VALU_DEP_1)
	v_dual_cndmask_b32 v37, v36, v33 :: v_dual_cndmask_b32 v36, v39, v32
	s_waitcnt lgkmcnt(0)
	v_mul_f64 v[34:35], v[36:37], v[34:35]
	s_cbranch_execz .LBB15_358
	s_branch .LBB15_359
.LBB15_357:
                                        ; implicit-def: $vgpr34_vgpr35
.LBB15_358:
	ds_load_b64 v[34:35], v100
.LBB15_359:
	s_mov_b32 s2, exec_lo
	v_cmpx_ne_u32_e32 12, v0
	s_cbranch_execz .LBB15_363
; %bb.360:
	v_lshl_add_u32 v39, v0, 3, 0x88
	v_dual_mov_b32 v37, v1 :: v_dual_mov_b32 v36, v0
	s_mov_b32 s3, 0
.LBB15_361:                             ; =>This Inner Loop Header: Depth=1
	s_delay_alu instid0(VALU_DEP_1) | instskip(NEXT) | instid1(VALU_DEP_2)
	v_add_co_u32 v36, vcc_lo, v36, 1
	v_add_co_ci_u32_e32 v37, vcc_lo, 0, v37, vcc_lo
	s_delay_alu instid0(VALU_DEP_2) | instskip(SKIP_3) | instid1(VALU_DEP_2)
	v_cmp_eq_u32_e32 vcc_lo, 1, v36
	v_cmp_eq_u32_e64 s0, 2, v36
	v_dual_cndmask_b32 v40, v3, v5 :: v_dual_cndmask_b32 v41, v2, v4
	v_cmp_eq_u32_e32 vcc_lo, 3, v36
	v_cndmask_b32_e64 v40, v40, v7, s0
	s_delay_alu instid0(VALU_DEP_3) | instskip(SKIP_1) | instid1(VALU_DEP_2)
	v_cndmask_b32_e64 v41, v41, v6, s0
	v_cmp_eq_u32_e64 s0, 4, v36
	v_dual_cndmask_b32 v40, v40, v9 :: v_dual_cndmask_b32 v41, v41, v8
	v_cmp_eq_u32_e32 vcc_lo, 5, v36
	s_delay_alu instid0(VALU_DEP_2) | instskip(NEXT) | instid1(VALU_DEP_3)
	v_cndmask_b32_e64 v40, v40, v11, s0
	v_cndmask_b32_e64 v41, v41, v10, s0
	v_cmp_eq_u32_e64 s0, 6, v36
	s_delay_alu instid0(VALU_DEP_2) | instskip(SKIP_1) | instid1(VALU_DEP_2)
	v_dual_cndmask_b32 v40, v40, v13 :: v_dual_cndmask_b32 v41, v41, v12
	v_cmp_eq_u32_e32 vcc_lo, 7, v36
	v_cndmask_b32_e64 v40, v40, v15, s0
	s_delay_alu instid0(VALU_DEP_3) | instskip(SKIP_1) | instid1(VALU_DEP_2)
	v_cndmask_b32_e64 v41, v41, v14, s0
	v_cmp_eq_u32_e64 s0, 8, v36
	v_dual_cndmask_b32 v40, v40, v17 :: v_dual_cndmask_b32 v41, v41, v16
	v_cmp_eq_u32_e32 vcc_lo, 9, v36
	s_delay_alu instid0(VALU_DEP_2) | instskip(NEXT) | instid1(VALU_DEP_3)
	v_cndmask_b32_e64 v40, v40, v19, s0
	v_cndmask_b32_e64 v41, v41, v18, s0
	v_cmp_eq_u32_e64 s0, 10, v36
	s_delay_alu instid0(VALU_DEP_2) | instskip(SKIP_1) | instid1(VALU_DEP_2)
	v_dual_cndmask_b32 v40, v40, v21 :: v_dual_cndmask_b32 v41, v41, v20
	v_cmp_eq_u32_e32 vcc_lo, 11, v36
	v_cndmask_b32_e64 v40, v40, v23, s0
	s_delay_alu instid0(VALU_DEP_3) | instskip(SKIP_1) | instid1(VALU_DEP_2)
	v_cndmask_b32_e64 v41, v41, v22, s0
	v_cmp_eq_u32_e64 s0, 12, v36
	v_dual_cndmask_b32 v42, v40, v25 :: v_dual_cndmask_b32 v43, v41, v24
	ds_load_b64 v[40:41], v39
	v_cmp_eq_u32_e32 vcc_lo, 13, v36
	v_add_nc_u32_e32 v39, 8, v39
	v_cndmask_b32_e64 v42, v42, v27, s0
	v_cndmask_b32_e64 v43, v43, v26, s0
	v_cmp_eq_u32_e64 s0, 14, v36
	s_delay_alu instid0(VALU_DEP_2) | instskip(SKIP_1) | instid1(VALU_DEP_2)
	v_dual_cndmask_b32 v42, v42, v29 :: v_dual_cndmask_b32 v43, v43, v28
	v_cmp_eq_u32_e32 vcc_lo, 15, v36
	v_cndmask_b32_e64 v42, v42, v31, s0
	s_delay_alu instid0(VALU_DEP_3) | instskip(NEXT) | instid1(VALU_DEP_1)
	v_cndmask_b32_e64 v44, v43, v30, s0
	v_dual_cndmask_b32 v43, v42, v33 :: v_dual_cndmask_b32 v42, v44, v32
	v_cmp_lt_u32_e32 vcc_lo, 11, v36
	s_waitcnt lgkmcnt(0)
	s_delay_alu instid0(VALU_DEP_2) | instskip(SKIP_1) | instid1(SALU_CYCLE_1)
	v_fma_f64 v[34:35], v[42:43], v[40:41], v[34:35]
	s_or_b32 s3, vcc_lo, s3
	s_and_not1_b32 exec_lo, exec_lo, s3
	s_cbranch_execnz .LBB15_361
; %bb.362:
	s_or_b32 exec_lo, exec_lo, s3
.LBB15_363:
	s_delay_alu instid0(SALU_CYCLE_1)
	s_or_b32 exec_lo, exec_lo, s2
	v_mov_b32_e32 v28, 0
	ds_load_b64 v[28:29], v28 offset:104
	s_waitcnt lgkmcnt(0)
	v_mul_f64 v[28:29], v[34:35], v[28:29]
.LBB15_364:
	s_or_b32 exec_lo, exec_lo, s1
	v_cmp_gt_u32_e64 s0, 14, v0
	ds_store_b64 v100, v[30:31]
	s_waitcnt lgkmcnt(0)
	s_barrier
	buffer_gl0_inv
	s_and_saveexec_b32 s2, s0
	s_cbranch_execz .LBB15_374
; %bb.365:
	v_cmp_ne_u32_e32 vcc_lo, 1, v38
	s_cbranch_vccnz .LBB15_367
; %bb.366:
	v_cmp_eq_u32_e32 vcc_lo, 1, v0
	v_dual_cndmask_b32 v34, v3, v5 :: v_dual_cndmask_b32 v35, v2, v4
	v_cmp_eq_u32_e32 vcc_lo, 2, v0
	s_delay_alu instid0(VALU_DEP_2) | instskip(SKIP_1) | instid1(VALU_DEP_2)
	v_dual_cndmask_b32 v34, v34, v7 :: v_dual_cndmask_b32 v35, v35, v6
	v_cmp_eq_u32_e32 vcc_lo, 3, v0
	v_dual_cndmask_b32 v34, v34, v9 :: v_dual_cndmask_b32 v35, v35, v8
	v_cmp_eq_u32_e32 vcc_lo, 4, v0
	s_delay_alu instid0(VALU_DEP_2) | instskip(SKIP_1) | instid1(VALU_DEP_2)
	v_dual_cndmask_b32 v34, v34, v11 :: v_dual_cndmask_b32 v35, v35, v10
	;; [unrolled: 5-line block ×5, first 2 shown]
	v_cmp_eq_u32_e32 vcc_lo, 11, v0
	v_dual_cndmask_b32 v34, v34, v25 :: v_dual_cndmask_b32 v35, v35, v24
	v_cmp_eq_u32_e32 vcc_lo, 12, v0
	s_delay_alu instid0(VALU_DEP_2) | instskip(SKIP_4) | instid1(VALU_DEP_2)
	v_dual_cndmask_b32 v36, v34, v27 :: v_dual_cndmask_b32 v37, v35, v26
	v_cmp_eq_u32_e32 vcc_lo, 13, v0
	ds_load_b64 v[34:35], v100
	v_dual_cndmask_b32 v36, v36, v29 :: v_dual_cndmask_b32 v37, v37, v28
	v_cmp_eq_u32_e32 vcc_lo, 14, v0
	v_dual_cndmask_b32 v36, v36, v31 :: v_dual_cndmask_b32 v39, v37, v30
	v_cmp_eq_u32_e32 vcc_lo, 15, v0
	s_delay_alu instid0(VALU_DEP_2) | instskip(SKIP_1) | instid1(VALU_DEP_1)
	v_dual_cndmask_b32 v37, v36, v33 :: v_dual_cndmask_b32 v36, v39, v32
	s_waitcnt lgkmcnt(0)
	v_mul_f64 v[34:35], v[36:37], v[34:35]
	s_cbranch_execz .LBB15_368
	s_branch .LBB15_369
.LBB15_367:
                                        ; implicit-def: $vgpr34_vgpr35
.LBB15_368:
	ds_load_b64 v[34:35], v100
.LBB15_369:
	s_mov_b32 s3, exec_lo
	v_cmpx_ne_u32_e32 13, v0
	s_cbranch_execz .LBB15_373
; %bb.370:
	v_lshl_add_u32 v39, v0, 3, 0x88
	v_dual_mov_b32 v37, v1 :: v_dual_mov_b32 v36, v0
	s_mov_b32 s4, 0
.LBB15_371:                             ; =>This Inner Loop Header: Depth=1
	s_delay_alu instid0(VALU_DEP_1) | instskip(NEXT) | instid1(VALU_DEP_2)
	v_add_co_u32 v36, vcc_lo, v36, 1
	v_add_co_ci_u32_e32 v37, vcc_lo, 0, v37, vcc_lo
	s_delay_alu instid0(VALU_DEP_2) | instskip(SKIP_3) | instid1(VALU_DEP_2)
	v_cmp_eq_u32_e32 vcc_lo, 1, v36
	v_cmp_eq_u32_e64 s1, 2, v36
	v_dual_cndmask_b32 v40, v3, v5 :: v_dual_cndmask_b32 v41, v2, v4
	v_cmp_eq_u32_e32 vcc_lo, 3, v36
	v_cndmask_b32_e64 v40, v40, v7, s1
	s_delay_alu instid0(VALU_DEP_3) | instskip(SKIP_1) | instid1(VALU_DEP_2)
	v_cndmask_b32_e64 v41, v41, v6, s1
	v_cmp_eq_u32_e64 s1, 4, v36
	v_dual_cndmask_b32 v40, v40, v9 :: v_dual_cndmask_b32 v41, v41, v8
	v_cmp_eq_u32_e32 vcc_lo, 5, v36
	s_delay_alu instid0(VALU_DEP_2) | instskip(NEXT) | instid1(VALU_DEP_3)
	v_cndmask_b32_e64 v40, v40, v11, s1
	v_cndmask_b32_e64 v41, v41, v10, s1
	v_cmp_eq_u32_e64 s1, 6, v36
	s_delay_alu instid0(VALU_DEP_2) | instskip(SKIP_1) | instid1(VALU_DEP_2)
	v_dual_cndmask_b32 v40, v40, v13 :: v_dual_cndmask_b32 v41, v41, v12
	v_cmp_eq_u32_e32 vcc_lo, 7, v36
	v_cndmask_b32_e64 v40, v40, v15, s1
	s_delay_alu instid0(VALU_DEP_3) | instskip(SKIP_1) | instid1(VALU_DEP_2)
	v_cndmask_b32_e64 v41, v41, v14, s1
	v_cmp_eq_u32_e64 s1, 8, v36
	v_dual_cndmask_b32 v40, v40, v17 :: v_dual_cndmask_b32 v41, v41, v16
	v_cmp_eq_u32_e32 vcc_lo, 9, v36
	s_delay_alu instid0(VALU_DEP_2) | instskip(NEXT) | instid1(VALU_DEP_3)
	v_cndmask_b32_e64 v40, v40, v19, s1
	v_cndmask_b32_e64 v41, v41, v18, s1
	v_cmp_eq_u32_e64 s1, 10, v36
	s_delay_alu instid0(VALU_DEP_2) | instskip(SKIP_1) | instid1(VALU_DEP_2)
	v_dual_cndmask_b32 v40, v40, v21 :: v_dual_cndmask_b32 v41, v41, v20
	v_cmp_eq_u32_e32 vcc_lo, 11, v36
	v_cndmask_b32_e64 v40, v40, v23, s1
	s_delay_alu instid0(VALU_DEP_3) | instskip(SKIP_1) | instid1(VALU_DEP_2)
	v_cndmask_b32_e64 v41, v41, v22, s1
	v_cmp_eq_u32_e64 s1, 12, v36
	v_dual_cndmask_b32 v42, v40, v25 :: v_dual_cndmask_b32 v43, v41, v24
	ds_load_b64 v[40:41], v39
	v_cmp_eq_u32_e32 vcc_lo, 13, v36
	v_add_nc_u32_e32 v39, 8, v39
	v_cndmask_b32_e64 v42, v42, v27, s1
	v_cndmask_b32_e64 v43, v43, v26, s1
	v_cmp_eq_u32_e64 s1, 14, v36
	s_delay_alu instid0(VALU_DEP_2) | instskip(SKIP_1) | instid1(VALU_DEP_2)
	v_dual_cndmask_b32 v42, v42, v29 :: v_dual_cndmask_b32 v43, v43, v28
	v_cmp_eq_u32_e32 vcc_lo, 15, v36
	v_cndmask_b32_e64 v42, v42, v31, s1
	s_delay_alu instid0(VALU_DEP_3) | instskip(NEXT) | instid1(VALU_DEP_1)
	v_cndmask_b32_e64 v44, v43, v30, s1
	v_dual_cndmask_b32 v43, v42, v33 :: v_dual_cndmask_b32 v42, v44, v32
	v_cmp_lt_u32_e32 vcc_lo, 12, v36
	s_waitcnt lgkmcnt(0)
	s_delay_alu instid0(VALU_DEP_2) | instskip(SKIP_1) | instid1(SALU_CYCLE_1)
	v_fma_f64 v[34:35], v[42:43], v[40:41], v[34:35]
	s_or_b32 s4, vcc_lo, s4
	s_and_not1_b32 exec_lo, exec_lo, s4
	s_cbranch_execnz .LBB15_371
; %bb.372:
	s_or_b32 exec_lo, exec_lo, s4
.LBB15_373:
	s_delay_alu instid0(SALU_CYCLE_1)
	s_or_b32 exec_lo, exec_lo, s3
	v_mov_b32_e32 v30, 0
	ds_load_b64 v[30:31], v30 offset:112
	s_waitcnt lgkmcnt(0)
	v_mul_f64 v[30:31], v[34:35], v[30:31]
.LBB15_374:
	s_or_b32 exec_lo, exec_lo, s2
	s_delay_alu instid0(SALU_CYCLE_1)
	s_mov_b32 s1, exec_lo
	ds_store_b64 v100, v[32:33]
	s_waitcnt lgkmcnt(0)
	s_barrier
	buffer_gl0_inv
	v_cmpx_ne_u32_e32 15, v0
	s_cbranch_execz .LBB15_384
; %bb.375:
	v_cmp_ne_u32_e32 vcc_lo, 1, v38
	s_cbranch_vccnz .LBB15_377
; %bb.376:
	v_cmp_eq_u32_e32 vcc_lo, 1, v0
	v_dual_cndmask_b32 v34, v3, v5 :: v_dual_cndmask_b32 v35, v2, v4
	v_cmp_eq_u32_e32 vcc_lo, 2, v0
	s_delay_alu instid0(VALU_DEP_2) | instskip(SKIP_1) | instid1(VALU_DEP_2)
	v_dual_cndmask_b32 v34, v34, v7 :: v_dual_cndmask_b32 v35, v35, v6
	v_cmp_eq_u32_e32 vcc_lo, 3, v0
	v_dual_cndmask_b32 v34, v34, v9 :: v_dual_cndmask_b32 v35, v35, v8
	v_cmp_eq_u32_e32 vcc_lo, 4, v0
	s_delay_alu instid0(VALU_DEP_2) | instskip(SKIP_1) | instid1(VALU_DEP_2)
	v_dual_cndmask_b32 v34, v34, v11 :: v_dual_cndmask_b32 v35, v35, v10
	;; [unrolled: 5-line block ×5, first 2 shown]
	v_cmp_eq_u32_e32 vcc_lo, 11, v0
	v_dual_cndmask_b32 v34, v34, v25 :: v_dual_cndmask_b32 v35, v35, v24
	v_cmp_eq_u32_e32 vcc_lo, 12, v0
	s_delay_alu instid0(VALU_DEP_2) | instskip(SKIP_4) | instid1(VALU_DEP_2)
	v_dual_cndmask_b32 v36, v34, v27 :: v_dual_cndmask_b32 v37, v35, v26
	v_cmp_eq_u32_e32 vcc_lo, 13, v0
	ds_load_b64 v[34:35], v100
	v_dual_cndmask_b32 v36, v36, v29 :: v_dual_cndmask_b32 v37, v37, v28
	v_cmp_eq_u32_e32 vcc_lo, 14, v0
	v_cndmask_b32_e32 v36, v36, v31, vcc_lo
	s_delay_alu instid0(VALU_DEP_3) | instskip(SKIP_1) | instid1(VALU_DEP_2)
	v_cndmask_b32_e32 v38, v37, v30, vcc_lo
	v_cmp_eq_u32_e32 vcc_lo, 15, v0
	v_dual_cndmask_b32 v37, v36, v33 :: v_dual_cndmask_b32 v36, v38, v32
	s_waitcnt lgkmcnt(0)
	s_delay_alu instid0(VALU_DEP_1)
	v_mul_f64 v[34:35], v[36:37], v[34:35]
	s_cbranch_execz .LBB15_378
	s_branch .LBB15_379
.LBB15_377:
                                        ; implicit-def: $vgpr34_vgpr35
.LBB15_378:
	ds_load_b64 v[34:35], v100
.LBB15_379:
	s_and_saveexec_b32 s2, s0
	s_cbranch_execz .LBB15_383
; %bb.380:
	v_lshl_add_u32 v36, v0, 3, 0x88
	s_mov_b32 s3, 0
.LBB15_381:                             ; =>This Inner Loop Header: Depth=1
	v_add_co_u32 v0, vcc_lo, v0, 1
	v_add_co_ci_u32_e32 v1, vcc_lo, 0, v1, vcc_lo
	s_delay_alu instid0(VALU_DEP_2) | instskip(SKIP_3) | instid1(VALU_DEP_2)
	v_cmp_eq_u32_e32 vcc_lo, 1, v0
	v_cmp_eq_u32_e64 s0, 2, v0
	v_dual_cndmask_b32 v37, v3, v5 :: v_dual_cndmask_b32 v38, v2, v4
	v_cmp_eq_u32_e32 vcc_lo, 3, v0
	v_cndmask_b32_e64 v37, v37, v7, s0
	s_delay_alu instid0(VALU_DEP_3) | instskip(SKIP_1) | instid1(VALU_DEP_2)
	v_cndmask_b32_e64 v38, v38, v6, s0
	v_cmp_eq_u32_e64 s0, 4, v0
	v_dual_cndmask_b32 v37, v37, v9 :: v_dual_cndmask_b32 v38, v38, v8
	v_cmp_eq_u32_e32 vcc_lo, 5, v0
	s_delay_alu instid0(VALU_DEP_2) | instskip(NEXT) | instid1(VALU_DEP_3)
	v_cndmask_b32_e64 v37, v37, v11, s0
	v_cndmask_b32_e64 v38, v38, v10, s0
	v_cmp_eq_u32_e64 s0, 6, v0
	s_delay_alu instid0(VALU_DEP_2) | instskip(SKIP_1) | instid1(VALU_DEP_2)
	v_dual_cndmask_b32 v37, v37, v13 :: v_dual_cndmask_b32 v38, v38, v12
	v_cmp_eq_u32_e32 vcc_lo, 7, v0
	v_cndmask_b32_e64 v37, v37, v15, s0
	s_delay_alu instid0(VALU_DEP_3) | instskip(SKIP_1) | instid1(VALU_DEP_2)
	v_cndmask_b32_e64 v38, v38, v14, s0
	v_cmp_eq_u32_e64 s0, 8, v0
	v_dual_cndmask_b32 v37, v37, v17 :: v_dual_cndmask_b32 v38, v38, v16
	v_cmp_eq_u32_e32 vcc_lo, 9, v0
	s_delay_alu instid0(VALU_DEP_2) | instskip(NEXT) | instid1(VALU_DEP_3)
	v_cndmask_b32_e64 v37, v37, v19, s0
	v_cndmask_b32_e64 v38, v38, v18, s0
	v_cmp_eq_u32_e64 s0, 10, v0
	s_delay_alu instid0(VALU_DEP_2) | instskip(SKIP_1) | instid1(VALU_DEP_2)
	v_dual_cndmask_b32 v37, v37, v21 :: v_dual_cndmask_b32 v38, v38, v20
	v_cmp_eq_u32_e32 vcc_lo, 11, v0
	v_cndmask_b32_e64 v37, v37, v23, s0
	s_delay_alu instid0(VALU_DEP_3) | instskip(SKIP_1) | instid1(VALU_DEP_2)
	v_cndmask_b32_e64 v38, v38, v22, s0
	v_cmp_eq_u32_e64 s0, 12, v0
	v_dual_cndmask_b32 v39, v37, v25 :: v_dual_cndmask_b32 v40, v38, v24
	ds_load_b64 v[37:38], v36
	v_cmp_eq_u32_e32 vcc_lo, 13, v0
	v_add_nc_u32_e32 v36, 8, v36
	v_cndmask_b32_e64 v39, v39, v27, s0
	v_cndmask_b32_e64 v40, v40, v26, s0
	v_cmp_eq_u32_e64 s0, 14, v0
	s_delay_alu instid0(VALU_DEP_2) | instskip(SKIP_1) | instid1(VALU_DEP_2)
	v_dual_cndmask_b32 v39, v39, v29 :: v_dual_cndmask_b32 v40, v40, v28
	v_cmp_eq_u32_e32 vcc_lo, 15, v0
	v_cndmask_b32_e64 v39, v39, v31, s0
	s_delay_alu instid0(VALU_DEP_3) | instskip(NEXT) | instid1(VALU_DEP_1)
	v_cndmask_b32_e64 v41, v40, v30, s0
	v_dual_cndmask_b32 v40, v39, v33 :: v_dual_cndmask_b32 v39, v41, v32
	v_cmp_lt_u32_e32 vcc_lo, 13, v0
	s_waitcnt lgkmcnt(0)
	s_delay_alu instid0(VALU_DEP_2) | instskip(SKIP_1) | instid1(SALU_CYCLE_1)
	v_fma_f64 v[34:35], v[39:40], v[37:38], v[34:35]
	s_or_b32 s3, vcc_lo, s3
	s_and_not1_b32 exec_lo, exec_lo, s3
	s_cbranch_execnz .LBB15_381
; %bb.382:
	s_or_b32 exec_lo, exec_lo, s3
.LBB15_383:
	s_delay_alu instid0(SALU_CYCLE_1)
	s_or_b32 exec_lo, exec_lo, s2
	v_mov_b32_e32 v0, 0
	ds_load_b64 v[0:1], v0 offset:120
	s_waitcnt lgkmcnt(0)
	v_mul_f64 v[32:33], v[34:35], v[0:1]
.LBB15_384:
	s_or_b32 exec_lo, exec_lo, s1
	s_delay_alu instid0(VALU_DEP_1)
	v_dual_mov_b32 v65, v33 :: v_dual_mov_b32 v64, v32
	v_dual_mov_b32 v63, v31 :: v_dual_mov_b32 v62, v30
	;; [unrolled: 1-line block ×16, first 2 shown]
.LBB15_385:
	s_clause 0xf
	global_store_b64 v[68:69], v[34:35], off
	global_store_b64 v[70:71], v[36:37], off
	;; [unrolled: 1-line block ×16, first 2 shown]
.LBB15_386:
	s_nop 0
	s_sendmsg sendmsg(MSG_DEALLOC_VGPRS)
	s_endpgm
	.section	.rodata,"a",@progbits
	.p2align	6, 0x0
	.amdhsa_kernel _ZN9rocsolver6v33100L18trti2_kernel_smallILi16EdPdEEv13rocblas_fill_17rocblas_diagonal_T1_iil
		.amdhsa_group_segment_fixed_size 256
		.amdhsa_private_segment_fixed_size 0
		.amdhsa_kernarg_size 32
		.amdhsa_user_sgpr_count 15
		.amdhsa_user_sgpr_dispatch_ptr 0
		.amdhsa_user_sgpr_queue_ptr 0
		.amdhsa_user_sgpr_kernarg_segment_ptr 1
		.amdhsa_user_sgpr_dispatch_id 0
		.amdhsa_user_sgpr_private_segment_size 0
		.amdhsa_wavefront_size32 1
		.amdhsa_uses_dynamic_stack 0
		.amdhsa_enable_private_segment 0
		.amdhsa_system_sgpr_workgroup_id_x 1
		.amdhsa_system_sgpr_workgroup_id_y 0
		.amdhsa_system_sgpr_workgroup_id_z 0
		.amdhsa_system_sgpr_workgroup_info 0
		.amdhsa_system_vgpr_workitem_id 0
		.amdhsa_next_free_vgpr 114
		.amdhsa_next_free_sgpr 24
		.amdhsa_reserve_vcc 1
		.amdhsa_float_round_mode_32 0
		.amdhsa_float_round_mode_16_64 0
		.amdhsa_float_denorm_mode_32 3
		.amdhsa_float_denorm_mode_16_64 3
		.amdhsa_dx10_clamp 1
		.amdhsa_ieee_mode 1
		.amdhsa_fp16_overflow 0
		.amdhsa_workgroup_processor_mode 1
		.amdhsa_memory_ordered 1
		.amdhsa_forward_progress 0
		.amdhsa_shared_vgpr_count 0
		.amdhsa_exception_fp_ieee_invalid_op 0
		.amdhsa_exception_fp_denorm_src 0
		.amdhsa_exception_fp_ieee_div_zero 0
		.amdhsa_exception_fp_ieee_overflow 0
		.amdhsa_exception_fp_ieee_underflow 0
		.amdhsa_exception_fp_ieee_inexact 0
		.amdhsa_exception_int_div_zero 0
	.end_amdhsa_kernel
	.section	.text._ZN9rocsolver6v33100L18trti2_kernel_smallILi16EdPdEEv13rocblas_fill_17rocblas_diagonal_T1_iil,"axG",@progbits,_ZN9rocsolver6v33100L18trti2_kernel_smallILi16EdPdEEv13rocblas_fill_17rocblas_diagonal_T1_iil,comdat
.Lfunc_end15:
	.size	_ZN9rocsolver6v33100L18trti2_kernel_smallILi16EdPdEEv13rocblas_fill_17rocblas_diagonal_T1_iil, .Lfunc_end15-_ZN9rocsolver6v33100L18trti2_kernel_smallILi16EdPdEEv13rocblas_fill_17rocblas_diagonal_T1_iil
                                        ; -- End function
	.section	.AMDGPU.csdata,"",@progbits
; Kernel info:
; codeLenInByte = 29272
; NumSgprs: 26
; NumVgprs: 114
; ScratchSize: 0
; MemoryBound: 0
; FloatMode: 240
; IeeeMode: 1
; LDSByteSize: 256 bytes/workgroup (compile time only)
; SGPRBlocks: 3
; VGPRBlocks: 14
; NumSGPRsForWavesPerEU: 26
; NumVGPRsForWavesPerEU: 114
; Occupancy: 12
; WaveLimiterHint : 0
; COMPUTE_PGM_RSRC2:SCRATCH_EN: 0
; COMPUTE_PGM_RSRC2:USER_SGPR: 15
; COMPUTE_PGM_RSRC2:TRAP_HANDLER: 0
; COMPUTE_PGM_RSRC2:TGID_X_EN: 1
; COMPUTE_PGM_RSRC2:TGID_Y_EN: 0
; COMPUTE_PGM_RSRC2:TGID_Z_EN: 0
; COMPUTE_PGM_RSRC2:TIDIG_COMP_CNT: 0
	.section	.text._ZN9rocsolver6v33100L18trti2_kernel_smallILi17EdPdEEv13rocblas_fill_17rocblas_diagonal_T1_iil,"axG",@progbits,_ZN9rocsolver6v33100L18trti2_kernel_smallILi17EdPdEEv13rocblas_fill_17rocblas_diagonal_T1_iil,comdat
	.globl	_ZN9rocsolver6v33100L18trti2_kernel_smallILi17EdPdEEv13rocblas_fill_17rocblas_diagonal_T1_iil ; -- Begin function _ZN9rocsolver6v33100L18trti2_kernel_smallILi17EdPdEEv13rocblas_fill_17rocblas_diagonal_T1_iil
	.p2align	8
	.type	_ZN9rocsolver6v33100L18trti2_kernel_smallILi17EdPdEEv13rocblas_fill_17rocblas_diagonal_T1_iil,@function
_ZN9rocsolver6v33100L18trti2_kernel_smallILi17EdPdEEv13rocblas_fill_17rocblas_diagonal_T1_iil: ; @_ZN9rocsolver6v33100L18trti2_kernel_smallILi17EdPdEEv13rocblas_fill_17rocblas_diagonal_T1_iil
; %bb.0:
	s_mov_b32 s2, exec_lo
	v_cmpx_gt_u32_e32 17, v0
	s_cbranch_execz .LBB16_316
; %bb.1:
	s_load_b256 s[0:7], s[0:1], 0x0
	s_ashr_i32 s10, s15, 31
	v_lshlrev_b32_e32 v37, 3, v0
	s_waitcnt lgkmcnt(0)
	s_ashr_i32 s9, s4, 31
	s_mov_b32 s8, s4
	s_mul_i32 s4, s15, s7
	s_mul_hi_u32 s7, s15, s6
	v_add3_u32 v1, s5, s5, v0
	s_mul_i32 s11, s10, s6
	s_add_i32 s4, s7, s4
	s_mul_i32 s6, s15, s6
	s_add_i32 s7, s4, s11
	v_add_nc_u32_e32 v3, s5, v1
	s_lshl_b64 s[6:7], s[6:7], 3
	v_ashrrev_i32_e32 v2, 31, v1
	s_add_u32 s4, s2, s6
	s_addc_u32 s6, s3, s7
	s_lshl_b64 s[2:3], s[8:9], 3
	v_add_nc_u32_e32 v7, s5, v3
	s_add_u32 s2, s4, s2
	v_lshlrev_b64 v[5:6], 3, v[1:2]
	v_ashrrev_i32_e32 v4, 31, v3
	s_addc_u32 s3, s6, s3
	v_add_co_u32 v1, s4, s2, v37
	s_mov_b32 s10, s5
	s_ashr_i32 s11, s5, 31
	v_add_co_ci_u32_e64 v2, null, s3, 0, s4
	s_lshl_b64 s[6:7], s[10:11], 3
	v_ashrrev_i32_e32 v8, 31, v7
	v_lshlrev_b64 v[9:10], 3, v[3:4]
	v_add_co_u32 v3, vcc_lo, v1, s6
	v_add_nc_u32_e32 v13, s5, v7
	v_add_co_ci_u32_e32 v4, vcc_lo, s7, v2, vcc_lo
	v_add_co_u32 v5, vcc_lo, s2, v5
	v_lshlrev_b64 v[11:12], 3, v[7:8]
	v_add_co_ci_u32_e32 v6, vcc_lo, s3, v6, vcc_lo
	v_add_co_u32 v7, vcc_lo, s2, v9
	v_ashrrev_i32_e32 v14, 31, v13
	v_add_nc_u32_e32 v15, s5, v13
	v_add_co_ci_u32_e32 v8, vcc_lo, s3, v10, vcc_lo
	v_add_co_u32 v9, vcc_lo, s2, v11
	v_add_co_ci_u32_e32 v10, vcc_lo, s3, v12, vcc_lo
	v_lshlrev_b64 v[11:12], 3, v[13:14]
	v_add_nc_u32_e32 v13, s5, v15
	v_ashrrev_i32_e32 v16, 31, v15
	s_cmpk_lg_i32 s1, 0x84
	s_delay_alu instid0(VALU_DEP_2) | instskip(SKIP_1) | instid1(VALU_DEP_3)
	v_add_nc_u32_e32 v17, s5, v13
	v_ashrrev_i32_e32 v14, 31, v13
	v_lshlrev_b64 v[15:16], 3, v[15:16]
	v_add_co_u32 v11, vcc_lo, s2, v11
	s_delay_alu instid0(VALU_DEP_4) | instskip(NEXT) | instid1(VALU_DEP_4)
	v_ashrrev_i32_e32 v18, 31, v17
	v_lshlrev_b64 v[19:20], 3, v[13:14]
	v_add_nc_u32_e32 v23, s5, v17
	v_add_co_ci_u32_e32 v12, vcc_lo, s3, v12, vcc_lo
	v_add_co_u32 v13, vcc_lo, s2, v15
	v_lshlrev_b64 v[21:22], 3, v[17:18]
	v_add_co_ci_u32_e32 v14, vcc_lo, s3, v16, vcc_lo
	v_add_co_u32 v15, vcc_lo, s2, v19
	v_ashrrev_i32_e32 v24, 31, v23
	v_add_nc_u32_e32 v19, s5, v23
	v_add_co_ci_u32_e32 v16, vcc_lo, s3, v20, vcc_lo
	v_add_co_u32 v17, vcc_lo, s2, v21
	v_add_co_ci_u32_e32 v18, vcc_lo, s3, v22, vcc_lo
	v_lshlrev_b64 v[21:22], 3, v[23:24]
	v_add_nc_u32_e32 v23, s5, v19
	v_ashrrev_i32_e32 v20, 31, v19
	s_delay_alu instid0(VALU_DEP_2) | instskip(NEXT) | instid1(VALU_DEP_2)
	v_ashrrev_i32_e32 v24, 31, v23
	v_lshlrev_b64 v[25:26], 3, v[19:20]
	v_add_nc_u32_e32 v29, s5, v23
	v_add_co_u32 v19, vcc_lo, s2, v21
	s_delay_alu instid0(VALU_DEP_4)
	v_lshlrev_b64 v[27:28], 3, v[23:24]
	v_add_co_ci_u32_e32 v20, vcc_lo, s3, v22, vcc_lo
	v_add_co_u32 v21, vcc_lo, s2, v25
	v_ashrrev_i32_e32 v30, 31, v29
	v_add_nc_u32_e32 v25, s5, v29
	v_add_co_ci_u32_e32 v22, vcc_lo, s3, v26, vcc_lo
	v_add_co_u32 v23, vcc_lo, s2, v27
	v_add_co_ci_u32_e32 v24, vcc_lo, s3, v28, vcc_lo
	v_lshlrev_b64 v[27:28], 3, v[29:30]
	v_add_nc_u32_e32 v29, s5, v25
	v_ashrrev_i32_e32 v26, 31, v25
	s_delay_alu instid0(VALU_DEP_2) | instskip(NEXT) | instid1(VALU_DEP_2)
	v_add_nc_u32_e32 v33, s5, v29
	v_lshlrev_b64 v[31:32], 3, v[25:26]
	v_ashrrev_i32_e32 v30, 31, v29
	v_add_co_u32 v25, vcc_lo, s2, v27
	s_delay_alu instid0(VALU_DEP_4)
	v_add_nc_u32_e32 v35, s5, v33
	v_ashrrev_i32_e32 v34, 31, v33
	v_add_co_ci_u32_e32 v26, vcc_lo, s3, v28, vcc_lo
	v_lshlrev_b64 v[29:30], 3, v[29:30]
	v_add_co_u32 v27, vcc_lo, s2, v31
	v_ashrrev_i32_e32 v36, 31, v35
	v_add_co_ci_u32_e32 v28, vcc_lo, s3, v32, vcc_lo
	v_lshlrev_b64 v[31:32], 3, v[33:34]
	v_add_co_u32 v29, vcc_lo, s2, v29
	s_delay_alu instid0(VALU_DEP_4) | instskip(SKIP_1) | instid1(VALU_DEP_4)
	v_lshlrev_b64 v[33:34], 3, v[35:36]
	v_add_co_ci_u32_e32 v30, vcc_lo, s3, v30, vcc_lo
	v_add_co_u32 v31, vcc_lo, s2, v31
	v_add_co_ci_u32_e32 v32, vcc_lo, s3, v32, vcc_lo
	s_delay_alu instid0(VALU_DEP_4)
	v_add_co_u32 v33, vcc_lo, s2, v33
	v_add_co_ci_u32_e32 v34, vcc_lo, s3, v34, vcc_lo
	v_mov_b32_e32 v35, 0
	v_mov_b32_e32 v36, 0xbff00000
	s_clause 0x10
	global_load_b64 v[38:39], v37, s[2:3]
	global_load_b64 v[40:41], v[3:4], off
	global_load_b64 v[42:43], v[5:6], off
	;; [unrolled: 1-line block ×16, first 2 shown]
	s_cselect_b32 s2, -1, 0
	s_cmpk_eq_i32 s1, 0x84
	s_waitcnt vmcnt(15)
	scratch_store_b128 off, v[38:41], off
	s_waitcnt vmcnt(13)
	scratch_store_b128 off, v[42:45], off offset:16
	s_waitcnt vmcnt(11)
	scratch_store_b128 off, v[46:49], off offset:32
	;; [unrolled: 2-line block ×7, first 2 shown]
	s_waitcnt vmcnt(0)
	scratch_store_b64 off, v[70:71], off offset:128
	s_cbranch_scc1 .LBB16_3
; %bb.2:
	scratch_load_b64 v[35:36], v37, off
	s_waitcnt vmcnt(0)
	v_div_scale_f64 v[38:39], null, v[35:36], v[35:36], 1.0
	v_div_scale_f64 v[44:45], vcc_lo, 1.0, v[35:36], 1.0
	s_delay_alu instid0(VALU_DEP_2) | instskip(SKIP_2) | instid1(VALU_DEP_1)
	v_rcp_f64_e32 v[40:41], v[38:39]
	s_waitcnt_depctr 0xfff
	v_fma_f64 v[42:43], -v[38:39], v[40:41], 1.0
	v_fma_f64 v[40:41], v[40:41], v[42:43], v[40:41]
	s_delay_alu instid0(VALU_DEP_1) | instskip(NEXT) | instid1(VALU_DEP_1)
	v_fma_f64 v[42:43], -v[38:39], v[40:41], 1.0
	v_fma_f64 v[40:41], v[40:41], v[42:43], v[40:41]
	s_delay_alu instid0(VALU_DEP_1) | instskip(NEXT) | instid1(VALU_DEP_1)
	v_mul_f64 v[42:43], v[44:45], v[40:41]
	v_fma_f64 v[38:39], -v[38:39], v[42:43], v[44:45]
	s_delay_alu instid0(VALU_DEP_1) | instskip(NEXT) | instid1(VALU_DEP_1)
	v_div_fmas_f64 v[38:39], v[38:39], v[40:41], v[42:43]
	v_div_fixup_f64 v[35:36], v[38:39], v[35:36], 1.0
	scratch_store_b64 v37, v[35:36], off
	v_xor_b32_e32 v36, 0x80000000, v36
.LBB16_3:
	v_add_nc_u32_e32 v38, 0x90, v37
	v_add_nc_u32_e32 v39, 0, v37
	s_cmpk_eq_i32 s0, 0x79
	s_mov_b32 s0, -1
	ds_store_b64 v37, v[35:36]
	s_cbranch_scc1 .LBB16_159
; %bb.4:
	scratch_load_b64 v[35:36], off, off offset:120
	v_cmp_eq_u32_e64 s1, 16, v0
	s_movk_i32 s0, 0x50
	s_movk_i32 s3, 0x60
	;; [unrolled: 1-line block ×3, first 2 shown]
	s_waitcnt vmcnt(0)
	ds_store_b64 v38, v[35:36]
	s_waitcnt lgkmcnt(0)
	s_waitcnt_vscnt null, 0x0
	s_barrier
	buffer_gl0_inv
	s_and_saveexec_b32 s5, s1
	s_cbranch_execz .LBB16_10
; %bb.5:
	s_and_b32 vcc_lo, exec_lo, s2
	s_cbranch_vccz .LBB16_7
; %bb.6:
	scratch_load_b64 v[35:36], v39, off
	ds_load_b64 v[40:41], v38
	s_waitcnt vmcnt(0) lgkmcnt(0)
	v_mul_f64 v[35:36], v[35:36], v[40:41]
	s_cbranch_execz .LBB16_8
	s_branch .LBB16_9
.LBB16_7:
                                        ; implicit-def: $vgpr35_vgpr36
.LBB16_8:
	ds_load_b64 v[35:36], v38
.LBB16_9:
	v_mov_b32_e32 v40, 0
	ds_load_b64 v[40:41], v40 offset:120
	s_waitcnt lgkmcnt(0)
	v_mul_f64 v[35:36], v[35:36], v[40:41]
	scratch_store_b64 off, v[35:36], off offset:120
.LBB16_10:
	s_or_b32 exec_lo, exec_lo, s5
	scratch_load_b64 v[35:36], off, off offset:112
	v_add_nc_u32_e64 v40, 0, 16
	v_add_nc_u32_e64 v41, 0, 32
	;; [unrolled: 1-line block ×7, first 2 shown]
	v_cmp_lt_u32_e64 s0, 14, v0
	s_waitcnt vmcnt(0)
	ds_store_b64 v38, v[35:36]
	s_waitcnt lgkmcnt(0)
	s_waitcnt_vscnt null, 0x0
	s_barrier
	buffer_gl0_inv
	s_and_saveexec_b32 s3, s0
	s_cbranch_execz .LBB16_18
; %bb.11:
	s_and_not1_b32 vcc_lo, exec_lo, s2
	s_cbranch_vccnz .LBB16_13
; %bb.12:
	scratch_load_b64 v[35:36], v39, off
	ds_load_b64 v[47:48], v38
	s_waitcnt vmcnt(0) lgkmcnt(0)
	v_mul_f64 v[35:36], v[35:36], v[47:48]
	s_cbranch_execz .LBB16_14
	s_branch .LBB16_15
.LBB16_13:
                                        ; implicit-def: $vgpr35_vgpr36
.LBB16_14:
	ds_load_b64 v[35:36], v38
.LBB16_15:
	s_and_saveexec_b32 s4, s1
	s_cbranch_execz .LBB16_17
; %bb.16:
	scratch_load_b64 v[47:48], off, off offset:120
	v_mov_b32_e32 v49, 0
	ds_load_b64 v[49:50], v49 offset:264
	s_waitcnt vmcnt(0) lgkmcnt(0)
	v_fma_f64 v[35:36], v[47:48], v[49:50], v[35:36]
.LBB16_17:
	s_or_b32 exec_lo, exec_lo, s4
	v_mov_b32_e32 v47, 0
	ds_load_b64 v[47:48], v47 offset:112
	s_waitcnt lgkmcnt(0)
	v_mul_f64 v[35:36], v[35:36], v[47:48]
	scratch_store_b64 off, v[35:36], off offset:112
.LBB16_18:
	s_or_b32 exec_lo, exec_lo, s3
	scratch_load_b64 v[35:36], off, off offset:104
	v_cmp_lt_u32_e64 s1, 13, v0
	s_waitcnt vmcnt(0)
	ds_store_b64 v38, v[35:36]
	s_waitcnt lgkmcnt(0)
	s_waitcnt_vscnt null, 0x0
	s_barrier
	buffer_gl0_inv
	s_and_saveexec_b32 s3, s1
	s_cbranch_execz .LBB16_28
; %bb.19:
	s_and_not1_b32 vcc_lo, exec_lo, s2
	s_cbranch_vccnz .LBB16_21
; %bb.20:
	scratch_load_b64 v[35:36], v39, off
	ds_load_b64 v[47:48], v38
	s_waitcnt vmcnt(0) lgkmcnt(0)
	v_mul_f64 v[35:36], v[35:36], v[47:48]
	s_cbranch_execz .LBB16_22
	s_branch .LBB16_23
.LBB16_21:
                                        ; implicit-def: $vgpr35_vgpr36
.LBB16_22:
	ds_load_b64 v[35:36], v38
.LBB16_23:
	s_and_saveexec_b32 s4, s0
	s_cbranch_execz .LBB16_27
; %bb.24:
	v_add_nc_u32_e32 v47, -14, v0
	s_movk_i32 s5, 0x100
	s_mov_b32 s0, 0
.LBB16_25:                              ; =>This Inner Loop Header: Depth=1
	scratch_load_b64 v[48:49], v46, off
	v_dual_mov_b32 v50, s5 :: v_dual_add_nc_u32 v47, -1, v47
	v_add_nc_u32_e32 v46, 8, v46
	s_add_i32 s5, s5, 8
	ds_load_b64 v[50:51], v50
	v_cmp_eq_u32_e32 vcc_lo, 0, v47
	s_or_b32 s0, vcc_lo, s0
	s_waitcnt vmcnt(0) lgkmcnt(0)
	v_fma_f64 v[35:36], v[48:49], v[50:51], v[35:36]
	s_and_not1_b32 exec_lo, exec_lo, s0
	s_cbranch_execnz .LBB16_25
; %bb.26:
	s_or_b32 exec_lo, exec_lo, s0
.LBB16_27:
	s_delay_alu instid0(SALU_CYCLE_1)
	s_or_b32 exec_lo, exec_lo, s4
	v_mov_b32_e32 v46, 0
	ds_load_b64 v[46:47], v46 offset:104
	s_waitcnt lgkmcnt(0)
	v_mul_f64 v[35:36], v[35:36], v[46:47]
	scratch_store_b64 off, v[35:36], off offset:104
.LBB16_28:
	s_or_b32 exec_lo, exec_lo, s3
	scratch_load_b64 v[35:36], off, off offset:96
	v_cmp_lt_u32_e64 s0, 12, v0
	s_waitcnt vmcnt(0)
	ds_store_b64 v38, v[35:36]
	s_waitcnt lgkmcnt(0)
	s_waitcnt_vscnt null, 0x0
	s_barrier
	buffer_gl0_inv
	s_and_saveexec_b32 s3, s0
	s_cbranch_execz .LBB16_38
; %bb.29:
	s_and_not1_b32 vcc_lo, exec_lo, s2
	s_cbranch_vccnz .LBB16_31
; %bb.30:
	scratch_load_b64 v[35:36], v39, off
	ds_load_b64 v[46:47], v38
	s_waitcnt vmcnt(0) lgkmcnt(0)
	v_mul_f64 v[35:36], v[35:36], v[46:47]
	s_cbranch_execz .LBB16_32
	s_branch .LBB16_33
.LBB16_31:
                                        ; implicit-def: $vgpr35_vgpr36
.LBB16_32:
	ds_load_b64 v[35:36], v38
.LBB16_33:
	s_and_saveexec_b32 s4, s1
	s_cbranch_execz .LBB16_37
; %bb.34:
	v_dual_mov_b32 v46, 0 :: v_dual_add_nc_u32 v47, -13, v0
	s_movk_i32 s5, 0xf8
	s_mov_b32 s1, 0
	s_delay_alu instid0(VALU_DEP_1)
	v_add_nc_u32_e32 v46, 0x68, v46
.LBB16_35:                              ; =>This Inner Loop Header: Depth=1
	scratch_load_b64 v[48:49], v46, off
	v_dual_mov_b32 v50, s5 :: v_dual_add_nc_u32 v47, -1, v47
	v_add_nc_u32_e32 v46, 8, v46
	s_add_i32 s5, s5, 8
	ds_load_b64 v[50:51], v50
	v_cmp_eq_u32_e32 vcc_lo, 0, v47
	s_or_b32 s1, vcc_lo, s1
	s_waitcnt vmcnt(0) lgkmcnt(0)
	v_fma_f64 v[35:36], v[48:49], v[50:51], v[35:36]
	s_and_not1_b32 exec_lo, exec_lo, s1
	s_cbranch_execnz .LBB16_35
; %bb.36:
	s_or_b32 exec_lo, exec_lo, s1
.LBB16_37:
	s_delay_alu instid0(SALU_CYCLE_1)
	s_or_b32 exec_lo, exec_lo, s4
	v_mov_b32_e32 v46, 0
	ds_load_b64 v[46:47], v46 offset:96
	s_waitcnt lgkmcnt(0)
	v_mul_f64 v[35:36], v[35:36], v[46:47]
	scratch_store_b64 off, v[35:36], off offset:96
.LBB16_38:
	s_or_b32 exec_lo, exec_lo, s3
	scratch_load_b64 v[35:36], off, off offset:88
	v_cmp_lt_u32_e64 s1, 11, v0
	s_waitcnt vmcnt(0)
	ds_store_b64 v38, v[35:36]
	s_waitcnt lgkmcnt(0)
	s_waitcnt_vscnt null, 0x0
	s_barrier
	buffer_gl0_inv
	s_and_saveexec_b32 s3, s1
	s_cbranch_execz .LBB16_48
; %bb.39:
	s_and_not1_b32 vcc_lo, exec_lo, s2
	s_cbranch_vccnz .LBB16_41
; %bb.40:
	scratch_load_b64 v[35:36], v39, off
	ds_load_b64 v[46:47], v38
	s_waitcnt vmcnt(0) lgkmcnt(0)
	v_mul_f64 v[35:36], v[35:36], v[46:47]
	s_cbranch_execz .LBB16_42
	s_branch .LBB16_43
.LBB16_41:
                                        ; implicit-def: $vgpr35_vgpr36
.LBB16_42:
	ds_load_b64 v[35:36], v38
.LBB16_43:
	s_and_saveexec_b32 s4, s0
	s_cbranch_execz .LBB16_47
; %bb.44:
	v_add_nc_u32_e32 v46, -12, v0
	s_movk_i32 s5, 0xf0
	s_mov_b32 s0, 0
.LBB16_45:                              ; =>This Inner Loop Header: Depth=1
	scratch_load_b64 v[47:48], v45, off
	v_dual_mov_b32 v49, s5 :: v_dual_add_nc_u32 v46, -1, v46
	v_add_nc_u32_e32 v45, 8, v45
	s_add_i32 s5, s5, 8
	ds_load_b64 v[49:50], v49
	v_cmp_eq_u32_e32 vcc_lo, 0, v46
	s_or_b32 s0, vcc_lo, s0
	s_waitcnt vmcnt(0) lgkmcnt(0)
	v_fma_f64 v[35:36], v[47:48], v[49:50], v[35:36]
	s_and_not1_b32 exec_lo, exec_lo, s0
	s_cbranch_execnz .LBB16_45
; %bb.46:
	s_or_b32 exec_lo, exec_lo, s0
.LBB16_47:
	s_delay_alu instid0(SALU_CYCLE_1)
	s_or_b32 exec_lo, exec_lo, s4
	v_mov_b32_e32 v45, 0
	ds_load_b64 v[45:46], v45 offset:88
	s_waitcnt lgkmcnt(0)
	v_mul_f64 v[35:36], v[35:36], v[45:46]
	scratch_store_b64 off, v[35:36], off offset:88
.LBB16_48:
	s_or_b32 exec_lo, exec_lo, s3
	scratch_load_b64 v[35:36], off, off offset:80
	v_cmp_lt_u32_e64 s0, 10, v0
	s_waitcnt vmcnt(0)
	ds_store_b64 v38, v[35:36]
	s_waitcnt lgkmcnt(0)
	s_waitcnt_vscnt null, 0x0
	s_barrier
	buffer_gl0_inv
	s_and_saveexec_b32 s3, s0
	s_cbranch_execz .LBB16_58
; %bb.49:
	s_and_not1_b32 vcc_lo, exec_lo, s2
	s_cbranch_vccnz .LBB16_51
; %bb.50:
	scratch_load_b64 v[35:36], v39, off
	ds_load_b64 v[45:46], v38
	s_waitcnt vmcnt(0) lgkmcnt(0)
	v_mul_f64 v[35:36], v[35:36], v[45:46]
	s_cbranch_execz .LBB16_52
	s_branch .LBB16_53
.LBB16_51:
                                        ; implicit-def: $vgpr35_vgpr36
.LBB16_52:
	ds_load_b64 v[35:36], v38
.LBB16_53:
	s_and_saveexec_b32 s4, s1
	s_cbranch_execz .LBB16_57
; %bb.54:
	v_dual_mov_b32 v45, 0 :: v_dual_add_nc_u32 v46, -11, v0
	s_movk_i32 s5, 0xe8
	s_mov_b32 s1, 0
	s_delay_alu instid0(VALU_DEP_1)
	v_add_nc_u32_e32 v45, 0x58, v45
.LBB16_55:                              ; =>This Inner Loop Header: Depth=1
	scratch_load_b64 v[47:48], v45, off
	v_dual_mov_b32 v49, s5 :: v_dual_add_nc_u32 v46, -1, v46
	v_add_nc_u32_e32 v45, 8, v45
	s_add_i32 s5, s5, 8
	ds_load_b64 v[49:50], v49
	v_cmp_eq_u32_e32 vcc_lo, 0, v46
	s_or_b32 s1, vcc_lo, s1
	s_waitcnt vmcnt(0) lgkmcnt(0)
	v_fma_f64 v[35:36], v[47:48], v[49:50], v[35:36]
	s_and_not1_b32 exec_lo, exec_lo, s1
	s_cbranch_execnz .LBB16_55
; %bb.56:
	s_or_b32 exec_lo, exec_lo, s1
.LBB16_57:
	s_delay_alu instid0(SALU_CYCLE_1)
	s_or_b32 exec_lo, exec_lo, s4
	v_mov_b32_e32 v45, 0
	ds_load_b64 v[45:46], v45 offset:80
	s_waitcnt lgkmcnt(0)
	v_mul_f64 v[35:36], v[35:36], v[45:46]
	scratch_store_b64 off, v[35:36], off offset:80
.LBB16_58:
	s_or_b32 exec_lo, exec_lo, s3
	scratch_load_b64 v[35:36], off, off offset:72
	v_cmp_lt_u32_e64 s1, 9, v0
	s_waitcnt vmcnt(0)
	ds_store_b64 v38, v[35:36]
	s_waitcnt lgkmcnt(0)
	s_waitcnt_vscnt null, 0x0
	s_barrier
	buffer_gl0_inv
	s_and_saveexec_b32 s3, s1
	s_cbranch_execz .LBB16_68
; %bb.59:
	s_and_not1_b32 vcc_lo, exec_lo, s2
	s_cbranch_vccnz .LBB16_61
; %bb.60:
	scratch_load_b64 v[35:36], v39, off
	ds_load_b64 v[45:46], v38
	s_waitcnt vmcnt(0) lgkmcnt(0)
	v_mul_f64 v[35:36], v[35:36], v[45:46]
	s_cbranch_execz .LBB16_62
	s_branch .LBB16_63
.LBB16_61:
                                        ; implicit-def: $vgpr35_vgpr36
.LBB16_62:
	ds_load_b64 v[35:36], v38
.LBB16_63:
	s_and_saveexec_b32 s4, s0
	s_cbranch_execz .LBB16_67
; %bb.64:
	v_add_nc_u32_e32 v45, -10, v0
	s_movk_i32 s5, 0xe0
	s_mov_b32 s0, 0
.LBB16_65:                              ; =>This Inner Loop Header: Depth=1
	scratch_load_b64 v[46:47], v44, off
	v_dual_mov_b32 v48, s5 :: v_dual_add_nc_u32 v45, -1, v45
	v_add_nc_u32_e32 v44, 8, v44
	s_add_i32 s5, s5, 8
	ds_load_b64 v[48:49], v48
	v_cmp_eq_u32_e32 vcc_lo, 0, v45
	s_or_b32 s0, vcc_lo, s0
	s_waitcnt vmcnt(0) lgkmcnt(0)
	v_fma_f64 v[35:36], v[46:47], v[48:49], v[35:36]
	s_and_not1_b32 exec_lo, exec_lo, s0
	s_cbranch_execnz .LBB16_65
; %bb.66:
	s_or_b32 exec_lo, exec_lo, s0
.LBB16_67:
	s_delay_alu instid0(SALU_CYCLE_1)
	s_or_b32 exec_lo, exec_lo, s4
	v_mov_b32_e32 v44, 0
	ds_load_b64 v[44:45], v44 offset:72
	s_waitcnt lgkmcnt(0)
	v_mul_f64 v[35:36], v[35:36], v[44:45]
	scratch_store_b64 off, v[35:36], off offset:72
.LBB16_68:
	s_or_b32 exec_lo, exec_lo, s3
	scratch_load_b64 v[35:36], off, off offset:64
	v_cmp_lt_u32_e64 s0, 8, v0
	s_waitcnt vmcnt(0)
	ds_store_b64 v38, v[35:36]
	s_waitcnt lgkmcnt(0)
	s_waitcnt_vscnt null, 0x0
	s_barrier
	buffer_gl0_inv
	s_and_saveexec_b32 s3, s0
	s_cbranch_execz .LBB16_78
; %bb.69:
	s_and_not1_b32 vcc_lo, exec_lo, s2
	s_cbranch_vccnz .LBB16_71
; %bb.70:
	scratch_load_b64 v[35:36], v39, off
	ds_load_b64 v[44:45], v38
	s_waitcnt vmcnt(0) lgkmcnt(0)
	v_mul_f64 v[35:36], v[35:36], v[44:45]
	s_cbranch_execz .LBB16_72
	s_branch .LBB16_73
.LBB16_71:
                                        ; implicit-def: $vgpr35_vgpr36
.LBB16_72:
	ds_load_b64 v[35:36], v38
.LBB16_73:
	s_and_saveexec_b32 s4, s1
	s_cbranch_execz .LBB16_77
; %bb.74:
	v_dual_mov_b32 v44, 0 :: v_dual_add_nc_u32 v45, -9, v0
	s_movk_i32 s5, 0xd8
	s_mov_b32 s1, 0
	s_delay_alu instid0(VALU_DEP_1)
	v_add_nc_u32_e32 v44, 0x48, v44
.LBB16_75:                              ; =>This Inner Loop Header: Depth=1
	scratch_load_b64 v[46:47], v44, off
	v_dual_mov_b32 v48, s5 :: v_dual_add_nc_u32 v45, -1, v45
	v_add_nc_u32_e32 v44, 8, v44
	s_add_i32 s5, s5, 8
	ds_load_b64 v[48:49], v48
	v_cmp_eq_u32_e32 vcc_lo, 0, v45
	s_or_b32 s1, vcc_lo, s1
	s_waitcnt vmcnt(0) lgkmcnt(0)
	v_fma_f64 v[35:36], v[46:47], v[48:49], v[35:36]
	s_and_not1_b32 exec_lo, exec_lo, s1
	s_cbranch_execnz .LBB16_75
; %bb.76:
	s_or_b32 exec_lo, exec_lo, s1
.LBB16_77:
	s_delay_alu instid0(SALU_CYCLE_1)
	s_or_b32 exec_lo, exec_lo, s4
	v_mov_b32_e32 v44, 0
	ds_load_b64 v[44:45], v44 offset:64
	s_waitcnt lgkmcnt(0)
	v_mul_f64 v[35:36], v[35:36], v[44:45]
	scratch_store_b64 off, v[35:36], off offset:64
.LBB16_78:
	s_or_b32 exec_lo, exec_lo, s3
	scratch_load_b64 v[35:36], off, off offset:56
	v_cmp_lt_u32_e64 s1, 7, v0
	s_waitcnt vmcnt(0)
	ds_store_b64 v38, v[35:36]
	s_waitcnt lgkmcnt(0)
	s_waitcnt_vscnt null, 0x0
	s_barrier
	buffer_gl0_inv
	s_and_saveexec_b32 s3, s1
	s_cbranch_execz .LBB16_88
; %bb.79:
	s_and_not1_b32 vcc_lo, exec_lo, s2
	s_cbranch_vccnz .LBB16_81
; %bb.80:
	scratch_load_b64 v[35:36], v39, off
	ds_load_b64 v[44:45], v38
	s_waitcnt vmcnt(0) lgkmcnt(0)
	v_mul_f64 v[35:36], v[35:36], v[44:45]
	s_cbranch_execz .LBB16_82
	s_branch .LBB16_83
.LBB16_81:
                                        ; implicit-def: $vgpr35_vgpr36
.LBB16_82:
	ds_load_b64 v[35:36], v38
.LBB16_83:
	s_and_saveexec_b32 s4, s0
	s_cbranch_execz .LBB16_87
; %bb.84:
	v_add_nc_u32_e32 v44, -8, v0
	s_movk_i32 s5, 0xd0
	s_mov_b32 s0, 0
.LBB16_85:                              ; =>This Inner Loop Header: Depth=1
	scratch_load_b64 v[45:46], v43, off
	v_dual_mov_b32 v47, s5 :: v_dual_add_nc_u32 v44, -1, v44
	v_add_nc_u32_e32 v43, 8, v43
	s_add_i32 s5, s5, 8
	ds_load_b64 v[47:48], v47
	v_cmp_eq_u32_e32 vcc_lo, 0, v44
	s_or_b32 s0, vcc_lo, s0
	s_waitcnt vmcnt(0) lgkmcnt(0)
	v_fma_f64 v[35:36], v[45:46], v[47:48], v[35:36]
	s_and_not1_b32 exec_lo, exec_lo, s0
	s_cbranch_execnz .LBB16_85
; %bb.86:
	s_or_b32 exec_lo, exec_lo, s0
.LBB16_87:
	s_delay_alu instid0(SALU_CYCLE_1)
	s_or_b32 exec_lo, exec_lo, s4
	v_mov_b32_e32 v43, 0
	ds_load_b64 v[43:44], v43 offset:56
	s_waitcnt lgkmcnt(0)
	v_mul_f64 v[35:36], v[35:36], v[43:44]
	scratch_store_b64 off, v[35:36], off offset:56
.LBB16_88:
	s_or_b32 exec_lo, exec_lo, s3
	scratch_load_b64 v[35:36], off, off offset:48
	v_cmp_lt_u32_e64 s0, 6, v0
	s_waitcnt vmcnt(0)
	ds_store_b64 v38, v[35:36]
	s_waitcnt lgkmcnt(0)
	s_waitcnt_vscnt null, 0x0
	s_barrier
	buffer_gl0_inv
	s_and_saveexec_b32 s3, s0
	s_cbranch_execz .LBB16_98
; %bb.89:
	s_and_not1_b32 vcc_lo, exec_lo, s2
	s_cbranch_vccnz .LBB16_91
; %bb.90:
	scratch_load_b64 v[35:36], v39, off
	ds_load_b64 v[43:44], v38
	s_waitcnt vmcnt(0) lgkmcnt(0)
	v_mul_f64 v[35:36], v[35:36], v[43:44]
	s_cbranch_execz .LBB16_92
	s_branch .LBB16_93
.LBB16_91:
                                        ; implicit-def: $vgpr35_vgpr36
.LBB16_92:
	ds_load_b64 v[35:36], v38
.LBB16_93:
	s_and_saveexec_b32 s4, s1
	s_cbranch_execz .LBB16_97
; %bb.94:
	v_add_nc_u32_e64 v43, 0, 56
	v_add_nc_u32_e32 v44, -7, v0
	s_movk_i32 s5, 0xc8
	s_mov_b32 s1, 0
.LBB16_95:                              ; =>This Inner Loop Header: Depth=1
	scratch_load_b64 v[45:46], v43, off
	v_dual_mov_b32 v47, s5 :: v_dual_add_nc_u32 v44, -1, v44
	v_add_nc_u32_e32 v43, 8, v43
	s_add_i32 s5, s5, 8
	ds_load_b64 v[47:48], v47
	v_cmp_eq_u32_e32 vcc_lo, 0, v44
	s_or_b32 s1, vcc_lo, s1
	s_waitcnt vmcnt(0) lgkmcnt(0)
	v_fma_f64 v[35:36], v[45:46], v[47:48], v[35:36]
	s_and_not1_b32 exec_lo, exec_lo, s1
	s_cbranch_execnz .LBB16_95
; %bb.96:
	s_or_b32 exec_lo, exec_lo, s1
.LBB16_97:
	s_delay_alu instid0(SALU_CYCLE_1)
	s_or_b32 exec_lo, exec_lo, s4
	v_mov_b32_e32 v43, 0
	ds_load_b64 v[43:44], v43 offset:48
	s_waitcnt lgkmcnt(0)
	v_mul_f64 v[35:36], v[35:36], v[43:44]
	scratch_store_b64 off, v[35:36], off offset:48
.LBB16_98:
	s_or_b32 exec_lo, exec_lo, s3
	scratch_load_b64 v[35:36], off, off offset:40
	v_cmp_lt_u32_e64 s1, 5, v0
	s_waitcnt vmcnt(0)
	ds_store_b64 v38, v[35:36]
	s_waitcnt lgkmcnt(0)
	s_waitcnt_vscnt null, 0x0
	s_barrier
	buffer_gl0_inv
	s_and_saveexec_b32 s3, s1
	s_cbranch_execz .LBB16_108
; %bb.99:
	s_and_not1_b32 vcc_lo, exec_lo, s2
	s_cbranch_vccnz .LBB16_101
; %bb.100:
	scratch_load_b64 v[35:36], v39, off
	ds_load_b64 v[43:44], v38
	s_waitcnt vmcnt(0) lgkmcnt(0)
	v_mul_f64 v[35:36], v[35:36], v[43:44]
	s_cbranch_execz .LBB16_102
	s_branch .LBB16_103
.LBB16_101:
                                        ; implicit-def: $vgpr35_vgpr36
.LBB16_102:
	ds_load_b64 v[35:36], v38
.LBB16_103:
	s_and_saveexec_b32 s4, s0
	s_cbranch_execz .LBB16_107
; %bb.104:
	v_add_nc_u32_e32 v43, -6, v0
	s_movk_i32 s5, 0xc0
	s_mov_b32 s0, 0
.LBB16_105:                             ; =>This Inner Loop Header: Depth=1
	scratch_load_b64 v[44:45], v42, off
	v_dual_mov_b32 v46, s5 :: v_dual_add_nc_u32 v43, -1, v43
	v_add_nc_u32_e32 v42, 8, v42
	s_add_i32 s5, s5, 8
	ds_load_b64 v[46:47], v46
	v_cmp_eq_u32_e32 vcc_lo, 0, v43
	s_or_b32 s0, vcc_lo, s0
	s_waitcnt vmcnt(0) lgkmcnt(0)
	v_fma_f64 v[35:36], v[44:45], v[46:47], v[35:36]
	s_and_not1_b32 exec_lo, exec_lo, s0
	s_cbranch_execnz .LBB16_105
; %bb.106:
	s_or_b32 exec_lo, exec_lo, s0
.LBB16_107:
	s_delay_alu instid0(SALU_CYCLE_1)
	s_or_b32 exec_lo, exec_lo, s4
	v_mov_b32_e32 v42, 0
	ds_load_b64 v[42:43], v42 offset:40
	s_waitcnt lgkmcnt(0)
	v_mul_f64 v[35:36], v[35:36], v[42:43]
	scratch_store_b64 off, v[35:36], off offset:40
.LBB16_108:
	s_or_b32 exec_lo, exec_lo, s3
	scratch_load_b64 v[35:36], off, off offset:32
	v_cmp_lt_u32_e64 s0, 4, v0
	s_waitcnt vmcnt(0)
	ds_store_b64 v38, v[35:36]
	s_waitcnt lgkmcnt(0)
	s_waitcnt_vscnt null, 0x0
	s_barrier
	buffer_gl0_inv
	s_and_saveexec_b32 s3, s0
	s_cbranch_execz .LBB16_118
; %bb.109:
	s_and_not1_b32 vcc_lo, exec_lo, s2
	s_cbranch_vccnz .LBB16_111
; %bb.110:
	scratch_load_b64 v[35:36], v39, off
	ds_load_b64 v[42:43], v38
	s_waitcnt vmcnt(0) lgkmcnt(0)
	v_mul_f64 v[35:36], v[35:36], v[42:43]
	s_cbranch_execz .LBB16_112
	s_branch .LBB16_113
.LBB16_111:
                                        ; implicit-def: $vgpr35_vgpr36
.LBB16_112:
	ds_load_b64 v[35:36], v38
.LBB16_113:
	s_and_saveexec_b32 s4, s1
	s_cbranch_execz .LBB16_117
; %bb.114:
	v_add_nc_u32_e64 v42, 0, 40
	v_add_nc_u32_e32 v43, -5, v0
	s_movk_i32 s5, 0xb8
	s_mov_b32 s1, 0
.LBB16_115:                             ; =>This Inner Loop Header: Depth=1
	scratch_load_b64 v[44:45], v42, off
	v_dual_mov_b32 v46, s5 :: v_dual_add_nc_u32 v43, -1, v43
	v_add_nc_u32_e32 v42, 8, v42
	s_add_i32 s5, s5, 8
	ds_load_b64 v[46:47], v46
	v_cmp_eq_u32_e32 vcc_lo, 0, v43
	s_or_b32 s1, vcc_lo, s1
	s_waitcnt vmcnt(0) lgkmcnt(0)
	v_fma_f64 v[35:36], v[44:45], v[46:47], v[35:36]
	s_and_not1_b32 exec_lo, exec_lo, s1
	s_cbranch_execnz .LBB16_115
; %bb.116:
	s_or_b32 exec_lo, exec_lo, s1
.LBB16_117:
	s_delay_alu instid0(SALU_CYCLE_1)
	s_or_b32 exec_lo, exec_lo, s4
	v_mov_b32_e32 v42, 0
	ds_load_b64 v[42:43], v42 offset:32
	s_waitcnt lgkmcnt(0)
	v_mul_f64 v[35:36], v[35:36], v[42:43]
	scratch_store_b64 off, v[35:36], off offset:32
.LBB16_118:
	s_or_b32 exec_lo, exec_lo, s3
	scratch_load_b64 v[35:36], off, off offset:24
	v_cmp_lt_u32_e64 s1, 3, v0
	s_waitcnt vmcnt(0)
	ds_store_b64 v38, v[35:36]
	s_waitcnt lgkmcnt(0)
	s_waitcnt_vscnt null, 0x0
	s_barrier
	buffer_gl0_inv
	s_and_saveexec_b32 s3, s1
	s_cbranch_execz .LBB16_128
; %bb.119:
	s_and_not1_b32 vcc_lo, exec_lo, s2
	s_cbranch_vccnz .LBB16_121
; %bb.120:
	scratch_load_b64 v[35:36], v39, off
	ds_load_b64 v[42:43], v38
	s_waitcnt vmcnt(0) lgkmcnt(0)
	v_mul_f64 v[35:36], v[35:36], v[42:43]
	s_cbranch_execz .LBB16_122
	s_branch .LBB16_123
.LBB16_121:
                                        ; implicit-def: $vgpr35_vgpr36
.LBB16_122:
	ds_load_b64 v[35:36], v38
.LBB16_123:
	s_and_saveexec_b32 s4, s0
	s_cbranch_execz .LBB16_127
; %bb.124:
	v_add_nc_u32_e32 v42, -4, v0
	s_movk_i32 s5, 0xb0
	s_mov_b32 s0, 0
.LBB16_125:                             ; =>This Inner Loop Header: Depth=1
	scratch_load_b64 v[43:44], v41, off
	v_dual_mov_b32 v45, s5 :: v_dual_add_nc_u32 v42, -1, v42
	v_add_nc_u32_e32 v41, 8, v41
	s_add_i32 s5, s5, 8
	ds_load_b64 v[45:46], v45
	v_cmp_eq_u32_e32 vcc_lo, 0, v42
	s_or_b32 s0, vcc_lo, s0
	s_waitcnt vmcnt(0) lgkmcnt(0)
	v_fma_f64 v[35:36], v[43:44], v[45:46], v[35:36]
	s_and_not1_b32 exec_lo, exec_lo, s0
	s_cbranch_execnz .LBB16_125
; %bb.126:
	s_or_b32 exec_lo, exec_lo, s0
.LBB16_127:
	s_delay_alu instid0(SALU_CYCLE_1)
	s_or_b32 exec_lo, exec_lo, s4
	v_mov_b32_e32 v41, 0
	ds_load_b64 v[41:42], v41 offset:24
	s_waitcnt lgkmcnt(0)
	v_mul_f64 v[35:36], v[35:36], v[41:42]
	scratch_store_b64 off, v[35:36], off offset:24
.LBB16_128:
	s_or_b32 exec_lo, exec_lo, s3
	scratch_load_b64 v[35:36], off, off offset:16
	v_cmp_lt_u32_e64 s0, 2, v0
	s_waitcnt vmcnt(0)
	ds_store_b64 v38, v[35:36]
	s_waitcnt lgkmcnt(0)
	s_waitcnt_vscnt null, 0x0
	s_barrier
	buffer_gl0_inv
	s_and_saveexec_b32 s3, s0
	s_cbranch_execz .LBB16_138
; %bb.129:
	s_and_not1_b32 vcc_lo, exec_lo, s2
	s_cbranch_vccnz .LBB16_131
; %bb.130:
	scratch_load_b64 v[35:36], v39, off
	ds_load_b64 v[41:42], v38
	s_waitcnt vmcnt(0) lgkmcnt(0)
	v_mul_f64 v[35:36], v[35:36], v[41:42]
	s_cbranch_execz .LBB16_132
	s_branch .LBB16_133
.LBB16_131:
                                        ; implicit-def: $vgpr35_vgpr36
.LBB16_132:
	ds_load_b64 v[35:36], v38
.LBB16_133:
	s_and_saveexec_b32 s4, s1
	s_cbranch_execz .LBB16_137
; %bb.134:
	v_add_nc_u32_e64 v41, 0, 24
	v_add_nc_u32_e32 v42, -3, v0
	s_movk_i32 s5, 0xa8
	s_mov_b32 s1, 0
.LBB16_135:                             ; =>This Inner Loop Header: Depth=1
	scratch_load_b64 v[43:44], v41, off
	v_dual_mov_b32 v45, s5 :: v_dual_add_nc_u32 v42, -1, v42
	v_add_nc_u32_e32 v41, 8, v41
	s_add_i32 s5, s5, 8
	ds_load_b64 v[45:46], v45
	v_cmp_eq_u32_e32 vcc_lo, 0, v42
	s_or_b32 s1, vcc_lo, s1
	s_waitcnt vmcnt(0) lgkmcnt(0)
	v_fma_f64 v[35:36], v[43:44], v[45:46], v[35:36]
	s_and_not1_b32 exec_lo, exec_lo, s1
	s_cbranch_execnz .LBB16_135
; %bb.136:
	s_or_b32 exec_lo, exec_lo, s1
.LBB16_137:
	s_delay_alu instid0(SALU_CYCLE_1)
	s_or_b32 exec_lo, exec_lo, s4
	v_mov_b32_e32 v41, 0
	ds_load_b64 v[41:42], v41 offset:16
	s_waitcnt lgkmcnt(0)
	v_mul_f64 v[35:36], v[35:36], v[41:42]
	scratch_store_b64 off, v[35:36], off offset:16
.LBB16_138:
	s_or_b32 exec_lo, exec_lo, s3
	scratch_load_b64 v[35:36], off, off offset:8
	v_cmp_lt_u32_e64 s1, 1, v0
	s_waitcnt vmcnt(0)
	ds_store_b64 v38, v[35:36]
	s_waitcnt lgkmcnt(0)
	s_waitcnt_vscnt null, 0x0
	s_barrier
	buffer_gl0_inv
	s_and_saveexec_b32 s3, s1
	s_cbranch_execz .LBB16_148
; %bb.139:
	s_and_not1_b32 vcc_lo, exec_lo, s2
	s_cbranch_vccnz .LBB16_141
; %bb.140:
	scratch_load_b64 v[35:36], v39, off
	ds_load_b64 v[41:42], v38
	s_waitcnt vmcnt(0) lgkmcnt(0)
	v_mul_f64 v[35:36], v[35:36], v[41:42]
	s_cbranch_execz .LBB16_142
	s_branch .LBB16_143
.LBB16_141:
                                        ; implicit-def: $vgpr35_vgpr36
.LBB16_142:
	ds_load_b64 v[35:36], v38
.LBB16_143:
	s_and_saveexec_b32 s4, s0
	s_cbranch_execz .LBB16_147
; %bb.144:
	v_add_nc_u32_e32 v41, -2, v0
	s_movk_i32 s5, 0xa0
	s_mov_b32 s0, 0
.LBB16_145:                             ; =>This Inner Loop Header: Depth=1
	scratch_load_b64 v[42:43], v40, off
	v_dual_mov_b32 v44, s5 :: v_dual_add_nc_u32 v41, -1, v41
	v_add_nc_u32_e32 v40, 8, v40
	s_add_i32 s5, s5, 8
	ds_load_b64 v[44:45], v44
	v_cmp_eq_u32_e32 vcc_lo, 0, v41
	s_or_b32 s0, vcc_lo, s0
	s_waitcnt vmcnt(0) lgkmcnt(0)
	v_fma_f64 v[35:36], v[42:43], v[44:45], v[35:36]
	s_and_not1_b32 exec_lo, exec_lo, s0
	s_cbranch_execnz .LBB16_145
; %bb.146:
	s_or_b32 exec_lo, exec_lo, s0
.LBB16_147:
	s_delay_alu instid0(SALU_CYCLE_1)
	s_or_b32 exec_lo, exec_lo, s4
	v_mov_b32_e32 v40, 0
	ds_load_b64 v[40:41], v40 offset:8
	s_waitcnt lgkmcnt(0)
	v_mul_f64 v[35:36], v[35:36], v[40:41]
	scratch_store_b64 off, v[35:36], off offset:8
.LBB16_148:
	s_or_b32 exec_lo, exec_lo, s3
	scratch_load_b64 v[35:36], off, off
	s_mov_b32 s0, 0
	s_mov_b32 s3, exec_lo
	s_waitcnt vmcnt(0)
	ds_store_b64 v38, v[35:36]
	s_waitcnt lgkmcnt(0)
	s_waitcnt_vscnt null, 0x0
	s_barrier
	buffer_gl0_inv
	v_cmpx_ne_u32_e32 0, v0
	s_cbranch_execz .LBB16_158
; %bb.149:
	s_and_not1_b32 vcc_lo, exec_lo, s2
	s_cbranch_vccnz .LBB16_151
; %bb.150:
	scratch_load_b64 v[35:36], v39, off
	ds_load_b64 v[40:41], v38
	s_waitcnt vmcnt(0) lgkmcnt(0)
	v_mul_f64 v[35:36], v[35:36], v[40:41]
	s_cbranch_execz .LBB16_152
	s_branch .LBB16_153
.LBB16_151:
                                        ; implicit-def: $vgpr35_vgpr36
.LBB16_152:
	ds_load_b64 v[35:36], v38
.LBB16_153:
	s_and_saveexec_b32 s4, s1
	s_cbranch_execz .LBB16_157
; %bb.154:
	v_or_b32_e64 v40, 0, 8
	v_add_nc_u32_e32 v41, -1, v0
	s_movk_i32 s5, 0x98
	s_mov_b32 s1, 0
.LBB16_155:                             ; =>This Inner Loop Header: Depth=1
	scratch_load_b64 v[42:43], v40, off
	v_dual_mov_b32 v44, s5 :: v_dual_add_nc_u32 v41, -1, v41
	v_add_nc_u32_e32 v40, 8, v40
	s_add_i32 s5, s5, 8
	ds_load_b64 v[44:45], v44
	v_cmp_eq_u32_e32 vcc_lo, 0, v41
	s_or_b32 s1, vcc_lo, s1
	s_waitcnt vmcnt(0) lgkmcnt(0)
	v_fma_f64 v[35:36], v[42:43], v[44:45], v[35:36]
	s_and_not1_b32 exec_lo, exec_lo, s1
	s_cbranch_execnz .LBB16_155
; %bb.156:
	s_or_b32 exec_lo, exec_lo, s1
.LBB16_157:
	s_delay_alu instid0(SALU_CYCLE_1)
	s_or_b32 exec_lo, exec_lo, s4
	v_mov_b32_e32 v40, 0
	ds_load_b64 v[40:41], v40
	s_waitcnt lgkmcnt(0)
	v_mul_f64 v[35:36], v[35:36], v[40:41]
	scratch_store_b64 off, v[35:36], off
.LBB16_158:
	s_or_b32 exec_lo, exec_lo, s3
.LBB16_159:
	s_delay_alu instid0(SALU_CYCLE_1)
	s_and_b32 vcc_lo, exec_lo, s0
	s_cbranch_vccz .LBB16_315
; %bb.160:
	scratch_load_b64 v[35:36], off, off offset:8
	v_cmp_eq_u32_e64 s0, 0, v0
	s_waitcnt vmcnt(0)
	ds_store_b64 v38, v[35:36]
	s_waitcnt lgkmcnt(0)
	s_waitcnt_vscnt null, 0x0
	s_barrier
	buffer_gl0_inv
	s_and_saveexec_b32 s1, s0
	s_cbranch_execz .LBB16_166
; %bb.161:
	s_and_b32 vcc_lo, exec_lo, s2
	s_cbranch_vccz .LBB16_163
; %bb.162:
	scratch_load_b64 v[35:36], v39, off
	ds_load_b64 v[40:41], v38
	s_waitcnt vmcnt(0) lgkmcnt(0)
	v_mul_f64 v[35:36], v[35:36], v[40:41]
	s_cbranch_execz .LBB16_164
	s_branch .LBB16_165
.LBB16_163:
                                        ; implicit-def: $vgpr35_vgpr36
.LBB16_164:
	ds_load_b64 v[35:36], v38
.LBB16_165:
	v_mov_b32_e32 v40, 0
	ds_load_b64 v[40:41], v40 offset:8
	s_waitcnt lgkmcnt(0)
	v_mul_f64 v[35:36], v[35:36], v[40:41]
	scratch_store_b64 off, v[35:36], off offset:8
.LBB16_166:
	s_or_b32 exec_lo, exec_lo, s1
	scratch_load_b64 v[35:36], off, off offset:16
	v_cndmask_b32_e64 v40, 0, 1, s2
	s_mov_b32 s1, exec_lo
	s_waitcnt vmcnt(0)
	ds_store_b64 v38, v[35:36]
	s_waitcnt lgkmcnt(0)
	s_waitcnt_vscnt null, 0x0
	s_barrier
	buffer_gl0_inv
	v_cmpx_gt_u32_e32 2, v0
	s_cbranch_execz .LBB16_174
; %bb.167:
	s_and_not1_b32 vcc_lo, exec_lo, s2
	s_cbranch_vccnz .LBB16_169
; %bb.168:
	scratch_load_b64 v[35:36], v39, off
	ds_load_b64 v[41:42], v38
	s_waitcnt vmcnt(0) lgkmcnt(0)
	v_mul_f64 v[35:36], v[35:36], v[41:42]
	s_cbranch_execz .LBB16_170
	s_branch .LBB16_171
.LBB16_169:
                                        ; implicit-def: $vgpr35_vgpr36
.LBB16_170:
	ds_load_b64 v[35:36], v38
.LBB16_171:
	s_and_saveexec_b32 s2, s0
	s_cbranch_execz .LBB16_173
; %bb.172:
	scratch_load_b64 v[41:42], v39, off offset:8
	ds_load_b64 v[43:44], v38 offset:8
	s_waitcnt vmcnt(0) lgkmcnt(0)
	v_fma_f64 v[35:36], v[41:42], v[43:44], v[35:36]
.LBB16_173:
	s_or_b32 exec_lo, exec_lo, s2
	v_mov_b32_e32 v41, 0
	ds_load_b64 v[41:42], v41 offset:16
	s_waitcnt lgkmcnt(0)
	v_mul_f64 v[35:36], v[35:36], v[41:42]
	scratch_store_b64 off, v[35:36], off offset:16
.LBB16_174:
	s_or_b32 exec_lo, exec_lo, s1
	scratch_load_b64 v[35:36], off, off offset:24
	s_mov_b32 s1, exec_lo
	s_waitcnt vmcnt(0)
	ds_store_b64 v38, v[35:36]
	s_waitcnt lgkmcnt(0)
	s_waitcnt_vscnt null, 0x0
	s_barrier
	buffer_gl0_inv
	v_cmpx_gt_u32_e32 3, v0
	s_cbranch_execz .LBB16_184
; %bb.175:
	v_cmp_ne_u32_e32 vcc_lo, 1, v40
	s_cbranch_vccnz .LBB16_177
; %bb.176:
	scratch_load_b64 v[35:36], v39, off
	ds_load_b64 v[41:42], v38
	s_waitcnt vmcnt(0) lgkmcnt(0)
	v_mul_f64 v[35:36], v[35:36], v[41:42]
	s_cbranch_execz .LBB16_178
	s_branch .LBB16_179
.LBB16_177:
                                        ; implicit-def: $vgpr35_vgpr36
.LBB16_178:
	ds_load_b64 v[35:36], v38
.LBB16_179:
	s_mov_b32 s2, exec_lo
	v_cmpx_ne_u32_e32 2, v0
	s_cbranch_execz .LBB16_183
; %bb.180:
	scratch_load_b64 v[41:42], v39, off offset:8
	ds_load_b64 v[43:44], v38 offset:8
	s_waitcnt vmcnt(0) lgkmcnt(0)
	v_fma_f64 v[35:36], v[41:42], v[43:44], v[35:36]
	s_and_saveexec_b32 s3, s0
	s_cbranch_execz .LBB16_182
; %bb.181:
	scratch_load_b64 v[41:42], off, off offset:16
	v_mov_b32_e32 v43, 0
	ds_load_b64 v[43:44], v43 offset:160
	s_waitcnt vmcnt(0) lgkmcnt(0)
	v_fma_f64 v[35:36], v[41:42], v[43:44], v[35:36]
.LBB16_182:
	s_or_b32 exec_lo, exec_lo, s3
.LBB16_183:
	s_delay_alu instid0(SALU_CYCLE_1)
	s_or_b32 exec_lo, exec_lo, s2
	v_mov_b32_e32 v41, 0
	ds_load_b64 v[41:42], v41 offset:24
	s_waitcnt lgkmcnt(0)
	v_mul_f64 v[35:36], v[35:36], v[41:42]
	scratch_store_b64 off, v[35:36], off offset:24
.LBB16_184:
	s_or_b32 exec_lo, exec_lo, s1
	scratch_load_b64 v[35:36], off, off offset:32
	s_mov_b32 s0, exec_lo
	s_waitcnt vmcnt(0)
	ds_store_b64 v38, v[35:36]
	s_waitcnt lgkmcnt(0)
	s_waitcnt_vscnt null, 0x0
	s_barrier
	buffer_gl0_inv
	v_cmpx_gt_u32_e32 4, v0
	s_cbranch_execz .LBB16_194
; %bb.185:
	v_cmp_ne_u32_e32 vcc_lo, 1, v40
	s_cbranch_vccnz .LBB16_187
; %bb.186:
	scratch_load_b64 v[35:36], v39, off
	ds_load_b64 v[41:42], v38
	s_waitcnt vmcnt(0) lgkmcnt(0)
	v_mul_f64 v[35:36], v[35:36], v[41:42]
	s_cbranch_execz .LBB16_188
	s_branch .LBB16_189
.LBB16_187:
                                        ; implicit-def: $vgpr35_vgpr36
.LBB16_188:
	ds_load_b64 v[35:36], v38
.LBB16_189:
	s_mov_b32 s1, exec_lo
	v_cmpx_ne_u32_e32 3, v0
	s_cbranch_execz .LBB16_193
; %bb.190:
	v_add_nc_u32_e32 v41, 0x98, v37
	v_add3_u32 v42, 0, v37, 8
	v_mov_b32_e32 v43, v0
	s_mov_b32 s2, 0
.LBB16_191:                             ; =>This Inner Loop Header: Depth=1
	scratch_load_b64 v[44:45], v42, off
	ds_load_b64 v[46:47], v41
	v_add_nc_u32_e32 v43, 1, v43
	v_add_nc_u32_e32 v41, 8, v41
	v_add_nc_u32_e32 v42, 8, v42
	s_delay_alu instid0(VALU_DEP_3)
	v_cmp_lt_u32_e32 vcc_lo, 2, v43
	s_or_b32 s2, vcc_lo, s2
	s_waitcnt vmcnt(0) lgkmcnt(0)
	v_fma_f64 v[35:36], v[44:45], v[46:47], v[35:36]
	s_and_not1_b32 exec_lo, exec_lo, s2
	s_cbranch_execnz .LBB16_191
; %bb.192:
	s_or_b32 exec_lo, exec_lo, s2
.LBB16_193:
	s_delay_alu instid0(SALU_CYCLE_1)
	s_or_b32 exec_lo, exec_lo, s1
	v_mov_b32_e32 v41, 0
	ds_load_b64 v[41:42], v41 offset:32
	s_waitcnt lgkmcnt(0)
	v_mul_f64 v[35:36], v[35:36], v[41:42]
	scratch_store_b64 off, v[35:36], off offset:32
.LBB16_194:
	s_or_b32 exec_lo, exec_lo, s0
	scratch_load_b64 v[35:36], off, off offset:40
	s_mov_b32 s0, exec_lo
	s_waitcnt vmcnt(0)
	ds_store_b64 v38, v[35:36]
	s_waitcnt lgkmcnt(0)
	s_waitcnt_vscnt null, 0x0
	s_barrier
	buffer_gl0_inv
	v_cmpx_gt_u32_e32 5, v0
	s_cbranch_execz .LBB16_204
; %bb.195:
	v_cmp_ne_u32_e32 vcc_lo, 1, v40
	s_cbranch_vccnz .LBB16_197
; %bb.196:
	scratch_load_b64 v[35:36], v39, off
	ds_load_b64 v[41:42], v38
	s_waitcnt vmcnt(0) lgkmcnt(0)
	v_mul_f64 v[35:36], v[35:36], v[41:42]
	s_cbranch_execz .LBB16_198
	s_branch .LBB16_199
.LBB16_197:
                                        ; implicit-def: $vgpr35_vgpr36
.LBB16_198:
	ds_load_b64 v[35:36], v38
.LBB16_199:
	s_mov_b32 s1, exec_lo
	v_cmpx_ne_u32_e32 4, v0
	s_cbranch_execz .LBB16_203
; %bb.200:
	v_add_nc_u32_e32 v41, 0x98, v37
	v_add3_u32 v42, 0, v37, 8
	v_mov_b32_e32 v43, v0
	s_mov_b32 s2, 0
.LBB16_201:                             ; =>This Inner Loop Header: Depth=1
	scratch_load_b64 v[44:45], v42, off
	ds_load_b64 v[46:47], v41
	v_add_nc_u32_e32 v43, 1, v43
	v_add_nc_u32_e32 v41, 8, v41
	v_add_nc_u32_e32 v42, 8, v42
	s_delay_alu instid0(VALU_DEP_3)
	v_cmp_lt_u32_e32 vcc_lo, 3, v43
	s_or_b32 s2, vcc_lo, s2
	s_waitcnt vmcnt(0) lgkmcnt(0)
	v_fma_f64 v[35:36], v[44:45], v[46:47], v[35:36]
	s_and_not1_b32 exec_lo, exec_lo, s2
	s_cbranch_execnz .LBB16_201
; %bb.202:
	s_or_b32 exec_lo, exec_lo, s2
.LBB16_203:
	s_delay_alu instid0(SALU_CYCLE_1)
	s_or_b32 exec_lo, exec_lo, s1
	v_mov_b32_e32 v41, 0
	ds_load_b64 v[41:42], v41 offset:40
	s_waitcnt lgkmcnt(0)
	v_mul_f64 v[35:36], v[35:36], v[41:42]
	scratch_store_b64 off, v[35:36], off offset:40
.LBB16_204:
	s_or_b32 exec_lo, exec_lo, s0
	scratch_load_b64 v[35:36], off, off offset:48
	s_mov_b32 s0, exec_lo
	s_waitcnt vmcnt(0)
	ds_store_b64 v38, v[35:36]
	s_waitcnt lgkmcnt(0)
	s_waitcnt_vscnt null, 0x0
	s_barrier
	buffer_gl0_inv
	v_cmpx_gt_u32_e32 6, v0
	s_cbranch_execz .LBB16_214
; %bb.205:
	v_cmp_ne_u32_e32 vcc_lo, 1, v40
	s_cbranch_vccnz .LBB16_207
; %bb.206:
	scratch_load_b64 v[35:36], v39, off
	ds_load_b64 v[41:42], v38
	s_waitcnt vmcnt(0) lgkmcnt(0)
	v_mul_f64 v[35:36], v[35:36], v[41:42]
	s_cbranch_execz .LBB16_208
	s_branch .LBB16_209
.LBB16_207:
                                        ; implicit-def: $vgpr35_vgpr36
.LBB16_208:
	ds_load_b64 v[35:36], v38
.LBB16_209:
	s_mov_b32 s1, exec_lo
	v_cmpx_ne_u32_e32 5, v0
	s_cbranch_execz .LBB16_213
; %bb.210:
	v_add_nc_u32_e32 v41, 0x98, v37
	v_add3_u32 v42, 0, v37, 8
	v_mov_b32_e32 v43, v0
	s_mov_b32 s2, 0
.LBB16_211:                             ; =>This Inner Loop Header: Depth=1
	scratch_load_b64 v[44:45], v42, off
	ds_load_b64 v[46:47], v41
	v_add_nc_u32_e32 v43, 1, v43
	v_add_nc_u32_e32 v41, 8, v41
	v_add_nc_u32_e32 v42, 8, v42
	s_delay_alu instid0(VALU_DEP_3)
	v_cmp_lt_u32_e32 vcc_lo, 4, v43
	s_or_b32 s2, vcc_lo, s2
	s_waitcnt vmcnt(0) lgkmcnt(0)
	v_fma_f64 v[35:36], v[44:45], v[46:47], v[35:36]
	s_and_not1_b32 exec_lo, exec_lo, s2
	s_cbranch_execnz .LBB16_211
; %bb.212:
	s_or_b32 exec_lo, exec_lo, s2
.LBB16_213:
	s_delay_alu instid0(SALU_CYCLE_1)
	s_or_b32 exec_lo, exec_lo, s1
	v_mov_b32_e32 v41, 0
	ds_load_b64 v[41:42], v41 offset:48
	s_waitcnt lgkmcnt(0)
	v_mul_f64 v[35:36], v[35:36], v[41:42]
	scratch_store_b64 off, v[35:36], off offset:48
.LBB16_214:
	s_or_b32 exec_lo, exec_lo, s0
	scratch_load_b64 v[35:36], off, off offset:56
	s_mov_b32 s0, exec_lo
	s_waitcnt vmcnt(0)
	ds_store_b64 v38, v[35:36]
	s_waitcnt lgkmcnt(0)
	s_waitcnt_vscnt null, 0x0
	s_barrier
	buffer_gl0_inv
	v_cmpx_gt_u32_e32 7, v0
	s_cbranch_execz .LBB16_224
; %bb.215:
	v_cmp_ne_u32_e32 vcc_lo, 1, v40
	s_cbranch_vccnz .LBB16_217
; %bb.216:
	scratch_load_b64 v[35:36], v39, off
	ds_load_b64 v[41:42], v38
	s_waitcnt vmcnt(0) lgkmcnt(0)
	v_mul_f64 v[35:36], v[35:36], v[41:42]
	s_cbranch_execz .LBB16_218
	s_branch .LBB16_219
.LBB16_217:
                                        ; implicit-def: $vgpr35_vgpr36
.LBB16_218:
	ds_load_b64 v[35:36], v38
.LBB16_219:
	s_mov_b32 s1, exec_lo
	v_cmpx_ne_u32_e32 6, v0
	s_cbranch_execz .LBB16_223
; %bb.220:
	v_add_nc_u32_e32 v41, 0x98, v37
	v_add3_u32 v42, 0, v37, 8
	v_mov_b32_e32 v43, v0
	s_mov_b32 s2, 0
.LBB16_221:                             ; =>This Inner Loop Header: Depth=1
	scratch_load_b64 v[44:45], v42, off
	ds_load_b64 v[46:47], v41
	v_add_nc_u32_e32 v43, 1, v43
	v_add_nc_u32_e32 v41, 8, v41
	v_add_nc_u32_e32 v42, 8, v42
	s_delay_alu instid0(VALU_DEP_3)
	v_cmp_lt_u32_e32 vcc_lo, 5, v43
	s_or_b32 s2, vcc_lo, s2
	s_waitcnt vmcnt(0) lgkmcnt(0)
	v_fma_f64 v[35:36], v[44:45], v[46:47], v[35:36]
	s_and_not1_b32 exec_lo, exec_lo, s2
	s_cbranch_execnz .LBB16_221
; %bb.222:
	s_or_b32 exec_lo, exec_lo, s2
.LBB16_223:
	s_delay_alu instid0(SALU_CYCLE_1)
	s_or_b32 exec_lo, exec_lo, s1
	v_mov_b32_e32 v41, 0
	ds_load_b64 v[41:42], v41 offset:56
	s_waitcnt lgkmcnt(0)
	v_mul_f64 v[35:36], v[35:36], v[41:42]
	scratch_store_b64 off, v[35:36], off offset:56
.LBB16_224:
	s_or_b32 exec_lo, exec_lo, s0
	scratch_load_b64 v[35:36], off, off offset:64
	s_mov_b32 s0, exec_lo
	s_waitcnt vmcnt(0)
	ds_store_b64 v38, v[35:36]
	s_waitcnt lgkmcnt(0)
	s_waitcnt_vscnt null, 0x0
	s_barrier
	buffer_gl0_inv
	v_cmpx_gt_u32_e32 8, v0
	s_cbranch_execz .LBB16_234
; %bb.225:
	v_cmp_ne_u32_e32 vcc_lo, 1, v40
	s_cbranch_vccnz .LBB16_227
; %bb.226:
	scratch_load_b64 v[35:36], v39, off
	ds_load_b64 v[41:42], v38
	s_waitcnt vmcnt(0) lgkmcnt(0)
	v_mul_f64 v[35:36], v[35:36], v[41:42]
	s_cbranch_execz .LBB16_228
	s_branch .LBB16_229
.LBB16_227:
                                        ; implicit-def: $vgpr35_vgpr36
.LBB16_228:
	ds_load_b64 v[35:36], v38
.LBB16_229:
	s_mov_b32 s1, exec_lo
	v_cmpx_ne_u32_e32 7, v0
	s_cbranch_execz .LBB16_233
; %bb.230:
	v_add_nc_u32_e32 v41, 0x98, v37
	v_add3_u32 v42, 0, v37, 8
	v_mov_b32_e32 v43, v0
	s_mov_b32 s2, 0
.LBB16_231:                             ; =>This Inner Loop Header: Depth=1
	scratch_load_b64 v[44:45], v42, off
	ds_load_b64 v[46:47], v41
	v_add_nc_u32_e32 v43, 1, v43
	v_add_nc_u32_e32 v41, 8, v41
	v_add_nc_u32_e32 v42, 8, v42
	s_delay_alu instid0(VALU_DEP_3)
	v_cmp_lt_u32_e32 vcc_lo, 6, v43
	s_or_b32 s2, vcc_lo, s2
	s_waitcnt vmcnt(0) lgkmcnt(0)
	v_fma_f64 v[35:36], v[44:45], v[46:47], v[35:36]
	s_and_not1_b32 exec_lo, exec_lo, s2
	s_cbranch_execnz .LBB16_231
; %bb.232:
	s_or_b32 exec_lo, exec_lo, s2
.LBB16_233:
	s_delay_alu instid0(SALU_CYCLE_1)
	s_or_b32 exec_lo, exec_lo, s1
	v_mov_b32_e32 v41, 0
	ds_load_b64 v[41:42], v41 offset:64
	s_waitcnt lgkmcnt(0)
	v_mul_f64 v[35:36], v[35:36], v[41:42]
	scratch_store_b64 off, v[35:36], off offset:64
.LBB16_234:
	s_or_b32 exec_lo, exec_lo, s0
	scratch_load_b64 v[35:36], off, off offset:72
	s_mov_b32 s0, exec_lo
	s_waitcnt vmcnt(0)
	ds_store_b64 v38, v[35:36]
	s_waitcnt lgkmcnt(0)
	s_waitcnt_vscnt null, 0x0
	s_barrier
	buffer_gl0_inv
	v_cmpx_gt_u32_e32 9, v0
	s_cbranch_execz .LBB16_244
; %bb.235:
	v_cmp_ne_u32_e32 vcc_lo, 1, v40
	s_cbranch_vccnz .LBB16_237
; %bb.236:
	scratch_load_b64 v[35:36], v39, off
	ds_load_b64 v[41:42], v38
	s_waitcnt vmcnt(0) lgkmcnt(0)
	v_mul_f64 v[35:36], v[35:36], v[41:42]
	s_cbranch_execz .LBB16_238
	s_branch .LBB16_239
.LBB16_237:
                                        ; implicit-def: $vgpr35_vgpr36
.LBB16_238:
	ds_load_b64 v[35:36], v38
.LBB16_239:
	s_mov_b32 s1, exec_lo
	v_cmpx_ne_u32_e32 8, v0
	s_cbranch_execz .LBB16_243
; %bb.240:
	v_add_nc_u32_e32 v41, 0x98, v37
	v_add3_u32 v42, 0, v37, 8
	v_mov_b32_e32 v43, v0
	s_mov_b32 s2, 0
.LBB16_241:                             ; =>This Inner Loop Header: Depth=1
	scratch_load_b64 v[44:45], v42, off
	ds_load_b64 v[46:47], v41
	v_add_nc_u32_e32 v43, 1, v43
	v_add_nc_u32_e32 v41, 8, v41
	v_add_nc_u32_e32 v42, 8, v42
	s_delay_alu instid0(VALU_DEP_3)
	v_cmp_lt_u32_e32 vcc_lo, 7, v43
	s_or_b32 s2, vcc_lo, s2
	s_waitcnt vmcnt(0) lgkmcnt(0)
	v_fma_f64 v[35:36], v[44:45], v[46:47], v[35:36]
	s_and_not1_b32 exec_lo, exec_lo, s2
	s_cbranch_execnz .LBB16_241
; %bb.242:
	s_or_b32 exec_lo, exec_lo, s2
.LBB16_243:
	s_delay_alu instid0(SALU_CYCLE_1)
	s_or_b32 exec_lo, exec_lo, s1
	v_mov_b32_e32 v41, 0
	ds_load_b64 v[41:42], v41 offset:72
	s_waitcnt lgkmcnt(0)
	v_mul_f64 v[35:36], v[35:36], v[41:42]
	scratch_store_b64 off, v[35:36], off offset:72
.LBB16_244:
	s_or_b32 exec_lo, exec_lo, s0
	scratch_load_b64 v[35:36], off, off offset:80
	s_mov_b32 s0, exec_lo
	s_waitcnt vmcnt(0)
	ds_store_b64 v38, v[35:36]
	s_waitcnt lgkmcnt(0)
	s_waitcnt_vscnt null, 0x0
	s_barrier
	buffer_gl0_inv
	v_cmpx_gt_u32_e32 10, v0
	s_cbranch_execz .LBB16_254
; %bb.245:
	v_cmp_ne_u32_e32 vcc_lo, 1, v40
	s_cbranch_vccnz .LBB16_247
; %bb.246:
	scratch_load_b64 v[35:36], v39, off
	ds_load_b64 v[41:42], v38
	s_waitcnt vmcnt(0) lgkmcnt(0)
	v_mul_f64 v[35:36], v[35:36], v[41:42]
	s_cbranch_execz .LBB16_248
	s_branch .LBB16_249
.LBB16_247:
                                        ; implicit-def: $vgpr35_vgpr36
.LBB16_248:
	ds_load_b64 v[35:36], v38
.LBB16_249:
	s_mov_b32 s1, exec_lo
	v_cmpx_ne_u32_e32 9, v0
	s_cbranch_execz .LBB16_253
; %bb.250:
	v_add_nc_u32_e32 v41, 0x98, v37
	v_add3_u32 v42, 0, v37, 8
	v_mov_b32_e32 v43, v0
	s_mov_b32 s2, 0
.LBB16_251:                             ; =>This Inner Loop Header: Depth=1
	scratch_load_b64 v[44:45], v42, off
	ds_load_b64 v[46:47], v41
	v_add_nc_u32_e32 v43, 1, v43
	v_add_nc_u32_e32 v41, 8, v41
	v_add_nc_u32_e32 v42, 8, v42
	s_delay_alu instid0(VALU_DEP_3)
	v_cmp_lt_u32_e32 vcc_lo, 8, v43
	s_or_b32 s2, vcc_lo, s2
	s_waitcnt vmcnt(0) lgkmcnt(0)
	v_fma_f64 v[35:36], v[44:45], v[46:47], v[35:36]
	s_and_not1_b32 exec_lo, exec_lo, s2
	s_cbranch_execnz .LBB16_251
; %bb.252:
	s_or_b32 exec_lo, exec_lo, s2
.LBB16_253:
	s_delay_alu instid0(SALU_CYCLE_1)
	s_or_b32 exec_lo, exec_lo, s1
	v_mov_b32_e32 v41, 0
	ds_load_b64 v[41:42], v41 offset:80
	s_waitcnt lgkmcnt(0)
	v_mul_f64 v[35:36], v[35:36], v[41:42]
	scratch_store_b64 off, v[35:36], off offset:80
.LBB16_254:
	s_or_b32 exec_lo, exec_lo, s0
	scratch_load_b64 v[35:36], off, off offset:88
	s_mov_b32 s0, exec_lo
	s_waitcnt vmcnt(0)
	ds_store_b64 v38, v[35:36]
	s_waitcnt lgkmcnt(0)
	s_waitcnt_vscnt null, 0x0
	s_barrier
	buffer_gl0_inv
	v_cmpx_gt_u32_e32 11, v0
	s_cbranch_execz .LBB16_264
; %bb.255:
	v_cmp_ne_u32_e32 vcc_lo, 1, v40
	s_cbranch_vccnz .LBB16_257
; %bb.256:
	scratch_load_b64 v[35:36], v39, off
	ds_load_b64 v[41:42], v38
	s_waitcnt vmcnt(0) lgkmcnt(0)
	v_mul_f64 v[35:36], v[35:36], v[41:42]
	s_cbranch_execz .LBB16_258
	s_branch .LBB16_259
.LBB16_257:
                                        ; implicit-def: $vgpr35_vgpr36
.LBB16_258:
	ds_load_b64 v[35:36], v38
.LBB16_259:
	s_mov_b32 s1, exec_lo
	v_cmpx_ne_u32_e32 10, v0
	s_cbranch_execz .LBB16_263
; %bb.260:
	v_add_nc_u32_e32 v41, 0x98, v37
	v_add3_u32 v42, 0, v37, 8
	v_mov_b32_e32 v43, v0
	s_mov_b32 s2, 0
.LBB16_261:                             ; =>This Inner Loop Header: Depth=1
	scratch_load_b64 v[44:45], v42, off
	ds_load_b64 v[46:47], v41
	v_add_nc_u32_e32 v43, 1, v43
	v_add_nc_u32_e32 v41, 8, v41
	v_add_nc_u32_e32 v42, 8, v42
	s_delay_alu instid0(VALU_DEP_3)
	v_cmp_lt_u32_e32 vcc_lo, 9, v43
	s_or_b32 s2, vcc_lo, s2
	s_waitcnt vmcnt(0) lgkmcnt(0)
	v_fma_f64 v[35:36], v[44:45], v[46:47], v[35:36]
	s_and_not1_b32 exec_lo, exec_lo, s2
	s_cbranch_execnz .LBB16_261
; %bb.262:
	s_or_b32 exec_lo, exec_lo, s2
.LBB16_263:
	s_delay_alu instid0(SALU_CYCLE_1)
	s_or_b32 exec_lo, exec_lo, s1
	v_mov_b32_e32 v41, 0
	ds_load_b64 v[41:42], v41 offset:88
	s_waitcnt lgkmcnt(0)
	v_mul_f64 v[35:36], v[35:36], v[41:42]
	scratch_store_b64 off, v[35:36], off offset:88
.LBB16_264:
	s_or_b32 exec_lo, exec_lo, s0
	scratch_load_b64 v[35:36], off, off offset:96
	s_mov_b32 s0, exec_lo
	s_waitcnt vmcnt(0)
	ds_store_b64 v38, v[35:36]
	s_waitcnt lgkmcnt(0)
	s_waitcnt_vscnt null, 0x0
	s_barrier
	buffer_gl0_inv
	v_cmpx_gt_u32_e32 12, v0
	s_cbranch_execz .LBB16_274
; %bb.265:
	v_cmp_ne_u32_e32 vcc_lo, 1, v40
	s_cbranch_vccnz .LBB16_267
; %bb.266:
	scratch_load_b64 v[35:36], v39, off
	ds_load_b64 v[41:42], v38
	s_waitcnt vmcnt(0) lgkmcnt(0)
	v_mul_f64 v[35:36], v[35:36], v[41:42]
	s_cbranch_execz .LBB16_268
	s_branch .LBB16_269
.LBB16_267:
                                        ; implicit-def: $vgpr35_vgpr36
.LBB16_268:
	ds_load_b64 v[35:36], v38
.LBB16_269:
	s_mov_b32 s1, exec_lo
	v_cmpx_ne_u32_e32 11, v0
	s_cbranch_execz .LBB16_273
; %bb.270:
	v_add_nc_u32_e32 v41, 0x98, v37
	v_add3_u32 v42, 0, v37, 8
	v_mov_b32_e32 v43, v0
	s_mov_b32 s2, 0
.LBB16_271:                             ; =>This Inner Loop Header: Depth=1
	scratch_load_b64 v[44:45], v42, off
	ds_load_b64 v[46:47], v41
	v_add_nc_u32_e32 v43, 1, v43
	v_add_nc_u32_e32 v41, 8, v41
	v_add_nc_u32_e32 v42, 8, v42
	s_delay_alu instid0(VALU_DEP_3)
	v_cmp_lt_u32_e32 vcc_lo, 10, v43
	s_or_b32 s2, vcc_lo, s2
	s_waitcnt vmcnt(0) lgkmcnt(0)
	v_fma_f64 v[35:36], v[44:45], v[46:47], v[35:36]
	s_and_not1_b32 exec_lo, exec_lo, s2
	s_cbranch_execnz .LBB16_271
; %bb.272:
	s_or_b32 exec_lo, exec_lo, s2
.LBB16_273:
	s_delay_alu instid0(SALU_CYCLE_1)
	s_or_b32 exec_lo, exec_lo, s1
	v_mov_b32_e32 v41, 0
	ds_load_b64 v[41:42], v41 offset:96
	s_waitcnt lgkmcnt(0)
	v_mul_f64 v[35:36], v[35:36], v[41:42]
	scratch_store_b64 off, v[35:36], off offset:96
.LBB16_274:
	s_or_b32 exec_lo, exec_lo, s0
	scratch_load_b64 v[35:36], off, off offset:104
	s_mov_b32 s0, exec_lo
	s_waitcnt vmcnt(0)
	ds_store_b64 v38, v[35:36]
	s_waitcnt lgkmcnt(0)
	s_waitcnt_vscnt null, 0x0
	s_barrier
	buffer_gl0_inv
	v_cmpx_gt_u32_e32 13, v0
	s_cbranch_execz .LBB16_284
; %bb.275:
	v_cmp_ne_u32_e32 vcc_lo, 1, v40
	s_cbranch_vccnz .LBB16_277
; %bb.276:
	scratch_load_b64 v[35:36], v39, off
	ds_load_b64 v[41:42], v38
	s_waitcnt vmcnt(0) lgkmcnt(0)
	v_mul_f64 v[35:36], v[35:36], v[41:42]
	s_cbranch_execz .LBB16_278
	s_branch .LBB16_279
.LBB16_277:
                                        ; implicit-def: $vgpr35_vgpr36
.LBB16_278:
	ds_load_b64 v[35:36], v38
.LBB16_279:
	s_mov_b32 s1, exec_lo
	v_cmpx_ne_u32_e32 12, v0
	s_cbranch_execz .LBB16_283
; %bb.280:
	v_add_nc_u32_e32 v41, 0x98, v37
	v_add3_u32 v42, 0, v37, 8
	v_mov_b32_e32 v43, v0
	s_mov_b32 s2, 0
.LBB16_281:                             ; =>This Inner Loop Header: Depth=1
	scratch_load_b64 v[44:45], v42, off
	ds_load_b64 v[46:47], v41
	v_add_nc_u32_e32 v43, 1, v43
	v_add_nc_u32_e32 v41, 8, v41
	v_add_nc_u32_e32 v42, 8, v42
	s_delay_alu instid0(VALU_DEP_3)
	v_cmp_lt_u32_e32 vcc_lo, 11, v43
	s_or_b32 s2, vcc_lo, s2
	s_waitcnt vmcnt(0) lgkmcnt(0)
	v_fma_f64 v[35:36], v[44:45], v[46:47], v[35:36]
	s_and_not1_b32 exec_lo, exec_lo, s2
	s_cbranch_execnz .LBB16_281
; %bb.282:
	s_or_b32 exec_lo, exec_lo, s2
.LBB16_283:
	s_delay_alu instid0(SALU_CYCLE_1)
	s_or_b32 exec_lo, exec_lo, s1
	v_mov_b32_e32 v41, 0
	ds_load_b64 v[41:42], v41 offset:104
	s_waitcnt lgkmcnt(0)
	v_mul_f64 v[35:36], v[35:36], v[41:42]
	scratch_store_b64 off, v[35:36], off offset:104
.LBB16_284:
	s_or_b32 exec_lo, exec_lo, s0
	scratch_load_b64 v[35:36], off, off offset:112
	s_mov_b32 s0, exec_lo
	s_waitcnt vmcnt(0)
	ds_store_b64 v38, v[35:36]
	s_waitcnt lgkmcnt(0)
	s_waitcnt_vscnt null, 0x0
	s_barrier
	buffer_gl0_inv
	v_cmpx_gt_u32_e32 14, v0
	s_cbranch_execz .LBB16_294
; %bb.285:
	v_cmp_ne_u32_e32 vcc_lo, 1, v40
	s_cbranch_vccnz .LBB16_287
; %bb.286:
	scratch_load_b64 v[35:36], v39, off
	ds_load_b64 v[41:42], v38
	s_waitcnt vmcnt(0) lgkmcnt(0)
	v_mul_f64 v[35:36], v[35:36], v[41:42]
	s_cbranch_execz .LBB16_288
	s_branch .LBB16_289
.LBB16_287:
                                        ; implicit-def: $vgpr35_vgpr36
.LBB16_288:
	ds_load_b64 v[35:36], v38
.LBB16_289:
	s_mov_b32 s1, exec_lo
	v_cmpx_ne_u32_e32 13, v0
	s_cbranch_execz .LBB16_293
; %bb.290:
	v_add_nc_u32_e32 v41, 0x98, v37
	v_add3_u32 v42, 0, v37, 8
	v_mov_b32_e32 v43, v0
	s_mov_b32 s2, 0
.LBB16_291:                             ; =>This Inner Loop Header: Depth=1
	scratch_load_b64 v[44:45], v42, off
	ds_load_b64 v[46:47], v41
	v_add_nc_u32_e32 v43, 1, v43
	v_add_nc_u32_e32 v41, 8, v41
	v_add_nc_u32_e32 v42, 8, v42
	s_delay_alu instid0(VALU_DEP_3)
	v_cmp_lt_u32_e32 vcc_lo, 12, v43
	s_or_b32 s2, vcc_lo, s2
	s_waitcnt vmcnt(0) lgkmcnt(0)
	v_fma_f64 v[35:36], v[44:45], v[46:47], v[35:36]
	s_and_not1_b32 exec_lo, exec_lo, s2
	s_cbranch_execnz .LBB16_291
; %bb.292:
	s_or_b32 exec_lo, exec_lo, s2
.LBB16_293:
	s_delay_alu instid0(SALU_CYCLE_1)
	s_or_b32 exec_lo, exec_lo, s1
	v_mov_b32_e32 v41, 0
	ds_load_b64 v[41:42], v41 offset:112
	s_waitcnt lgkmcnt(0)
	v_mul_f64 v[35:36], v[35:36], v[41:42]
	scratch_store_b64 off, v[35:36], off offset:112
.LBB16_294:
	s_or_b32 exec_lo, exec_lo, s0
	scratch_load_b64 v[35:36], off, off offset:120
	v_cmp_gt_u32_e64 s0, 15, v0
	s_waitcnt vmcnt(0)
	ds_store_b64 v38, v[35:36]
	s_waitcnt lgkmcnt(0)
	s_waitcnt_vscnt null, 0x0
	s_barrier
	buffer_gl0_inv
	s_and_saveexec_b32 s1, s0
	s_cbranch_execz .LBB16_304
; %bb.295:
	v_cmp_ne_u32_e32 vcc_lo, 1, v40
	s_cbranch_vccnz .LBB16_297
; %bb.296:
	scratch_load_b64 v[35:36], v39, off
	ds_load_b64 v[41:42], v38
	s_waitcnt vmcnt(0) lgkmcnt(0)
	v_mul_f64 v[35:36], v[35:36], v[41:42]
	s_cbranch_execz .LBB16_298
	s_branch .LBB16_299
.LBB16_297:
                                        ; implicit-def: $vgpr35_vgpr36
.LBB16_298:
	ds_load_b64 v[35:36], v38
.LBB16_299:
	s_mov_b32 s2, exec_lo
	v_cmpx_ne_u32_e32 14, v0
	s_cbranch_execz .LBB16_303
; %bb.300:
	v_add_nc_u32_e32 v41, 0x98, v37
	v_add3_u32 v42, 0, v37, 8
	v_mov_b32_e32 v43, v0
	s_mov_b32 s3, 0
.LBB16_301:                             ; =>This Inner Loop Header: Depth=1
	scratch_load_b64 v[44:45], v42, off
	ds_load_b64 v[46:47], v41
	v_add_nc_u32_e32 v43, 1, v43
	v_add_nc_u32_e32 v41, 8, v41
	;; [unrolled: 1-line block ×3, first 2 shown]
	s_delay_alu instid0(VALU_DEP_3)
	v_cmp_lt_u32_e32 vcc_lo, 13, v43
	s_or_b32 s3, vcc_lo, s3
	s_waitcnt vmcnt(0) lgkmcnt(0)
	v_fma_f64 v[35:36], v[44:45], v[46:47], v[35:36]
	s_and_not1_b32 exec_lo, exec_lo, s3
	s_cbranch_execnz .LBB16_301
; %bb.302:
	s_or_b32 exec_lo, exec_lo, s3
.LBB16_303:
	s_delay_alu instid0(SALU_CYCLE_1)
	s_or_b32 exec_lo, exec_lo, s2
	v_mov_b32_e32 v41, 0
	ds_load_b64 v[41:42], v41 offset:120
	s_waitcnt lgkmcnt(0)
	v_mul_f64 v[35:36], v[35:36], v[41:42]
	scratch_store_b64 off, v[35:36], off offset:120
.LBB16_304:
	s_or_b32 exec_lo, exec_lo, s1
	scratch_load_b64 v[35:36], off, off offset:128
	s_mov_b32 s1, exec_lo
	s_waitcnt vmcnt(0)
	ds_store_b64 v38, v[35:36]
	s_waitcnt lgkmcnt(0)
	s_waitcnt_vscnt null, 0x0
	s_barrier
	buffer_gl0_inv
	v_cmpx_ne_u32_e32 16, v0
	s_cbranch_execz .LBB16_314
; %bb.305:
	v_cmp_ne_u32_e32 vcc_lo, 1, v40
	s_cbranch_vccnz .LBB16_307
; %bb.306:
	scratch_load_b64 v[35:36], v39, off
	ds_load_b64 v[39:40], v38
	s_waitcnt vmcnt(0) lgkmcnt(0)
	v_mul_f64 v[35:36], v[35:36], v[39:40]
	s_cbranch_execz .LBB16_308
	s_branch .LBB16_309
.LBB16_307:
                                        ; implicit-def: $vgpr35_vgpr36
.LBB16_308:
	ds_load_b64 v[35:36], v38
.LBB16_309:
	s_and_saveexec_b32 s2, s0
	s_cbranch_execz .LBB16_313
; %bb.310:
	v_add_nc_u32_e32 v38, 0x98, v37
	v_add3_u32 v37, 0, v37, 8
	s_mov_b32 s0, 0
.LBB16_311:                             ; =>This Inner Loop Header: Depth=1
	scratch_load_b64 v[39:40], v37, off
	ds_load_b64 v[41:42], v38
	v_add_nc_u32_e32 v0, 1, v0
	v_add_nc_u32_e32 v38, 8, v38
	;; [unrolled: 1-line block ×3, first 2 shown]
	s_delay_alu instid0(VALU_DEP_3)
	v_cmp_lt_u32_e32 vcc_lo, 14, v0
	s_or_b32 s0, vcc_lo, s0
	s_waitcnt vmcnt(0) lgkmcnt(0)
	v_fma_f64 v[35:36], v[39:40], v[41:42], v[35:36]
	s_and_not1_b32 exec_lo, exec_lo, s0
	s_cbranch_execnz .LBB16_311
; %bb.312:
	s_or_b32 exec_lo, exec_lo, s0
.LBB16_313:
	s_delay_alu instid0(SALU_CYCLE_1)
	s_or_b32 exec_lo, exec_lo, s2
	v_mov_b32_e32 v0, 0
	ds_load_b64 v[37:38], v0 offset:128
	s_waitcnt lgkmcnt(0)
	v_mul_f64 v[35:36], v[35:36], v[37:38]
	scratch_store_b64 off, v[35:36], off offset:128
.LBB16_314:
	s_or_b32 exec_lo, exec_lo, s1
.LBB16_315:
	s_clause 0x8
	scratch_load_b128 v[35:38], off, off
	scratch_load_b128 v[39:42], off, off offset:16
	scratch_load_b128 v[43:46], off, off offset:32
	;; [unrolled: 1-line block ×7, first 2 shown]
	scratch_load_b64 v[67:68], off, off offset:128
	s_waitcnt vmcnt(8)
	s_clause 0x1
	global_store_b64 v[1:2], v[35:36], off
	global_store_b64 v[3:4], v[37:38], off
	s_waitcnt vmcnt(7)
	s_clause 0x1
	global_store_b64 v[5:6], v[39:40], off
	global_store_b64 v[7:8], v[41:42], off
	;; [unrolled: 4-line block ×8, first 2 shown]
	s_waitcnt vmcnt(0)
	global_store_b64 v[33:34], v[67:68], off
.LBB16_316:
	s_endpgm
	.section	.rodata,"a",@progbits
	.p2align	6, 0x0
	.amdhsa_kernel _ZN9rocsolver6v33100L18trti2_kernel_smallILi17EdPdEEv13rocblas_fill_17rocblas_diagonal_T1_iil
		.amdhsa_group_segment_fixed_size 280
		.amdhsa_private_segment_fixed_size 144
		.amdhsa_kernarg_size 32
		.amdhsa_user_sgpr_count 15
		.amdhsa_user_sgpr_dispatch_ptr 0
		.amdhsa_user_sgpr_queue_ptr 0
		.amdhsa_user_sgpr_kernarg_segment_ptr 1
		.amdhsa_user_sgpr_dispatch_id 0
		.amdhsa_user_sgpr_private_segment_size 0
		.amdhsa_wavefront_size32 1
		.amdhsa_uses_dynamic_stack 0
		.amdhsa_enable_private_segment 1
		.amdhsa_system_sgpr_workgroup_id_x 1
		.amdhsa_system_sgpr_workgroup_id_y 0
		.amdhsa_system_sgpr_workgroup_id_z 0
		.amdhsa_system_sgpr_workgroup_info 0
		.amdhsa_system_vgpr_workitem_id 0
		.amdhsa_next_free_vgpr 72
		.amdhsa_next_free_sgpr 16
		.amdhsa_reserve_vcc 1
		.amdhsa_float_round_mode_32 0
		.amdhsa_float_round_mode_16_64 0
		.amdhsa_float_denorm_mode_32 3
		.amdhsa_float_denorm_mode_16_64 3
		.amdhsa_dx10_clamp 1
		.amdhsa_ieee_mode 1
		.amdhsa_fp16_overflow 0
		.amdhsa_workgroup_processor_mode 1
		.amdhsa_memory_ordered 1
		.amdhsa_forward_progress 0
		.amdhsa_shared_vgpr_count 0
		.amdhsa_exception_fp_ieee_invalid_op 0
		.amdhsa_exception_fp_denorm_src 0
		.amdhsa_exception_fp_ieee_div_zero 0
		.amdhsa_exception_fp_ieee_overflow 0
		.amdhsa_exception_fp_ieee_underflow 0
		.amdhsa_exception_fp_ieee_inexact 0
		.amdhsa_exception_int_div_zero 0
	.end_amdhsa_kernel
	.section	.text._ZN9rocsolver6v33100L18trti2_kernel_smallILi17EdPdEEv13rocblas_fill_17rocblas_diagonal_T1_iil,"axG",@progbits,_ZN9rocsolver6v33100L18trti2_kernel_smallILi17EdPdEEv13rocblas_fill_17rocblas_diagonal_T1_iil,comdat
.Lfunc_end16:
	.size	_ZN9rocsolver6v33100L18trti2_kernel_smallILi17EdPdEEv13rocblas_fill_17rocblas_diagonal_T1_iil, .Lfunc_end16-_ZN9rocsolver6v33100L18trti2_kernel_smallILi17EdPdEEv13rocblas_fill_17rocblas_diagonal_T1_iil
                                        ; -- End function
	.section	.AMDGPU.csdata,"",@progbits
; Kernel info:
; codeLenInByte = 8888
; NumSgprs: 18
; NumVgprs: 72
; ScratchSize: 144
; MemoryBound: 0
; FloatMode: 240
; IeeeMode: 1
; LDSByteSize: 280 bytes/workgroup (compile time only)
; SGPRBlocks: 2
; VGPRBlocks: 8
; NumSGPRsForWavesPerEU: 18
; NumVGPRsForWavesPerEU: 72
; Occupancy: 16
; WaveLimiterHint : 0
; COMPUTE_PGM_RSRC2:SCRATCH_EN: 1
; COMPUTE_PGM_RSRC2:USER_SGPR: 15
; COMPUTE_PGM_RSRC2:TRAP_HANDLER: 0
; COMPUTE_PGM_RSRC2:TGID_X_EN: 1
; COMPUTE_PGM_RSRC2:TGID_Y_EN: 0
; COMPUTE_PGM_RSRC2:TGID_Z_EN: 0
; COMPUTE_PGM_RSRC2:TIDIG_COMP_CNT: 0
	.section	.text._ZN9rocsolver6v33100L18trti2_kernel_smallILi18EdPdEEv13rocblas_fill_17rocblas_diagonal_T1_iil,"axG",@progbits,_ZN9rocsolver6v33100L18trti2_kernel_smallILi18EdPdEEv13rocblas_fill_17rocblas_diagonal_T1_iil,comdat
	.globl	_ZN9rocsolver6v33100L18trti2_kernel_smallILi18EdPdEEv13rocblas_fill_17rocblas_diagonal_T1_iil ; -- Begin function _ZN9rocsolver6v33100L18trti2_kernel_smallILi18EdPdEEv13rocblas_fill_17rocblas_diagonal_T1_iil
	.p2align	8
	.type	_ZN9rocsolver6v33100L18trti2_kernel_smallILi18EdPdEEv13rocblas_fill_17rocblas_diagonal_T1_iil,@function
_ZN9rocsolver6v33100L18trti2_kernel_smallILi18EdPdEEv13rocblas_fill_17rocblas_diagonal_T1_iil: ; @_ZN9rocsolver6v33100L18trti2_kernel_smallILi18EdPdEEv13rocblas_fill_17rocblas_diagonal_T1_iil
; %bb.0:
	s_mov_b32 s2, exec_lo
	v_cmpx_gt_u32_e32 18, v0
	s_cbranch_execz .LBB17_336
; %bb.1:
	s_load_b256 s[0:7], s[0:1], 0x0
	s_ashr_i32 s10, s15, 31
	v_lshlrev_b32_e32 v39, 3, v0
	s_waitcnt lgkmcnt(0)
	s_ashr_i32 s9, s4, 31
	s_mov_b32 s8, s4
	s_mul_i32 s4, s15, s7
	s_mul_hi_u32 s7, s15, s6
	v_add3_u32 v1, s5, s5, v0
	s_mul_i32 s11, s10, s6
	s_add_i32 s4, s7, s4
	s_mul_i32 s6, s15, s6
	s_add_i32 s7, s4, s11
	v_add_nc_u32_e32 v3, s5, v1
	s_lshl_b64 s[6:7], s[6:7], 3
	v_ashrrev_i32_e32 v2, 31, v1
	s_add_u32 s4, s2, s6
	s_addc_u32 s6, s3, s7
	s_lshl_b64 s[2:3], s[8:9], 3
	v_add_nc_u32_e32 v7, s5, v3
	s_add_u32 s2, s4, s2
	v_lshlrev_b64 v[5:6], 3, v[1:2]
	v_ashrrev_i32_e32 v4, 31, v3
	s_addc_u32 s3, s6, s3
	v_add_co_u32 v1, s4, s2, v39
	s_mov_b32 s10, s5
	s_ashr_i32 s11, s5, 31
	v_add_co_ci_u32_e64 v2, null, s3, 0, s4
	s_lshl_b64 s[6:7], s[10:11], 3
	v_ashrrev_i32_e32 v8, 31, v7
	v_lshlrev_b64 v[9:10], 3, v[3:4]
	v_add_co_u32 v3, vcc_lo, v1, s6
	v_add_nc_u32_e32 v13, s5, v7
	v_add_co_ci_u32_e32 v4, vcc_lo, s7, v2, vcc_lo
	v_add_co_u32 v5, vcc_lo, s2, v5
	v_lshlrev_b64 v[11:12], 3, v[7:8]
	v_add_co_ci_u32_e32 v6, vcc_lo, s3, v6, vcc_lo
	v_add_co_u32 v7, vcc_lo, s2, v9
	v_ashrrev_i32_e32 v14, 31, v13
	v_add_nc_u32_e32 v15, s5, v13
	v_add_co_ci_u32_e32 v8, vcc_lo, s3, v10, vcc_lo
	v_add_co_u32 v9, vcc_lo, s2, v11
	v_add_co_ci_u32_e32 v10, vcc_lo, s3, v12, vcc_lo
	v_lshlrev_b64 v[11:12], 3, v[13:14]
	v_add_nc_u32_e32 v13, s5, v15
	v_ashrrev_i32_e32 v16, 31, v15
	s_cmpk_lg_i32 s1, 0x84
	s_delay_alu instid0(VALU_DEP_2) | instskip(SKIP_1) | instid1(VALU_DEP_3)
	v_add_nc_u32_e32 v17, s5, v13
	v_ashrrev_i32_e32 v14, 31, v13
	v_lshlrev_b64 v[15:16], 3, v[15:16]
	v_add_co_u32 v11, vcc_lo, s2, v11
	s_delay_alu instid0(VALU_DEP_4) | instskip(NEXT) | instid1(VALU_DEP_4)
	v_ashrrev_i32_e32 v18, 31, v17
	v_lshlrev_b64 v[19:20], 3, v[13:14]
	v_add_nc_u32_e32 v23, s5, v17
	v_add_co_ci_u32_e32 v12, vcc_lo, s3, v12, vcc_lo
	v_add_co_u32 v13, vcc_lo, s2, v15
	v_lshlrev_b64 v[21:22], 3, v[17:18]
	v_add_co_ci_u32_e32 v14, vcc_lo, s3, v16, vcc_lo
	v_add_co_u32 v15, vcc_lo, s2, v19
	v_ashrrev_i32_e32 v24, 31, v23
	v_add_nc_u32_e32 v19, s5, v23
	v_add_co_ci_u32_e32 v16, vcc_lo, s3, v20, vcc_lo
	v_add_co_u32 v17, vcc_lo, s2, v21
	v_add_co_ci_u32_e32 v18, vcc_lo, s3, v22, vcc_lo
	v_lshlrev_b64 v[21:22], 3, v[23:24]
	v_add_nc_u32_e32 v23, s5, v19
	v_ashrrev_i32_e32 v20, 31, v19
	s_delay_alu instid0(VALU_DEP_2) | instskip(NEXT) | instid1(VALU_DEP_2)
	v_add_nc_u32_e32 v27, s5, v23
	v_lshlrev_b64 v[25:26], 3, v[19:20]
	v_add_co_u32 v19, vcc_lo, s2, v21
	v_add_co_ci_u32_e32 v20, vcc_lo, s3, v22, vcc_lo
	s_delay_alu instid0(VALU_DEP_4) | instskip(NEXT) | instid1(VALU_DEP_4)
	v_ashrrev_i32_e32 v28, 31, v27
	v_add_co_u32 v21, vcc_lo, s2, v25
	v_add_co_ci_u32_e32 v22, vcc_lo, s3, v26, vcc_lo
	s_delay_alu instid0(VALU_DEP_3) | instskip(SKIP_2) | instid1(VALU_DEP_2)
	v_lshlrev_b64 v[25:26], 3, v[27:28]
	v_add_nc_u32_e32 v27, s5, v27
	v_ashrrev_i32_e32 v24, 31, v23
	v_add_nc_u32_e32 v29, s5, v27
	s_delay_alu instid0(VALU_DEP_2) | instskip(SKIP_1) | instid1(VALU_DEP_3)
	v_lshlrev_b64 v[23:24], 3, v[23:24]
	v_ashrrev_i32_e32 v28, 31, v27
	v_add_nc_u32_e32 v31, s5, v29
	v_ashrrev_i32_e32 v30, 31, v29
	s_delay_alu instid0(VALU_DEP_4) | instskip(NEXT) | instid1(VALU_DEP_4)
	v_add_co_u32 v23, vcc_lo, s2, v23
	v_lshlrev_b64 v[27:28], 3, v[27:28]
	s_delay_alu instid0(VALU_DEP_4)
	v_add_nc_u32_e32 v33, s5, v31
	v_add_co_ci_u32_e32 v24, vcc_lo, s3, v24, vcc_lo
	v_add_co_u32 v25, vcc_lo, s2, v25
	v_lshlrev_b64 v[29:30], 3, v[29:30]
	v_ashrrev_i32_e32 v32, 31, v31
	v_add_nc_u32_e32 v37, s5, v33
	v_add_co_ci_u32_e32 v26, vcc_lo, s3, v26, vcc_lo
	v_add_co_u32 v27, vcc_lo, s2, v27
	v_ashrrev_i32_e32 v34, 31, v33
	v_add_co_ci_u32_e32 v28, vcc_lo, s3, v28, vcc_lo
	v_lshlrev_b64 v[35:36], 3, v[31:32]
	v_add_co_u32 v31, vcc_lo, s2, v29
	v_ashrrev_i32_e32 v38, 31, v37
	v_add_co_ci_u32_e32 v32, vcc_lo, s3, v30, vcc_lo
	v_lshlrev_b64 v[29:30], 3, v[33:34]
	v_add_co_u32 v35, vcc_lo, s2, v35
	s_delay_alu instid0(VALU_DEP_4) | instskip(SKIP_1) | instid1(VALU_DEP_4)
	v_lshlrev_b64 v[33:34], 3, v[37:38]
	v_add_co_ci_u32_e32 v36, vcc_lo, s3, v36, vcc_lo
	v_add_co_u32 v29, vcc_lo, s2, v29
	v_add_co_ci_u32_e32 v30, vcc_lo, s3, v30, vcc_lo
	s_delay_alu instid0(VALU_DEP_4)
	v_add_co_u32 v33, vcc_lo, s2, v33
	v_add_co_ci_u32_e32 v34, vcc_lo, s3, v34, vcc_lo
	v_mov_b32_e32 v37, 0
	v_mov_b32_e32 v38, 0xbff00000
	s_clause 0x11
	global_load_b64 v[40:41], v39, s[2:3]
	global_load_b64 v[42:43], v[3:4], off
	global_load_b64 v[44:45], v[5:6], off
	;; [unrolled: 1-line block ×17, first 2 shown]
	s_cselect_b32 s2, -1, 0
	s_cmpk_eq_i32 s1, 0x84
	s_waitcnt vmcnt(16)
	scratch_store_b128 off, v[40:43], off
	s_waitcnt vmcnt(14)
	scratch_store_b128 off, v[44:47], off offset:16
	s_waitcnt vmcnt(12)
	scratch_store_b128 off, v[48:51], off offset:32
	;; [unrolled: 2-line block ×8, first 2 shown]
	s_cbranch_scc1 .LBB17_3
; %bb.2:
	scratch_load_b64 v[37:38], v39, off
	s_waitcnt vmcnt(0)
	v_div_scale_f64 v[40:41], null, v[37:38], v[37:38], 1.0
	v_div_scale_f64 v[46:47], vcc_lo, 1.0, v[37:38], 1.0
	s_delay_alu instid0(VALU_DEP_2) | instskip(SKIP_2) | instid1(VALU_DEP_1)
	v_rcp_f64_e32 v[42:43], v[40:41]
	s_waitcnt_depctr 0xfff
	v_fma_f64 v[44:45], -v[40:41], v[42:43], 1.0
	v_fma_f64 v[42:43], v[42:43], v[44:45], v[42:43]
	s_delay_alu instid0(VALU_DEP_1) | instskip(NEXT) | instid1(VALU_DEP_1)
	v_fma_f64 v[44:45], -v[40:41], v[42:43], 1.0
	v_fma_f64 v[42:43], v[42:43], v[44:45], v[42:43]
	s_delay_alu instid0(VALU_DEP_1) | instskip(NEXT) | instid1(VALU_DEP_1)
	v_mul_f64 v[44:45], v[46:47], v[42:43]
	v_fma_f64 v[40:41], -v[40:41], v[44:45], v[46:47]
	s_delay_alu instid0(VALU_DEP_1) | instskip(NEXT) | instid1(VALU_DEP_1)
	v_div_fmas_f64 v[40:41], v[40:41], v[42:43], v[44:45]
	v_div_fixup_f64 v[37:38], v[40:41], v[37:38], 1.0
	scratch_store_b64 v39, v[37:38], off
	v_xor_b32_e32 v38, 0x80000000, v38
.LBB17_3:
	v_add_nc_u32_e32 v40, 0x90, v39
	v_add_nc_u32_e32 v41, 0, v39
	s_cmpk_eq_i32 s0, 0x79
	s_mov_b32 s0, -1
	ds_store_b64 v39, v[37:38]
	s_cbranch_scc1 .LBB17_169
; %bb.4:
	scratch_load_b64 v[37:38], off, off offset:128
	v_cmp_eq_u32_e64 s0, 17, v0
	s_movk_i32 s1, 0x50
	s_movk_i32 s3, 0x60
	;; [unrolled: 1-line block ×3, first 2 shown]
	s_waitcnt vmcnt(0)
	ds_store_b64 v40, v[37:38]
	s_waitcnt lgkmcnt(0)
	s_waitcnt_vscnt null, 0x0
	s_barrier
	buffer_gl0_inv
	s_and_saveexec_b32 s5, s0
	s_cbranch_execz .LBB17_10
; %bb.5:
	s_and_b32 vcc_lo, exec_lo, s2
	s_cbranch_vccz .LBB17_7
; %bb.6:
	scratch_load_b64 v[37:38], v41, off
	ds_load_b64 v[42:43], v40
	s_waitcnt vmcnt(0) lgkmcnt(0)
	v_mul_f64 v[37:38], v[37:38], v[42:43]
	s_cbranch_execz .LBB17_8
	s_branch .LBB17_9
.LBB17_7:
                                        ; implicit-def: $vgpr37_vgpr38
.LBB17_8:
	ds_load_b64 v[37:38], v40
.LBB17_9:
	v_mov_b32_e32 v42, 0
	ds_load_b64 v[42:43], v42 offset:128
	s_waitcnt lgkmcnt(0)
	v_mul_f64 v[37:38], v[37:38], v[42:43]
	scratch_store_b64 off, v[37:38], off offset:128
.LBB17_10:
	s_or_b32 exec_lo, exec_lo, s5
	scratch_load_b64 v[37:38], off, off offset:120
	v_add_nc_u32_e64 v42, 0, 16
	v_add_nc_u32_e64 v43, 0, 32
	;; [unrolled: 1-line block ×7, first 2 shown]
	v_cmp_lt_u32_e64 s1, 15, v0
	s_waitcnt vmcnt(0)
	ds_store_b64 v40, v[37:38]
	s_waitcnt lgkmcnt(0)
	s_waitcnt_vscnt null, 0x0
	s_barrier
	buffer_gl0_inv
	s_and_saveexec_b32 s3, s1
	s_cbranch_execz .LBB17_18
; %bb.11:
	s_and_not1_b32 vcc_lo, exec_lo, s2
	s_cbranch_vccnz .LBB17_13
; %bb.12:
	scratch_load_b64 v[37:38], v41, off
	ds_load_b64 v[49:50], v40
	s_waitcnt vmcnt(0) lgkmcnt(0)
	v_mul_f64 v[37:38], v[37:38], v[49:50]
	s_cbranch_execz .LBB17_14
	s_branch .LBB17_15
.LBB17_13:
                                        ; implicit-def: $vgpr37_vgpr38
.LBB17_14:
	ds_load_b64 v[37:38], v40
.LBB17_15:
	s_and_saveexec_b32 s4, s0
	s_cbranch_execz .LBB17_17
; %bb.16:
	scratch_load_b64 v[49:50], off, off offset:128
	v_mov_b32_e32 v51, 0
	ds_load_b64 v[51:52], v51 offset:272
	s_waitcnt vmcnt(0) lgkmcnt(0)
	v_fma_f64 v[37:38], v[49:50], v[51:52], v[37:38]
.LBB17_17:
	s_or_b32 exec_lo, exec_lo, s4
	v_mov_b32_e32 v49, 0
	ds_load_b64 v[49:50], v49 offset:120
	s_waitcnt lgkmcnt(0)
	v_mul_f64 v[37:38], v[37:38], v[49:50]
	scratch_store_b64 off, v[37:38], off offset:120
.LBB17_18:
	s_or_b32 exec_lo, exec_lo, s3
	scratch_load_b64 v[37:38], off, off offset:112
	v_cmp_lt_u32_e64 s0, 14, v0
	s_waitcnt vmcnt(0)
	ds_store_b64 v40, v[37:38]
	s_waitcnt lgkmcnt(0)
	s_waitcnt_vscnt null, 0x0
	s_barrier
	buffer_gl0_inv
	s_and_saveexec_b32 s3, s0
	s_cbranch_execz .LBB17_28
; %bb.19:
	s_and_not1_b32 vcc_lo, exec_lo, s2
	s_cbranch_vccnz .LBB17_21
; %bb.20:
	scratch_load_b64 v[37:38], v41, off
	ds_load_b64 v[49:50], v40
	s_waitcnt vmcnt(0) lgkmcnt(0)
	v_mul_f64 v[37:38], v[37:38], v[49:50]
	s_cbranch_execz .LBB17_22
	s_branch .LBB17_23
.LBB17_21:
                                        ; implicit-def: $vgpr37_vgpr38
.LBB17_22:
	ds_load_b64 v[37:38], v40
.LBB17_23:
	s_and_saveexec_b32 s4, s1
	s_cbranch_execz .LBB17_27
; %bb.24:
	v_dual_mov_b32 v49, 0 :: v_dual_add_nc_u32 v50, -15, v0
	s_movk_i32 s5, 0x108
	s_mov_b32 s1, 0
	s_delay_alu instid0(VALU_DEP_1)
	v_add_nc_u32_e32 v49, 0x78, v49
.LBB17_25:                              ; =>This Inner Loop Header: Depth=1
	scratch_load_b64 v[51:52], v49, off
	v_dual_mov_b32 v53, s5 :: v_dual_add_nc_u32 v50, -1, v50
	v_add_nc_u32_e32 v49, 8, v49
	s_add_i32 s5, s5, 8
	ds_load_b64 v[53:54], v53
	v_cmp_eq_u32_e32 vcc_lo, 0, v50
	s_or_b32 s1, vcc_lo, s1
	s_waitcnt vmcnt(0) lgkmcnt(0)
	v_fma_f64 v[37:38], v[51:52], v[53:54], v[37:38]
	s_and_not1_b32 exec_lo, exec_lo, s1
	s_cbranch_execnz .LBB17_25
; %bb.26:
	s_or_b32 exec_lo, exec_lo, s1
.LBB17_27:
	s_delay_alu instid0(SALU_CYCLE_1)
	s_or_b32 exec_lo, exec_lo, s4
	v_mov_b32_e32 v49, 0
	ds_load_b64 v[49:50], v49 offset:112
	s_waitcnt lgkmcnt(0)
	v_mul_f64 v[37:38], v[37:38], v[49:50]
	scratch_store_b64 off, v[37:38], off offset:112
.LBB17_28:
	s_or_b32 exec_lo, exec_lo, s3
	scratch_load_b64 v[37:38], off, off offset:104
	v_cmp_lt_u32_e64 s1, 13, v0
	s_waitcnt vmcnt(0)
	ds_store_b64 v40, v[37:38]
	s_waitcnt lgkmcnt(0)
	s_waitcnt_vscnt null, 0x0
	s_barrier
	buffer_gl0_inv
	s_and_saveexec_b32 s3, s1
	s_cbranch_execz .LBB17_38
; %bb.29:
	s_and_not1_b32 vcc_lo, exec_lo, s2
	s_cbranch_vccnz .LBB17_31
; %bb.30:
	scratch_load_b64 v[37:38], v41, off
	ds_load_b64 v[49:50], v40
	s_waitcnt vmcnt(0) lgkmcnt(0)
	v_mul_f64 v[37:38], v[37:38], v[49:50]
	s_cbranch_execz .LBB17_32
	s_branch .LBB17_33
.LBB17_31:
                                        ; implicit-def: $vgpr37_vgpr38
.LBB17_32:
	ds_load_b64 v[37:38], v40
.LBB17_33:
	s_and_saveexec_b32 s4, s0
	s_cbranch_execz .LBB17_37
; %bb.34:
	v_add_nc_u32_e32 v49, -14, v0
	s_movk_i32 s5, 0x100
	s_mov_b32 s0, 0
.LBB17_35:                              ; =>This Inner Loop Header: Depth=1
	scratch_load_b64 v[50:51], v48, off
	v_dual_mov_b32 v52, s5 :: v_dual_add_nc_u32 v49, -1, v49
	v_add_nc_u32_e32 v48, 8, v48
	s_add_i32 s5, s5, 8
	ds_load_b64 v[52:53], v52
	v_cmp_eq_u32_e32 vcc_lo, 0, v49
	s_or_b32 s0, vcc_lo, s0
	s_waitcnt vmcnt(0) lgkmcnt(0)
	v_fma_f64 v[37:38], v[50:51], v[52:53], v[37:38]
	s_and_not1_b32 exec_lo, exec_lo, s0
	s_cbranch_execnz .LBB17_35
; %bb.36:
	s_or_b32 exec_lo, exec_lo, s0
.LBB17_37:
	s_delay_alu instid0(SALU_CYCLE_1)
	s_or_b32 exec_lo, exec_lo, s4
	v_mov_b32_e32 v48, 0
	ds_load_b64 v[48:49], v48 offset:104
	s_waitcnt lgkmcnt(0)
	v_mul_f64 v[37:38], v[37:38], v[48:49]
	scratch_store_b64 off, v[37:38], off offset:104
.LBB17_38:
	s_or_b32 exec_lo, exec_lo, s3
	scratch_load_b64 v[37:38], off, off offset:96
	v_cmp_lt_u32_e64 s0, 12, v0
	s_waitcnt vmcnt(0)
	ds_store_b64 v40, v[37:38]
	s_waitcnt lgkmcnt(0)
	s_waitcnt_vscnt null, 0x0
	s_barrier
	buffer_gl0_inv
	s_and_saveexec_b32 s3, s0
	s_cbranch_execz .LBB17_48
; %bb.39:
	s_and_not1_b32 vcc_lo, exec_lo, s2
	s_cbranch_vccnz .LBB17_41
; %bb.40:
	scratch_load_b64 v[37:38], v41, off
	ds_load_b64 v[48:49], v40
	s_waitcnt vmcnt(0) lgkmcnt(0)
	v_mul_f64 v[37:38], v[37:38], v[48:49]
	s_cbranch_execz .LBB17_42
	s_branch .LBB17_43
.LBB17_41:
                                        ; implicit-def: $vgpr37_vgpr38
.LBB17_42:
	ds_load_b64 v[37:38], v40
.LBB17_43:
	s_and_saveexec_b32 s4, s1
	s_cbranch_execz .LBB17_47
; %bb.44:
	v_dual_mov_b32 v48, 0 :: v_dual_add_nc_u32 v49, -13, v0
	s_movk_i32 s5, 0xf8
	s_mov_b32 s1, 0
	s_delay_alu instid0(VALU_DEP_1)
	v_add_nc_u32_e32 v48, 0x68, v48
.LBB17_45:                              ; =>This Inner Loop Header: Depth=1
	scratch_load_b64 v[50:51], v48, off
	v_dual_mov_b32 v52, s5 :: v_dual_add_nc_u32 v49, -1, v49
	v_add_nc_u32_e32 v48, 8, v48
	s_add_i32 s5, s5, 8
	ds_load_b64 v[52:53], v52
	v_cmp_eq_u32_e32 vcc_lo, 0, v49
	s_or_b32 s1, vcc_lo, s1
	s_waitcnt vmcnt(0) lgkmcnt(0)
	v_fma_f64 v[37:38], v[50:51], v[52:53], v[37:38]
	s_and_not1_b32 exec_lo, exec_lo, s1
	s_cbranch_execnz .LBB17_45
; %bb.46:
	s_or_b32 exec_lo, exec_lo, s1
.LBB17_47:
	s_delay_alu instid0(SALU_CYCLE_1)
	s_or_b32 exec_lo, exec_lo, s4
	v_mov_b32_e32 v48, 0
	ds_load_b64 v[48:49], v48 offset:96
	s_waitcnt lgkmcnt(0)
	v_mul_f64 v[37:38], v[37:38], v[48:49]
	scratch_store_b64 off, v[37:38], off offset:96
.LBB17_48:
	s_or_b32 exec_lo, exec_lo, s3
	scratch_load_b64 v[37:38], off, off offset:88
	v_cmp_lt_u32_e64 s1, 11, v0
	s_waitcnt vmcnt(0)
	ds_store_b64 v40, v[37:38]
	s_waitcnt lgkmcnt(0)
	s_waitcnt_vscnt null, 0x0
	s_barrier
	buffer_gl0_inv
	s_and_saveexec_b32 s3, s1
	s_cbranch_execz .LBB17_58
; %bb.49:
	s_and_not1_b32 vcc_lo, exec_lo, s2
	s_cbranch_vccnz .LBB17_51
; %bb.50:
	scratch_load_b64 v[37:38], v41, off
	ds_load_b64 v[48:49], v40
	s_waitcnt vmcnt(0) lgkmcnt(0)
	v_mul_f64 v[37:38], v[37:38], v[48:49]
	s_cbranch_execz .LBB17_52
	s_branch .LBB17_53
.LBB17_51:
                                        ; implicit-def: $vgpr37_vgpr38
.LBB17_52:
	ds_load_b64 v[37:38], v40
.LBB17_53:
	s_and_saveexec_b32 s4, s0
	s_cbranch_execz .LBB17_57
; %bb.54:
	v_add_nc_u32_e32 v48, -12, v0
	s_movk_i32 s5, 0xf0
	s_mov_b32 s0, 0
.LBB17_55:                              ; =>This Inner Loop Header: Depth=1
	scratch_load_b64 v[49:50], v47, off
	v_dual_mov_b32 v51, s5 :: v_dual_add_nc_u32 v48, -1, v48
	v_add_nc_u32_e32 v47, 8, v47
	s_add_i32 s5, s5, 8
	ds_load_b64 v[51:52], v51
	v_cmp_eq_u32_e32 vcc_lo, 0, v48
	s_or_b32 s0, vcc_lo, s0
	s_waitcnt vmcnt(0) lgkmcnt(0)
	v_fma_f64 v[37:38], v[49:50], v[51:52], v[37:38]
	s_and_not1_b32 exec_lo, exec_lo, s0
	s_cbranch_execnz .LBB17_55
; %bb.56:
	s_or_b32 exec_lo, exec_lo, s0
.LBB17_57:
	s_delay_alu instid0(SALU_CYCLE_1)
	s_or_b32 exec_lo, exec_lo, s4
	v_mov_b32_e32 v47, 0
	ds_load_b64 v[47:48], v47 offset:88
	s_waitcnt lgkmcnt(0)
	v_mul_f64 v[37:38], v[37:38], v[47:48]
	scratch_store_b64 off, v[37:38], off offset:88
.LBB17_58:
	s_or_b32 exec_lo, exec_lo, s3
	scratch_load_b64 v[37:38], off, off offset:80
	v_cmp_lt_u32_e64 s0, 10, v0
	s_waitcnt vmcnt(0)
	ds_store_b64 v40, v[37:38]
	s_waitcnt lgkmcnt(0)
	s_waitcnt_vscnt null, 0x0
	s_barrier
	buffer_gl0_inv
	s_and_saveexec_b32 s3, s0
	s_cbranch_execz .LBB17_68
; %bb.59:
	s_and_not1_b32 vcc_lo, exec_lo, s2
	s_cbranch_vccnz .LBB17_61
; %bb.60:
	scratch_load_b64 v[37:38], v41, off
	ds_load_b64 v[47:48], v40
	s_waitcnt vmcnt(0) lgkmcnt(0)
	v_mul_f64 v[37:38], v[37:38], v[47:48]
	s_cbranch_execz .LBB17_62
	s_branch .LBB17_63
.LBB17_61:
                                        ; implicit-def: $vgpr37_vgpr38
.LBB17_62:
	ds_load_b64 v[37:38], v40
.LBB17_63:
	s_and_saveexec_b32 s4, s1
	s_cbranch_execz .LBB17_67
; %bb.64:
	v_dual_mov_b32 v47, 0 :: v_dual_add_nc_u32 v48, -11, v0
	s_movk_i32 s5, 0xe8
	s_mov_b32 s1, 0
	s_delay_alu instid0(VALU_DEP_1)
	v_add_nc_u32_e32 v47, 0x58, v47
.LBB17_65:                              ; =>This Inner Loop Header: Depth=1
	scratch_load_b64 v[49:50], v47, off
	v_dual_mov_b32 v51, s5 :: v_dual_add_nc_u32 v48, -1, v48
	v_add_nc_u32_e32 v47, 8, v47
	s_add_i32 s5, s5, 8
	ds_load_b64 v[51:52], v51
	v_cmp_eq_u32_e32 vcc_lo, 0, v48
	s_or_b32 s1, vcc_lo, s1
	s_waitcnt vmcnt(0) lgkmcnt(0)
	v_fma_f64 v[37:38], v[49:50], v[51:52], v[37:38]
	s_and_not1_b32 exec_lo, exec_lo, s1
	s_cbranch_execnz .LBB17_65
; %bb.66:
	s_or_b32 exec_lo, exec_lo, s1
.LBB17_67:
	s_delay_alu instid0(SALU_CYCLE_1)
	s_or_b32 exec_lo, exec_lo, s4
	v_mov_b32_e32 v47, 0
	ds_load_b64 v[47:48], v47 offset:80
	s_waitcnt lgkmcnt(0)
	v_mul_f64 v[37:38], v[37:38], v[47:48]
	scratch_store_b64 off, v[37:38], off offset:80
.LBB17_68:
	s_or_b32 exec_lo, exec_lo, s3
	scratch_load_b64 v[37:38], off, off offset:72
	v_cmp_lt_u32_e64 s1, 9, v0
	s_waitcnt vmcnt(0)
	ds_store_b64 v40, v[37:38]
	s_waitcnt lgkmcnt(0)
	s_waitcnt_vscnt null, 0x0
	s_barrier
	buffer_gl0_inv
	s_and_saveexec_b32 s3, s1
	s_cbranch_execz .LBB17_78
; %bb.69:
	s_and_not1_b32 vcc_lo, exec_lo, s2
	s_cbranch_vccnz .LBB17_71
; %bb.70:
	scratch_load_b64 v[37:38], v41, off
	ds_load_b64 v[47:48], v40
	s_waitcnt vmcnt(0) lgkmcnt(0)
	v_mul_f64 v[37:38], v[37:38], v[47:48]
	s_cbranch_execz .LBB17_72
	s_branch .LBB17_73
.LBB17_71:
                                        ; implicit-def: $vgpr37_vgpr38
.LBB17_72:
	ds_load_b64 v[37:38], v40
.LBB17_73:
	s_and_saveexec_b32 s4, s0
	s_cbranch_execz .LBB17_77
; %bb.74:
	v_add_nc_u32_e32 v47, -10, v0
	s_movk_i32 s5, 0xe0
	s_mov_b32 s0, 0
.LBB17_75:                              ; =>This Inner Loop Header: Depth=1
	scratch_load_b64 v[48:49], v46, off
	v_dual_mov_b32 v50, s5 :: v_dual_add_nc_u32 v47, -1, v47
	v_add_nc_u32_e32 v46, 8, v46
	s_add_i32 s5, s5, 8
	ds_load_b64 v[50:51], v50
	v_cmp_eq_u32_e32 vcc_lo, 0, v47
	s_or_b32 s0, vcc_lo, s0
	s_waitcnt vmcnt(0) lgkmcnt(0)
	v_fma_f64 v[37:38], v[48:49], v[50:51], v[37:38]
	s_and_not1_b32 exec_lo, exec_lo, s0
	s_cbranch_execnz .LBB17_75
; %bb.76:
	s_or_b32 exec_lo, exec_lo, s0
.LBB17_77:
	s_delay_alu instid0(SALU_CYCLE_1)
	s_or_b32 exec_lo, exec_lo, s4
	v_mov_b32_e32 v46, 0
	ds_load_b64 v[46:47], v46 offset:72
	s_waitcnt lgkmcnt(0)
	v_mul_f64 v[37:38], v[37:38], v[46:47]
	scratch_store_b64 off, v[37:38], off offset:72
.LBB17_78:
	s_or_b32 exec_lo, exec_lo, s3
	scratch_load_b64 v[37:38], off, off offset:64
	v_cmp_lt_u32_e64 s0, 8, v0
	s_waitcnt vmcnt(0)
	ds_store_b64 v40, v[37:38]
	s_waitcnt lgkmcnt(0)
	s_waitcnt_vscnt null, 0x0
	s_barrier
	buffer_gl0_inv
	s_and_saveexec_b32 s3, s0
	s_cbranch_execz .LBB17_88
; %bb.79:
	s_and_not1_b32 vcc_lo, exec_lo, s2
	s_cbranch_vccnz .LBB17_81
; %bb.80:
	scratch_load_b64 v[37:38], v41, off
	ds_load_b64 v[46:47], v40
	s_waitcnt vmcnt(0) lgkmcnt(0)
	v_mul_f64 v[37:38], v[37:38], v[46:47]
	s_cbranch_execz .LBB17_82
	s_branch .LBB17_83
.LBB17_81:
                                        ; implicit-def: $vgpr37_vgpr38
.LBB17_82:
	ds_load_b64 v[37:38], v40
.LBB17_83:
	s_and_saveexec_b32 s4, s1
	s_cbranch_execz .LBB17_87
; %bb.84:
	v_dual_mov_b32 v46, 0 :: v_dual_add_nc_u32 v47, -9, v0
	s_movk_i32 s5, 0xd8
	s_mov_b32 s1, 0
	s_delay_alu instid0(VALU_DEP_1)
	v_add_nc_u32_e32 v46, 0x48, v46
.LBB17_85:                              ; =>This Inner Loop Header: Depth=1
	scratch_load_b64 v[48:49], v46, off
	v_dual_mov_b32 v50, s5 :: v_dual_add_nc_u32 v47, -1, v47
	v_add_nc_u32_e32 v46, 8, v46
	s_add_i32 s5, s5, 8
	ds_load_b64 v[50:51], v50
	v_cmp_eq_u32_e32 vcc_lo, 0, v47
	s_or_b32 s1, vcc_lo, s1
	s_waitcnt vmcnt(0) lgkmcnt(0)
	v_fma_f64 v[37:38], v[48:49], v[50:51], v[37:38]
	s_and_not1_b32 exec_lo, exec_lo, s1
	s_cbranch_execnz .LBB17_85
; %bb.86:
	s_or_b32 exec_lo, exec_lo, s1
.LBB17_87:
	s_delay_alu instid0(SALU_CYCLE_1)
	s_or_b32 exec_lo, exec_lo, s4
	v_mov_b32_e32 v46, 0
	ds_load_b64 v[46:47], v46 offset:64
	s_waitcnt lgkmcnt(0)
	v_mul_f64 v[37:38], v[37:38], v[46:47]
	scratch_store_b64 off, v[37:38], off offset:64
.LBB17_88:
	s_or_b32 exec_lo, exec_lo, s3
	scratch_load_b64 v[37:38], off, off offset:56
	v_cmp_lt_u32_e64 s1, 7, v0
	s_waitcnt vmcnt(0)
	ds_store_b64 v40, v[37:38]
	s_waitcnt lgkmcnt(0)
	s_waitcnt_vscnt null, 0x0
	s_barrier
	buffer_gl0_inv
	s_and_saveexec_b32 s3, s1
	s_cbranch_execz .LBB17_98
; %bb.89:
	s_and_not1_b32 vcc_lo, exec_lo, s2
	s_cbranch_vccnz .LBB17_91
; %bb.90:
	scratch_load_b64 v[37:38], v41, off
	ds_load_b64 v[46:47], v40
	s_waitcnt vmcnt(0) lgkmcnt(0)
	v_mul_f64 v[37:38], v[37:38], v[46:47]
	s_cbranch_execz .LBB17_92
	s_branch .LBB17_93
.LBB17_91:
                                        ; implicit-def: $vgpr37_vgpr38
.LBB17_92:
	ds_load_b64 v[37:38], v40
.LBB17_93:
	s_and_saveexec_b32 s4, s0
	s_cbranch_execz .LBB17_97
; %bb.94:
	v_add_nc_u32_e32 v46, -8, v0
	s_movk_i32 s5, 0xd0
	s_mov_b32 s0, 0
.LBB17_95:                              ; =>This Inner Loop Header: Depth=1
	scratch_load_b64 v[47:48], v45, off
	v_dual_mov_b32 v49, s5 :: v_dual_add_nc_u32 v46, -1, v46
	v_add_nc_u32_e32 v45, 8, v45
	s_add_i32 s5, s5, 8
	ds_load_b64 v[49:50], v49
	v_cmp_eq_u32_e32 vcc_lo, 0, v46
	s_or_b32 s0, vcc_lo, s0
	s_waitcnt vmcnt(0) lgkmcnt(0)
	v_fma_f64 v[37:38], v[47:48], v[49:50], v[37:38]
	s_and_not1_b32 exec_lo, exec_lo, s0
	s_cbranch_execnz .LBB17_95
; %bb.96:
	s_or_b32 exec_lo, exec_lo, s0
.LBB17_97:
	s_delay_alu instid0(SALU_CYCLE_1)
	s_or_b32 exec_lo, exec_lo, s4
	v_mov_b32_e32 v45, 0
	ds_load_b64 v[45:46], v45 offset:56
	s_waitcnt lgkmcnt(0)
	v_mul_f64 v[37:38], v[37:38], v[45:46]
	scratch_store_b64 off, v[37:38], off offset:56
.LBB17_98:
	s_or_b32 exec_lo, exec_lo, s3
	scratch_load_b64 v[37:38], off, off offset:48
	v_cmp_lt_u32_e64 s0, 6, v0
	s_waitcnt vmcnt(0)
	ds_store_b64 v40, v[37:38]
	s_waitcnt lgkmcnt(0)
	s_waitcnt_vscnt null, 0x0
	s_barrier
	buffer_gl0_inv
	s_and_saveexec_b32 s3, s0
	s_cbranch_execz .LBB17_108
; %bb.99:
	s_and_not1_b32 vcc_lo, exec_lo, s2
	s_cbranch_vccnz .LBB17_101
; %bb.100:
	scratch_load_b64 v[37:38], v41, off
	ds_load_b64 v[45:46], v40
	s_waitcnt vmcnt(0) lgkmcnt(0)
	v_mul_f64 v[37:38], v[37:38], v[45:46]
	s_cbranch_execz .LBB17_102
	s_branch .LBB17_103
.LBB17_101:
                                        ; implicit-def: $vgpr37_vgpr38
.LBB17_102:
	ds_load_b64 v[37:38], v40
.LBB17_103:
	s_and_saveexec_b32 s4, s1
	s_cbranch_execz .LBB17_107
; %bb.104:
	v_add_nc_u32_e64 v45, 0, 56
	v_add_nc_u32_e32 v46, -7, v0
	s_movk_i32 s5, 0xc8
	s_mov_b32 s1, 0
.LBB17_105:                             ; =>This Inner Loop Header: Depth=1
	scratch_load_b64 v[47:48], v45, off
	v_dual_mov_b32 v49, s5 :: v_dual_add_nc_u32 v46, -1, v46
	v_add_nc_u32_e32 v45, 8, v45
	s_add_i32 s5, s5, 8
	ds_load_b64 v[49:50], v49
	v_cmp_eq_u32_e32 vcc_lo, 0, v46
	s_or_b32 s1, vcc_lo, s1
	s_waitcnt vmcnt(0) lgkmcnt(0)
	v_fma_f64 v[37:38], v[47:48], v[49:50], v[37:38]
	s_and_not1_b32 exec_lo, exec_lo, s1
	s_cbranch_execnz .LBB17_105
; %bb.106:
	s_or_b32 exec_lo, exec_lo, s1
.LBB17_107:
	s_delay_alu instid0(SALU_CYCLE_1)
	s_or_b32 exec_lo, exec_lo, s4
	v_mov_b32_e32 v45, 0
	ds_load_b64 v[45:46], v45 offset:48
	s_waitcnt lgkmcnt(0)
	v_mul_f64 v[37:38], v[37:38], v[45:46]
	scratch_store_b64 off, v[37:38], off offset:48
.LBB17_108:
	s_or_b32 exec_lo, exec_lo, s3
	scratch_load_b64 v[37:38], off, off offset:40
	v_cmp_lt_u32_e64 s1, 5, v0
	s_waitcnt vmcnt(0)
	ds_store_b64 v40, v[37:38]
	s_waitcnt lgkmcnt(0)
	s_waitcnt_vscnt null, 0x0
	s_barrier
	buffer_gl0_inv
	s_and_saveexec_b32 s3, s1
	s_cbranch_execz .LBB17_118
; %bb.109:
	s_and_not1_b32 vcc_lo, exec_lo, s2
	s_cbranch_vccnz .LBB17_111
; %bb.110:
	scratch_load_b64 v[37:38], v41, off
	ds_load_b64 v[45:46], v40
	s_waitcnt vmcnt(0) lgkmcnt(0)
	v_mul_f64 v[37:38], v[37:38], v[45:46]
	s_cbranch_execz .LBB17_112
	s_branch .LBB17_113
.LBB17_111:
                                        ; implicit-def: $vgpr37_vgpr38
.LBB17_112:
	ds_load_b64 v[37:38], v40
.LBB17_113:
	s_and_saveexec_b32 s4, s0
	s_cbranch_execz .LBB17_117
; %bb.114:
	v_add_nc_u32_e32 v45, -6, v0
	s_movk_i32 s5, 0xc0
	s_mov_b32 s0, 0
.LBB17_115:                             ; =>This Inner Loop Header: Depth=1
	scratch_load_b64 v[46:47], v44, off
	v_dual_mov_b32 v48, s5 :: v_dual_add_nc_u32 v45, -1, v45
	v_add_nc_u32_e32 v44, 8, v44
	s_add_i32 s5, s5, 8
	ds_load_b64 v[48:49], v48
	v_cmp_eq_u32_e32 vcc_lo, 0, v45
	s_or_b32 s0, vcc_lo, s0
	s_waitcnt vmcnt(0) lgkmcnt(0)
	v_fma_f64 v[37:38], v[46:47], v[48:49], v[37:38]
	s_and_not1_b32 exec_lo, exec_lo, s0
	s_cbranch_execnz .LBB17_115
; %bb.116:
	s_or_b32 exec_lo, exec_lo, s0
.LBB17_117:
	s_delay_alu instid0(SALU_CYCLE_1)
	s_or_b32 exec_lo, exec_lo, s4
	v_mov_b32_e32 v44, 0
	ds_load_b64 v[44:45], v44 offset:40
	s_waitcnt lgkmcnt(0)
	v_mul_f64 v[37:38], v[37:38], v[44:45]
	scratch_store_b64 off, v[37:38], off offset:40
.LBB17_118:
	s_or_b32 exec_lo, exec_lo, s3
	scratch_load_b64 v[37:38], off, off offset:32
	v_cmp_lt_u32_e64 s0, 4, v0
	s_waitcnt vmcnt(0)
	ds_store_b64 v40, v[37:38]
	s_waitcnt lgkmcnt(0)
	s_waitcnt_vscnt null, 0x0
	s_barrier
	buffer_gl0_inv
	s_and_saveexec_b32 s3, s0
	s_cbranch_execz .LBB17_128
; %bb.119:
	s_and_not1_b32 vcc_lo, exec_lo, s2
	s_cbranch_vccnz .LBB17_121
; %bb.120:
	scratch_load_b64 v[37:38], v41, off
	ds_load_b64 v[44:45], v40
	s_waitcnt vmcnt(0) lgkmcnt(0)
	v_mul_f64 v[37:38], v[37:38], v[44:45]
	s_cbranch_execz .LBB17_122
	s_branch .LBB17_123
.LBB17_121:
                                        ; implicit-def: $vgpr37_vgpr38
.LBB17_122:
	ds_load_b64 v[37:38], v40
.LBB17_123:
	s_and_saveexec_b32 s4, s1
	s_cbranch_execz .LBB17_127
; %bb.124:
	v_add_nc_u32_e64 v44, 0, 40
	v_add_nc_u32_e32 v45, -5, v0
	s_movk_i32 s5, 0xb8
	s_mov_b32 s1, 0
.LBB17_125:                             ; =>This Inner Loop Header: Depth=1
	scratch_load_b64 v[46:47], v44, off
	v_dual_mov_b32 v48, s5 :: v_dual_add_nc_u32 v45, -1, v45
	v_add_nc_u32_e32 v44, 8, v44
	s_add_i32 s5, s5, 8
	ds_load_b64 v[48:49], v48
	v_cmp_eq_u32_e32 vcc_lo, 0, v45
	s_or_b32 s1, vcc_lo, s1
	s_waitcnt vmcnt(0) lgkmcnt(0)
	v_fma_f64 v[37:38], v[46:47], v[48:49], v[37:38]
	s_and_not1_b32 exec_lo, exec_lo, s1
	s_cbranch_execnz .LBB17_125
; %bb.126:
	s_or_b32 exec_lo, exec_lo, s1
.LBB17_127:
	s_delay_alu instid0(SALU_CYCLE_1)
	s_or_b32 exec_lo, exec_lo, s4
	v_mov_b32_e32 v44, 0
	ds_load_b64 v[44:45], v44 offset:32
	s_waitcnt lgkmcnt(0)
	v_mul_f64 v[37:38], v[37:38], v[44:45]
	scratch_store_b64 off, v[37:38], off offset:32
.LBB17_128:
	s_or_b32 exec_lo, exec_lo, s3
	scratch_load_b64 v[37:38], off, off offset:24
	v_cmp_lt_u32_e64 s1, 3, v0
	s_waitcnt vmcnt(0)
	ds_store_b64 v40, v[37:38]
	s_waitcnt lgkmcnt(0)
	s_waitcnt_vscnt null, 0x0
	s_barrier
	buffer_gl0_inv
	s_and_saveexec_b32 s3, s1
	s_cbranch_execz .LBB17_138
; %bb.129:
	s_and_not1_b32 vcc_lo, exec_lo, s2
	s_cbranch_vccnz .LBB17_131
; %bb.130:
	scratch_load_b64 v[37:38], v41, off
	ds_load_b64 v[44:45], v40
	s_waitcnt vmcnt(0) lgkmcnt(0)
	v_mul_f64 v[37:38], v[37:38], v[44:45]
	s_cbranch_execz .LBB17_132
	s_branch .LBB17_133
.LBB17_131:
                                        ; implicit-def: $vgpr37_vgpr38
.LBB17_132:
	ds_load_b64 v[37:38], v40
.LBB17_133:
	s_and_saveexec_b32 s4, s0
	s_cbranch_execz .LBB17_137
; %bb.134:
	v_add_nc_u32_e32 v44, -4, v0
	s_movk_i32 s5, 0xb0
	s_mov_b32 s0, 0
.LBB17_135:                             ; =>This Inner Loop Header: Depth=1
	scratch_load_b64 v[45:46], v43, off
	v_dual_mov_b32 v47, s5 :: v_dual_add_nc_u32 v44, -1, v44
	v_add_nc_u32_e32 v43, 8, v43
	s_add_i32 s5, s5, 8
	ds_load_b64 v[47:48], v47
	v_cmp_eq_u32_e32 vcc_lo, 0, v44
	s_or_b32 s0, vcc_lo, s0
	s_waitcnt vmcnt(0) lgkmcnt(0)
	v_fma_f64 v[37:38], v[45:46], v[47:48], v[37:38]
	s_and_not1_b32 exec_lo, exec_lo, s0
	s_cbranch_execnz .LBB17_135
; %bb.136:
	s_or_b32 exec_lo, exec_lo, s0
.LBB17_137:
	s_delay_alu instid0(SALU_CYCLE_1)
	s_or_b32 exec_lo, exec_lo, s4
	v_mov_b32_e32 v43, 0
	ds_load_b64 v[43:44], v43 offset:24
	s_waitcnt lgkmcnt(0)
	v_mul_f64 v[37:38], v[37:38], v[43:44]
	scratch_store_b64 off, v[37:38], off offset:24
.LBB17_138:
	s_or_b32 exec_lo, exec_lo, s3
	scratch_load_b64 v[37:38], off, off offset:16
	v_cmp_lt_u32_e64 s0, 2, v0
	s_waitcnt vmcnt(0)
	ds_store_b64 v40, v[37:38]
	s_waitcnt lgkmcnt(0)
	s_waitcnt_vscnt null, 0x0
	s_barrier
	buffer_gl0_inv
	s_and_saveexec_b32 s3, s0
	s_cbranch_execz .LBB17_148
; %bb.139:
	s_and_not1_b32 vcc_lo, exec_lo, s2
	s_cbranch_vccnz .LBB17_141
; %bb.140:
	scratch_load_b64 v[37:38], v41, off
	ds_load_b64 v[43:44], v40
	s_waitcnt vmcnt(0) lgkmcnt(0)
	v_mul_f64 v[37:38], v[37:38], v[43:44]
	s_cbranch_execz .LBB17_142
	s_branch .LBB17_143
.LBB17_141:
                                        ; implicit-def: $vgpr37_vgpr38
.LBB17_142:
	ds_load_b64 v[37:38], v40
.LBB17_143:
	s_and_saveexec_b32 s4, s1
	s_cbranch_execz .LBB17_147
; %bb.144:
	v_add_nc_u32_e64 v43, 0, 24
	v_add_nc_u32_e32 v44, -3, v0
	s_movk_i32 s5, 0xa8
	s_mov_b32 s1, 0
.LBB17_145:                             ; =>This Inner Loop Header: Depth=1
	scratch_load_b64 v[45:46], v43, off
	v_dual_mov_b32 v47, s5 :: v_dual_add_nc_u32 v44, -1, v44
	v_add_nc_u32_e32 v43, 8, v43
	s_add_i32 s5, s5, 8
	ds_load_b64 v[47:48], v47
	v_cmp_eq_u32_e32 vcc_lo, 0, v44
	s_or_b32 s1, vcc_lo, s1
	s_waitcnt vmcnt(0) lgkmcnt(0)
	v_fma_f64 v[37:38], v[45:46], v[47:48], v[37:38]
	s_and_not1_b32 exec_lo, exec_lo, s1
	s_cbranch_execnz .LBB17_145
; %bb.146:
	s_or_b32 exec_lo, exec_lo, s1
.LBB17_147:
	s_delay_alu instid0(SALU_CYCLE_1)
	s_or_b32 exec_lo, exec_lo, s4
	v_mov_b32_e32 v43, 0
	ds_load_b64 v[43:44], v43 offset:16
	s_waitcnt lgkmcnt(0)
	v_mul_f64 v[37:38], v[37:38], v[43:44]
	scratch_store_b64 off, v[37:38], off offset:16
.LBB17_148:
	s_or_b32 exec_lo, exec_lo, s3
	scratch_load_b64 v[37:38], off, off offset:8
	v_cmp_lt_u32_e64 s1, 1, v0
	s_waitcnt vmcnt(0)
	ds_store_b64 v40, v[37:38]
	s_waitcnt lgkmcnt(0)
	s_waitcnt_vscnt null, 0x0
	s_barrier
	buffer_gl0_inv
	s_and_saveexec_b32 s3, s1
	s_cbranch_execz .LBB17_158
; %bb.149:
	s_and_not1_b32 vcc_lo, exec_lo, s2
	s_cbranch_vccnz .LBB17_151
; %bb.150:
	scratch_load_b64 v[37:38], v41, off
	ds_load_b64 v[43:44], v40
	s_waitcnt vmcnt(0) lgkmcnt(0)
	v_mul_f64 v[37:38], v[37:38], v[43:44]
	s_cbranch_execz .LBB17_152
	s_branch .LBB17_153
.LBB17_151:
                                        ; implicit-def: $vgpr37_vgpr38
.LBB17_152:
	ds_load_b64 v[37:38], v40
.LBB17_153:
	s_and_saveexec_b32 s4, s0
	s_cbranch_execz .LBB17_157
; %bb.154:
	v_add_nc_u32_e32 v43, -2, v0
	s_movk_i32 s5, 0xa0
	s_mov_b32 s0, 0
.LBB17_155:                             ; =>This Inner Loop Header: Depth=1
	scratch_load_b64 v[44:45], v42, off
	v_dual_mov_b32 v46, s5 :: v_dual_add_nc_u32 v43, -1, v43
	v_add_nc_u32_e32 v42, 8, v42
	s_add_i32 s5, s5, 8
	ds_load_b64 v[46:47], v46
	v_cmp_eq_u32_e32 vcc_lo, 0, v43
	s_or_b32 s0, vcc_lo, s0
	s_waitcnt vmcnt(0) lgkmcnt(0)
	v_fma_f64 v[37:38], v[44:45], v[46:47], v[37:38]
	s_and_not1_b32 exec_lo, exec_lo, s0
	s_cbranch_execnz .LBB17_155
; %bb.156:
	s_or_b32 exec_lo, exec_lo, s0
.LBB17_157:
	s_delay_alu instid0(SALU_CYCLE_1)
	s_or_b32 exec_lo, exec_lo, s4
	v_mov_b32_e32 v42, 0
	ds_load_b64 v[42:43], v42 offset:8
	s_waitcnt lgkmcnt(0)
	v_mul_f64 v[37:38], v[37:38], v[42:43]
	scratch_store_b64 off, v[37:38], off offset:8
.LBB17_158:
	s_or_b32 exec_lo, exec_lo, s3
	scratch_load_b64 v[37:38], off, off
	s_mov_b32 s0, 0
	s_mov_b32 s3, exec_lo
	s_waitcnt vmcnt(0)
	ds_store_b64 v40, v[37:38]
	s_waitcnt lgkmcnt(0)
	s_waitcnt_vscnt null, 0x0
	s_barrier
	buffer_gl0_inv
	v_cmpx_ne_u32_e32 0, v0
	s_cbranch_execz .LBB17_168
; %bb.159:
	s_and_not1_b32 vcc_lo, exec_lo, s2
	s_cbranch_vccnz .LBB17_161
; %bb.160:
	scratch_load_b64 v[37:38], v41, off
	ds_load_b64 v[42:43], v40
	s_waitcnt vmcnt(0) lgkmcnt(0)
	v_mul_f64 v[37:38], v[37:38], v[42:43]
	s_cbranch_execz .LBB17_162
	s_branch .LBB17_163
.LBB17_161:
                                        ; implicit-def: $vgpr37_vgpr38
.LBB17_162:
	ds_load_b64 v[37:38], v40
.LBB17_163:
	s_and_saveexec_b32 s4, s1
	s_cbranch_execz .LBB17_167
; %bb.164:
	v_or_b32_e64 v42, 0, 8
	v_add_nc_u32_e32 v43, -1, v0
	s_movk_i32 s5, 0x98
	s_mov_b32 s1, 0
.LBB17_165:                             ; =>This Inner Loop Header: Depth=1
	scratch_load_b64 v[44:45], v42, off
	v_dual_mov_b32 v46, s5 :: v_dual_add_nc_u32 v43, -1, v43
	v_add_nc_u32_e32 v42, 8, v42
	s_add_i32 s5, s5, 8
	ds_load_b64 v[46:47], v46
	v_cmp_eq_u32_e32 vcc_lo, 0, v43
	s_or_b32 s1, vcc_lo, s1
	s_waitcnt vmcnt(0) lgkmcnt(0)
	v_fma_f64 v[37:38], v[44:45], v[46:47], v[37:38]
	s_and_not1_b32 exec_lo, exec_lo, s1
	s_cbranch_execnz .LBB17_165
; %bb.166:
	s_or_b32 exec_lo, exec_lo, s1
.LBB17_167:
	s_delay_alu instid0(SALU_CYCLE_1)
	s_or_b32 exec_lo, exec_lo, s4
	v_mov_b32_e32 v42, 0
	ds_load_b64 v[42:43], v42
	s_waitcnt lgkmcnt(0)
	v_mul_f64 v[37:38], v[37:38], v[42:43]
	scratch_store_b64 off, v[37:38], off
.LBB17_168:
	s_or_b32 exec_lo, exec_lo, s3
.LBB17_169:
	s_delay_alu instid0(SALU_CYCLE_1)
	s_and_b32 vcc_lo, exec_lo, s0
	s_cbranch_vccz .LBB17_335
; %bb.170:
	scratch_load_b64 v[37:38], off, off offset:8
	v_cmp_eq_u32_e64 s0, 0, v0
	s_waitcnt vmcnt(0)
	ds_store_b64 v40, v[37:38]
	s_waitcnt lgkmcnt(0)
	s_waitcnt_vscnt null, 0x0
	s_barrier
	buffer_gl0_inv
	s_and_saveexec_b32 s1, s0
	s_cbranch_execz .LBB17_176
; %bb.171:
	s_and_b32 vcc_lo, exec_lo, s2
	s_cbranch_vccz .LBB17_173
; %bb.172:
	scratch_load_b64 v[37:38], v41, off
	ds_load_b64 v[42:43], v40
	s_waitcnt vmcnt(0) lgkmcnt(0)
	v_mul_f64 v[37:38], v[37:38], v[42:43]
	s_cbranch_execz .LBB17_174
	s_branch .LBB17_175
.LBB17_173:
                                        ; implicit-def: $vgpr37_vgpr38
.LBB17_174:
	ds_load_b64 v[37:38], v40
.LBB17_175:
	v_mov_b32_e32 v42, 0
	ds_load_b64 v[42:43], v42 offset:8
	s_waitcnt lgkmcnt(0)
	v_mul_f64 v[37:38], v[37:38], v[42:43]
	scratch_store_b64 off, v[37:38], off offset:8
.LBB17_176:
	s_or_b32 exec_lo, exec_lo, s1
	scratch_load_b64 v[37:38], off, off offset:16
	v_cndmask_b32_e64 v42, 0, 1, s2
	s_mov_b32 s1, exec_lo
	s_waitcnt vmcnt(0)
	ds_store_b64 v40, v[37:38]
	s_waitcnt lgkmcnt(0)
	s_waitcnt_vscnt null, 0x0
	s_barrier
	buffer_gl0_inv
	v_cmpx_gt_u32_e32 2, v0
	s_cbranch_execz .LBB17_184
; %bb.177:
	s_and_not1_b32 vcc_lo, exec_lo, s2
	s_cbranch_vccnz .LBB17_179
; %bb.178:
	scratch_load_b64 v[37:38], v41, off
	ds_load_b64 v[43:44], v40
	s_waitcnt vmcnt(0) lgkmcnt(0)
	v_mul_f64 v[37:38], v[37:38], v[43:44]
	s_cbranch_execz .LBB17_180
	s_branch .LBB17_181
.LBB17_179:
                                        ; implicit-def: $vgpr37_vgpr38
.LBB17_180:
	ds_load_b64 v[37:38], v40
.LBB17_181:
	s_and_saveexec_b32 s2, s0
	s_cbranch_execz .LBB17_183
; %bb.182:
	scratch_load_b64 v[43:44], v41, off offset:8
	ds_load_b64 v[45:46], v40 offset:8
	s_waitcnt vmcnt(0) lgkmcnt(0)
	v_fma_f64 v[37:38], v[43:44], v[45:46], v[37:38]
.LBB17_183:
	s_or_b32 exec_lo, exec_lo, s2
	v_mov_b32_e32 v43, 0
	ds_load_b64 v[43:44], v43 offset:16
	s_waitcnt lgkmcnt(0)
	v_mul_f64 v[37:38], v[37:38], v[43:44]
	scratch_store_b64 off, v[37:38], off offset:16
.LBB17_184:
	s_or_b32 exec_lo, exec_lo, s1
	scratch_load_b64 v[37:38], off, off offset:24
	s_mov_b32 s1, exec_lo
	s_waitcnt vmcnt(0)
	ds_store_b64 v40, v[37:38]
	s_waitcnt lgkmcnt(0)
	s_waitcnt_vscnt null, 0x0
	s_barrier
	buffer_gl0_inv
	v_cmpx_gt_u32_e32 3, v0
	s_cbranch_execz .LBB17_194
; %bb.185:
	v_cmp_ne_u32_e32 vcc_lo, 1, v42
	s_cbranch_vccnz .LBB17_187
; %bb.186:
	scratch_load_b64 v[37:38], v41, off
	ds_load_b64 v[43:44], v40
	s_waitcnt vmcnt(0) lgkmcnt(0)
	v_mul_f64 v[37:38], v[37:38], v[43:44]
	s_cbranch_execz .LBB17_188
	s_branch .LBB17_189
.LBB17_187:
                                        ; implicit-def: $vgpr37_vgpr38
.LBB17_188:
	ds_load_b64 v[37:38], v40
.LBB17_189:
	s_mov_b32 s2, exec_lo
	v_cmpx_ne_u32_e32 2, v0
	s_cbranch_execz .LBB17_193
; %bb.190:
	scratch_load_b64 v[43:44], v41, off offset:8
	ds_load_b64 v[45:46], v40 offset:8
	s_waitcnt vmcnt(0) lgkmcnt(0)
	v_fma_f64 v[37:38], v[43:44], v[45:46], v[37:38]
	s_and_saveexec_b32 s3, s0
	s_cbranch_execz .LBB17_192
; %bb.191:
	scratch_load_b64 v[43:44], off, off offset:16
	v_mov_b32_e32 v45, 0
	ds_load_b64 v[45:46], v45 offset:160
	s_waitcnt vmcnt(0) lgkmcnt(0)
	v_fma_f64 v[37:38], v[43:44], v[45:46], v[37:38]
.LBB17_192:
	s_or_b32 exec_lo, exec_lo, s3
.LBB17_193:
	s_delay_alu instid0(SALU_CYCLE_1)
	s_or_b32 exec_lo, exec_lo, s2
	v_mov_b32_e32 v43, 0
	ds_load_b64 v[43:44], v43 offset:24
	s_waitcnt lgkmcnt(0)
	v_mul_f64 v[37:38], v[37:38], v[43:44]
	scratch_store_b64 off, v[37:38], off offset:24
.LBB17_194:
	s_or_b32 exec_lo, exec_lo, s1
	scratch_load_b64 v[37:38], off, off offset:32
	s_mov_b32 s0, exec_lo
	s_waitcnt vmcnt(0)
	ds_store_b64 v40, v[37:38]
	s_waitcnt lgkmcnt(0)
	s_waitcnt_vscnt null, 0x0
	s_barrier
	buffer_gl0_inv
	v_cmpx_gt_u32_e32 4, v0
	s_cbranch_execz .LBB17_204
; %bb.195:
	v_cmp_ne_u32_e32 vcc_lo, 1, v42
	s_cbranch_vccnz .LBB17_197
; %bb.196:
	scratch_load_b64 v[37:38], v41, off
	ds_load_b64 v[43:44], v40
	s_waitcnt vmcnt(0) lgkmcnt(0)
	v_mul_f64 v[37:38], v[37:38], v[43:44]
	s_cbranch_execz .LBB17_198
	s_branch .LBB17_199
.LBB17_197:
                                        ; implicit-def: $vgpr37_vgpr38
.LBB17_198:
	ds_load_b64 v[37:38], v40
.LBB17_199:
	s_mov_b32 s1, exec_lo
	v_cmpx_ne_u32_e32 3, v0
	s_cbranch_execz .LBB17_203
; %bb.200:
	v_add_nc_u32_e32 v43, 0x98, v39
	v_add3_u32 v44, 0, v39, 8
	v_mov_b32_e32 v45, v0
	s_mov_b32 s2, 0
.LBB17_201:                             ; =>This Inner Loop Header: Depth=1
	scratch_load_b64 v[46:47], v44, off
	ds_load_b64 v[48:49], v43
	v_add_nc_u32_e32 v45, 1, v45
	v_add_nc_u32_e32 v43, 8, v43
	v_add_nc_u32_e32 v44, 8, v44
	s_delay_alu instid0(VALU_DEP_3)
	v_cmp_lt_u32_e32 vcc_lo, 2, v45
	s_or_b32 s2, vcc_lo, s2
	s_waitcnt vmcnt(0) lgkmcnt(0)
	v_fma_f64 v[37:38], v[46:47], v[48:49], v[37:38]
	s_and_not1_b32 exec_lo, exec_lo, s2
	s_cbranch_execnz .LBB17_201
; %bb.202:
	s_or_b32 exec_lo, exec_lo, s2
.LBB17_203:
	s_delay_alu instid0(SALU_CYCLE_1)
	s_or_b32 exec_lo, exec_lo, s1
	v_mov_b32_e32 v43, 0
	ds_load_b64 v[43:44], v43 offset:32
	s_waitcnt lgkmcnt(0)
	v_mul_f64 v[37:38], v[37:38], v[43:44]
	scratch_store_b64 off, v[37:38], off offset:32
.LBB17_204:
	s_or_b32 exec_lo, exec_lo, s0
	scratch_load_b64 v[37:38], off, off offset:40
	s_mov_b32 s0, exec_lo
	s_waitcnt vmcnt(0)
	ds_store_b64 v40, v[37:38]
	s_waitcnt lgkmcnt(0)
	s_waitcnt_vscnt null, 0x0
	s_barrier
	buffer_gl0_inv
	v_cmpx_gt_u32_e32 5, v0
	s_cbranch_execz .LBB17_214
; %bb.205:
	v_cmp_ne_u32_e32 vcc_lo, 1, v42
	s_cbranch_vccnz .LBB17_207
; %bb.206:
	scratch_load_b64 v[37:38], v41, off
	ds_load_b64 v[43:44], v40
	s_waitcnt vmcnt(0) lgkmcnt(0)
	v_mul_f64 v[37:38], v[37:38], v[43:44]
	s_cbranch_execz .LBB17_208
	s_branch .LBB17_209
.LBB17_207:
                                        ; implicit-def: $vgpr37_vgpr38
.LBB17_208:
	ds_load_b64 v[37:38], v40
.LBB17_209:
	s_mov_b32 s1, exec_lo
	v_cmpx_ne_u32_e32 4, v0
	s_cbranch_execz .LBB17_213
; %bb.210:
	v_add_nc_u32_e32 v43, 0x98, v39
	v_add3_u32 v44, 0, v39, 8
	v_mov_b32_e32 v45, v0
	s_mov_b32 s2, 0
.LBB17_211:                             ; =>This Inner Loop Header: Depth=1
	scratch_load_b64 v[46:47], v44, off
	ds_load_b64 v[48:49], v43
	v_add_nc_u32_e32 v45, 1, v45
	v_add_nc_u32_e32 v43, 8, v43
	v_add_nc_u32_e32 v44, 8, v44
	s_delay_alu instid0(VALU_DEP_3)
	v_cmp_lt_u32_e32 vcc_lo, 3, v45
	s_or_b32 s2, vcc_lo, s2
	s_waitcnt vmcnt(0) lgkmcnt(0)
	v_fma_f64 v[37:38], v[46:47], v[48:49], v[37:38]
	s_and_not1_b32 exec_lo, exec_lo, s2
	s_cbranch_execnz .LBB17_211
; %bb.212:
	s_or_b32 exec_lo, exec_lo, s2
.LBB17_213:
	s_delay_alu instid0(SALU_CYCLE_1)
	s_or_b32 exec_lo, exec_lo, s1
	v_mov_b32_e32 v43, 0
	ds_load_b64 v[43:44], v43 offset:40
	s_waitcnt lgkmcnt(0)
	v_mul_f64 v[37:38], v[37:38], v[43:44]
	scratch_store_b64 off, v[37:38], off offset:40
.LBB17_214:
	;; [unrolled: 58-line block ×12, first 2 shown]
	s_or_b32 exec_lo, exec_lo, s0
	scratch_load_b64 v[37:38], off, off offset:128
	v_cmp_gt_u32_e64 s0, 16, v0
	s_waitcnt vmcnt(0)
	ds_store_b64 v40, v[37:38]
	s_waitcnt lgkmcnt(0)
	s_waitcnt_vscnt null, 0x0
	s_barrier
	buffer_gl0_inv
	s_and_saveexec_b32 s1, s0
	s_cbranch_execz .LBB17_324
; %bb.315:
	v_cmp_ne_u32_e32 vcc_lo, 1, v42
	s_cbranch_vccnz .LBB17_317
; %bb.316:
	scratch_load_b64 v[37:38], v41, off
	ds_load_b64 v[43:44], v40
	s_waitcnt vmcnt(0) lgkmcnt(0)
	v_mul_f64 v[37:38], v[37:38], v[43:44]
	s_cbranch_execz .LBB17_318
	s_branch .LBB17_319
.LBB17_317:
                                        ; implicit-def: $vgpr37_vgpr38
.LBB17_318:
	ds_load_b64 v[37:38], v40
.LBB17_319:
	s_mov_b32 s2, exec_lo
	v_cmpx_ne_u32_e32 15, v0
	s_cbranch_execz .LBB17_323
; %bb.320:
	v_add_nc_u32_e32 v43, 0x98, v39
	v_add3_u32 v44, 0, v39, 8
	v_mov_b32_e32 v45, v0
	s_mov_b32 s3, 0
.LBB17_321:                             ; =>This Inner Loop Header: Depth=1
	scratch_load_b64 v[46:47], v44, off
	ds_load_b64 v[48:49], v43
	v_add_nc_u32_e32 v45, 1, v45
	v_add_nc_u32_e32 v43, 8, v43
	;; [unrolled: 1-line block ×3, first 2 shown]
	s_delay_alu instid0(VALU_DEP_3)
	v_cmp_lt_u32_e32 vcc_lo, 14, v45
	s_or_b32 s3, vcc_lo, s3
	s_waitcnt vmcnt(0) lgkmcnt(0)
	v_fma_f64 v[37:38], v[46:47], v[48:49], v[37:38]
	s_and_not1_b32 exec_lo, exec_lo, s3
	s_cbranch_execnz .LBB17_321
; %bb.322:
	s_or_b32 exec_lo, exec_lo, s3
.LBB17_323:
	s_delay_alu instid0(SALU_CYCLE_1)
	s_or_b32 exec_lo, exec_lo, s2
	v_mov_b32_e32 v43, 0
	ds_load_b64 v[43:44], v43 offset:128
	s_waitcnt lgkmcnt(0)
	v_mul_f64 v[37:38], v[37:38], v[43:44]
	scratch_store_b64 off, v[37:38], off offset:128
.LBB17_324:
	s_or_b32 exec_lo, exec_lo, s1
	scratch_load_b64 v[37:38], off, off offset:136
	s_mov_b32 s1, exec_lo
	s_waitcnt vmcnt(0)
	ds_store_b64 v40, v[37:38]
	s_waitcnt lgkmcnt(0)
	s_waitcnt_vscnt null, 0x0
	s_barrier
	buffer_gl0_inv
	v_cmpx_ne_u32_e32 17, v0
	s_cbranch_execz .LBB17_334
; %bb.325:
	v_cmp_ne_u32_e32 vcc_lo, 1, v42
	s_cbranch_vccnz .LBB17_327
; %bb.326:
	scratch_load_b64 v[37:38], v41, off
	ds_load_b64 v[41:42], v40
	s_waitcnt vmcnt(0) lgkmcnt(0)
	v_mul_f64 v[37:38], v[37:38], v[41:42]
	s_cbranch_execz .LBB17_328
	s_branch .LBB17_329
.LBB17_327:
                                        ; implicit-def: $vgpr37_vgpr38
.LBB17_328:
	ds_load_b64 v[37:38], v40
.LBB17_329:
	s_and_saveexec_b32 s2, s0
	s_cbranch_execz .LBB17_333
; %bb.330:
	v_add_nc_u32_e32 v40, 0x98, v39
	v_add3_u32 v39, 0, v39, 8
	s_mov_b32 s0, 0
.LBB17_331:                             ; =>This Inner Loop Header: Depth=1
	scratch_load_b64 v[41:42], v39, off
	ds_load_b64 v[43:44], v40
	v_add_nc_u32_e32 v0, 1, v0
	v_add_nc_u32_e32 v40, 8, v40
	;; [unrolled: 1-line block ×3, first 2 shown]
	s_delay_alu instid0(VALU_DEP_3)
	v_cmp_lt_u32_e32 vcc_lo, 15, v0
	s_or_b32 s0, vcc_lo, s0
	s_waitcnt vmcnt(0) lgkmcnt(0)
	v_fma_f64 v[37:38], v[41:42], v[43:44], v[37:38]
	s_and_not1_b32 exec_lo, exec_lo, s0
	s_cbranch_execnz .LBB17_331
; %bb.332:
	s_or_b32 exec_lo, exec_lo, s0
.LBB17_333:
	s_delay_alu instid0(SALU_CYCLE_1)
	s_or_b32 exec_lo, exec_lo, s2
	v_mov_b32_e32 v0, 0
	ds_load_b64 v[39:40], v0 offset:136
	s_waitcnt lgkmcnt(0)
	v_mul_f64 v[37:38], v[37:38], v[39:40]
	scratch_store_b64 off, v[37:38], off offset:136
.LBB17_334:
	s_or_b32 exec_lo, exec_lo, s1
.LBB17_335:
	s_clause 0x8
	scratch_load_b128 v[37:40], off, off
	scratch_load_b128 v[41:44], off, off offset:16
	scratch_load_b128 v[45:48], off, off offset:32
	;; [unrolled: 1-line block ×8, first 2 shown]
	s_waitcnt vmcnt(8)
	s_clause 0x1
	global_store_b64 v[1:2], v[37:38], off
	global_store_b64 v[3:4], v[39:40], off
	s_waitcnt vmcnt(7)
	s_clause 0x1
	global_store_b64 v[5:6], v[41:42], off
	global_store_b64 v[7:8], v[43:44], off
	;; [unrolled: 4-line block ×9, first 2 shown]
.LBB17_336:
	s_endpgm
	.section	.rodata,"a",@progbits
	.p2align	6, 0x0
	.amdhsa_kernel _ZN9rocsolver6v33100L18trti2_kernel_smallILi18EdPdEEv13rocblas_fill_17rocblas_diagonal_T1_iil
		.amdhsa_group_segment_fixed_size 288
		.amdhsa_private_segment_fixed_size 160
		.amdhsa_kernarg_size 32
		.amdhsa_user_sgpr_count 15
		.amdhsa_user_sgpr_dispatch_ptr 0
		.amdhsa_user_sgpr_queue_ptr 0
		.amdhsa_user_sgpr_kernarg_segment_ptr 1
		.amdhsa_user_sgpr_dispatch_id 0
		.amdhsa_user_sgpr_private_segment_size 0
		.amdhsa_wavefront_size32 1
		.amdhsa_uses_dynamic_stack 0
		.amdhsa_enable_private_segment 1
		.amdhsa_system_sgpr_workgroup_id_x 1
		.amdhsa_system_sgpr_workgroup_id_y 0
		.amdhsa_system_sgpr_workgroup_id_z 0
		.amdhsa_system_sgpr_workgroup_info 0
		.amdhsa_system_vgpr_workitem_id 0
		.amdhsa_next_free_vgpr 76
		.amdhsa_next_free_sgpr 16
		.amdhsa_reserve_vcc 1
		.amdhsa_float_round_mode_32 0
		.amdhsa_float_round_mode_16_64 0
		.amdhsa_float_denorm_mode_32 3
		.amdhsa_float_denorm_mode_16_64 3
		.amdhsa_dx10_clamp 1
		.amdhsa_ieee_mode 1
		.amdhsa_fp16_overflow 0
		.amdhsa_workgroup_processor_mode 1
		.amdhsa_memory_ordered 1
		.amdhsa_forward_progress 0
		.amdhsa_shared_vgpr_count 0
		.amdhsa_exception_fp_ieee_invalid_op 0
		.amdhsa_exception_fp_denorm_src 0
		.amdhsa_exception_fp_ieee_div_zero 0
		.amdhsa_exception_fp_ieee_overflow 0
		.amdhsa_exception_fp_ieee_underflow 0
		.amdhsa_exception_fp_ieee_inexact 0
		.amdhsa_exception_int_div_zero 0
	.end_amdhsa_kernel
	.section	.text._ZN9rocsolver6v33100L18trti2_kernel_smallILi18EdPdEEv13rocblas_fill_17rocblas_diagonal_T1_iil,"axG",@progbits,_ZN9rocsolver6v33100L18trti2_kernel_smallILi18EdPdEEv13rocblas_fill_17rocblas_diagonal_T1_iil,comdat
.Lfunc_end17:
	.size	_ZN9rocsolver6v33100L18trti2_kernel_smallILi18EdPdEEv13rocblas_fill_17rocblas_diagonal_T1_iil, .Lfunc_end17-_ZN9rocsolver6v33100L18trti2_kernel_smallILi18EdPdEEv13rocblas_fill_17rocblas_diagonal_T1_iil
                                        ; -- End function
	.section	.AMDGPU.csdata,"",@progbits
; Kernel info:
; codeLenInByte = 9444
; NumSgprs: 18
; NumVgprs: 76
; ScratchSize: 160
; MemoryBound: 0
; FloatMode: 240
; IeeeMode: 1
; LDSByteSize: 288 bytes/workgroup (compile time only)
; SGPRBlocks: 2
; VGPRBlocks: 9
; NumSGPRsForWavesPerEU: 18
; NumVGPRsForWavesPerEU: 76
; Occupancy: 16
; WaveLimiterHint : 0
; COMPUTE_PGM_RSRC2:SCRATCH_EN: 1
; COMPUTE_PGM_RSRC2:USER_SGPR: 15
; COMPUTE_PGM_RSRC2:TRAP_HANDLER: 0
; COMPUTE_PGM_RSRC2:TGID_X_EN: 1
; COMPUTE_PGM_RSRC2:TGID_Y_EN: 0
; COMPUTE_PGM_RSRC2:TGID_Z_EN: 0
; COMPUTE_PGM_RSRC2:TIDIG_COMP_CNT: 0
	.section	.text._ZN9rocsolver6v33100L18trti2_kernel_smallILi19EdPdEEv13rocblas_fill_17rocblas_diagonal_T1_iil,"axG",@progbits,_ZN9rocsolver6v33100L18trti2_kernel_smallILi19EdPdEEv13rocblas_fill_17rocblas_diagonal_T1_iil,comdat
	.globl	_ZN9rocsolver6v33100L18trti2_kernel_smallILi19EdPdEEv13rocblas_fill_17rocblas_diagonal_T1_iil ; -- Begin function _ZN9rocsolver6v33100L18trti2_kernel_smallILi19EdPdEEv13rocblas_fill_17rocblas_diagonal_T1_iil
	.p2align	8
	.type	_ZN9rocsolver6v33100L18trti2_kernel_smallILi19EdPdEEv13rocblas_fill_17rocblas_diagonal_T1_iil,@function
_ZN9rocsolver6v33100L18trti2_kernel_smallILi19EdPdEEv13rocblas_fill_17rocblas_diagonal_T1_iil: ; @_ZN9rocsolver6v33100L18trti2_kernel_smallILi19EdPdEEv13rocblas_fill_17rocblas_diagonal_T1_iil
; %bb.0:
	s_mov_b32 s2, exec_lo
	v_cmpx_gt_u32_e32 19, v0
	s_cbranch_execz .LBB18_356
; %bb.1:
	s_load_b256 s[0:7], s[0:1], 0x0
	s_ashr_i32 s10, s15, 31
	v_lshlrev_b32_e32 v41, 3, v0
	v_mov_b32_e32 v39, 0
	v_mov_b32_e32 v40, 0xbff00000
	s_waitcnt lgkmcnt(0)
	s_ashr_i32 s9, s4, 31
	s_mov_b32 s8, s4
	s_mul_i32 s4, s15, s7
	s_mul_hi_u32 s7, s15, s6
	v_add3_u32 v1, s5, s5, v0
	s_mul_i32 s11, s10, s6
	s_add_i32 s4, s7, s4
	s_mul_i32 s6, s15, s6
	s_add_i32 s7, s4, s11
	v_add_nc_u32_e32 v3, s5, v1
	s_lshl_b64 s[6:7], s[6:7], 3
	v_ashrrev_i32_e32 v2, 31, v1
	s_add_u32 s4, s2, s6
	s_addc_u32 s6, s3, s7
	s_lshl_b64 s[2:3], s[8:9], 3
	v_add_nc_u32_e32 v7, s5, v3
	s_add_u32 s2, s4, s2
	v_lshlrev_b64 v[5:6], 3, v[1:2]
	v_ashrrev_i32_e32 v4, 31, v3
	s_addc_u32 s3, s6, s3
	v_add_co_u32 v1, s4, s2, v41
	s_mov_b32 s10, s5
	s_ashr_i32 s11, s5, 31
	v_add_co_ci_u32_e64 v2, null, s3, 0, s4
	s_lshl_b64 s[6:7], s[10:11], 3
	v_ashrrev_i32_e32 v8, 31, v7
	v_lshlrev_b64 v[9:10], 3, v[3:4]
	v_add_co_u32 v3, vcc_lo, v1, s6
	v_add_nc_u32_e32 v13, s5, v7
	v_add_co_ci_u32_e32 v4, vcc_lo, s7, v2, vcc_lo
	v_add_co_u32 v5, vcc_lo, s2, v5
	v_lshlrev_b64 v[11:12], 3, v[7:8]
	v_add_co_ci_u32_e32 v6, vcc_lo, s3, v6, vcc_lo
	v_add_co_u32 v7, vcc_lo, s2, v9
	v_ashrrev_i32_e32 v14, 31, v13
	v_add_nc_u32_e32 v15, s5, v13
	v_add_co_ci_u32_e32 v8, vcc_lo, s3, v10, vcc_lo
	v_add_co_u32 v9, vcc_lo, s2, v11
	v_add_co_ci_u32_e32 v10, vcc_lo, s3, v12, vcc_lo
	v_lshlrev_b64 v[11:12], 3, v[13:14]
	v_add_nc_u32_e32 v13, s5, v15
	v_ashrrev_i32_e32 v16, 31, v15
	s_clause 0x4
	global_load_b64 v[42:43], v41, s[2:3]
	global_load_b64 v[44:45], v[3:4], off
	global_load_b64 v[46:47], v[5:6], off
	;; [unrolled: 1-line block ×4, first 2 shown]
	s_cmpk_lg_i32 s1, 0x84
	v_add_nc_u32_e32 v17, s5, v13
	v_ashrrev_i32_e32 v14, 31, v13
	v_lshlrev_b64 v[15:16], 3, v[15:16]
	v_add_co_u32 v11, vcc_lo, s2, v11
	s_delay_alu instid0(VALU_DEP_4) | instskip(NEXT) | instid1(VALU_DEP_4)
	v_ashrrev_i32_e32 v18, 31, v17
	v_lshlrev_b64 v[19:20], 3, v[13:14]
	v_add_nc_u32_e32 v23, s5, v17
	v_add_co_ci_u32_e32 v12, vcc_lo, s3, v12, vcc_lo
	v_add_co_u32 v13, vcc_lo, s2, v15
	v_lshlrev_b64 v[21:22], 3, v[17:18]
	v_add_co_ci_u32_e32 v14, vcc_lo, s3, v16, vcc_lo
	v_add_co_u32 v15, vcc_lo, s2, v19
	v_ashrrev_i32_e32 v24, 31, v23
	v_add_nc_u32_e32 v19, s5, v23
	v_add_co_ci_u32_e32 v16, vcc_lo, s3, v20, vcc_lo
	v_add_co_u32 v17, vcc_lo, s2, v21
	v_add_co_ci_u32_e32 v18, vcc_lo, s3, v22, vcc_lo
	v_lshlrev_b64 v[21:22], 3, v[23:24]
	v_add_nc_u32_e32 v23, s5, v19
	v_ashrrev_i32_e32 v20, 31, v19
	s_clause 0x3
	global_load_b64 v[52:53], v[11:12], off
	global_load_b64 v[54:55], v[13:14], off
	;; [unrolled: 1-line block ×4, first 2 shown]
	v_add_nc_u32_e32 v27, s5, v23
	v_lshlrev_b64 v[25:26], 3, v[19:20]
	v_add_co_u32 v19, vcc_lo, s2, v21
	v_add_co_ci_u32_e32 v20, vcc_lo, s3, v22, vcc_lo
	s_delay_alu instid0(VALU_DEP_4) | instskip(NEXT) | instid1(VALU_DEP_4)
	v_ashrrev_i32_e32 v28, 31, v27
	v_add_co_u32 v21, vcc_lo, s2, v25
	v_add_co_ci_u32_e32 v22, vcc_lo, s3, v26, vcc_lo
	s_delay_alu instid0(VALU_DEP_3) | instskip(SKIP_2) | instid1(VALU_DEP_2)
	v_lshlrev_b64 v[25:26], 3, v[27:28]
	v_add_nc_u32_e32 v27, s5, v27
	v_ashrrev_i32_e32 v24, 31, v23
	v_add_nc_u32_e32 v29, s5, v27
	s_delay_alu instid0(VALU_DEP_2) | instskip(SKIP_1) | instid1(VALU_DEP_3)
	v_lshlrev_b64 v[23:24], 3, v[23:24]
	v_ashrrev_i32_e32 v28, 31, v27
	v_add_nc_u32_e32 v31, s5, v29
	v_ashrrev_i32_e32 v30, 31, v29
	s_delay_alu instid0(VALU_DEP_4) | instskip(NEXT) | instid1(VALU_DEP_4)
	v_add_co_u32 v23, vcc_lo, s2, v23
	v_lshlrev_b64 v[27:28], 3, v[27:28]
	s_delay_alu instid0(VALU_DEP_4) | instskip(SKIP_3) | instid1(VALU_DEP_4)
	v_add_nc_u32_e32 v33, s5, v31
	v_ashrrev_i32_e32 v32, 31, v31
	v_add_co_ci_u32_e32 v24, vcc_lo, s3, v24, vcc_lo
	v_add_co_u32 v25, vcc_lo, s2, v25
	v_add_nc_u32_e32 v35, s5, v33
	v_lshlrev_b64 v[29:30], 3, v[29:30]
	v_ashrrev_i32_e32 v34, 31, v33
	v_add_co_ci_u32_e32 v26, vcc_lo, s3, v26, vcc_lo
	s_delay_alu instid0(VALU_DEP_4)
	v_add_nc_u32_e32 v37, s5, v35
	v_add_co_u32 v27, vcc_lo, s2, v27
	v_lshlrev_b64 v[31:32], 3, v[31:32]
	v_ashrrev_i32_e32 v36, 31, v35
	v_add_co_ci_u32_e32 v28, vcc_lo, s3, v28, vcc_lo
	v_add_co_u32 v29, vcc_lo, s2, v29
	v_lshlrev_b64 v[33:34], 3, v[33:34]
	v_ashrrev_i32_e32 v38, 31, v37
	v_add_co_ci_u32_e32 v30, vcc_lo, s3, v30, vcc_lo
	v_add_co_u32 v31, vcc_lo, s2, v31
	v_lshlrev_b64 v[35:36], 3, v[35:36]
	v_add_co_ci_u32_e32 v32, vcc_lo, s3, v32, vcc_lo
	v_add_co_u32 v33, vcc_lo, s2, v33
	v_lshlrev_b64 v[37:38], 3, v[37:38]
	v_add_co_ci_u32_e32 v34, vcc_lo, s3, v34, vcc_lo
	v_add_co_u32 v35, vcc_lo, s2, v35
	v_add_co_ci_u32_e32 v36, vcc_lo, s3, v36, vcc_lo
	s_delay_alu instid0(VALU_DEP_4)
	v_add_co_u32 v37, vcc_lo, s2, v37
	s_clause 0x3
	global_load_b64 v[60:61], v[19:20], off
	global_load_b64 v[62:63], v[21:22], off
	;; [unrolled: 1-line block ×4, first 2 shown]
	v_add_co_ci_u32_e32 v38, vcc_lo, s3, v38, vcc_lo
	s_clause 0x5
	global_load_b64 v[68:69], v[27:28], off
	global_load_b64 v[70:71], v[29:30], off
	;; [unrolled: 1-line block ×6, first 2 shown]
	s_cselect_b32 s2, -1, 0
	s_cmpk_eq_i32 s1, 0x84
	s_waitcnt vmcnt(17)
	scratch_store_b128 off, v[42:45], off
	s_waitcnt vmcnt(15)
	scratch_store_b128 off, v[46:49], off offset:16
	s_waitcnt vmcnt(13)
	scratch_store_b128 off, v[50:53], off offset:32
	;; [unrolled: 2-line block ×8, first 2 shown]
	s_waitcnt vmcnt(0)
	scratch_store_b64 off, v[78:79], off offset:144
	s_cbranch_scc1 .LBB18_3
; %bb.2:
	scratch_load_b64 v[39:40], v41, off
	s_waitcnt vmcnt(0)
	v_div_scale_f64 v[42:43], null, v[39:40], v[39:40], 1.0
	v_div_scale_f64 v[48:49], vcc_lo, 1.0, v[39:40], 1.0
	s_delay_alu instid0(VALU_DEP_2) | instskip(SKIP_2) | instid1(VALU_DEP_1)
	v_rcp_f64_e32 v[44:45], v[42:43]
	s_waitcnt_depctr 0xfff
	v_fma_f64 v[46:47], -v[42:43], v[44:45], 1.0
	v_fma_f64 v[44:45], v[44:45], v[46:47], v[44:45]
	s_delay_alu instid0(VALU_DEP_1) | instskip(NEXT) | instid1(VALU_DEP_1)
	v_fma_f64 v[46:47], -v[42:43], v[44:45], 1.0
	v_fma_f64 v[44:45], v[44:45], v[46:47], v[44:45]
	s_delay_alu instid0(VALU_DEP_1) | instskip(NEXT) | instid1(VALU_DEP_1)
	v_mul_f64 v[46:47], v[48:49], v[44:45]
	v_fma_f64 v[42:43], -v[42:43], v[46:47], v[48:49]
	s_delay_alu instid0(VALU_DEP_1) | instskip(NEXT) | instid1(VALU_DEP_1)
	v_div_fmas_f64 v[42:43], v[42:43], v[44:45], v[46:47]
	v_div_fixup_f64 v[39:40], v[42:43], v[39:40], 1.0
	scratch_store_b64 v41, v[39:40], off
	v_xor_b32_e32 v40, 0x80000000, v40
.LBB18_3:
	v_add_nc_u32_e32 v42, 0xa0, v41
	v_add_nc_u32_e32 v43, 0, v41
	s_cmpk_eq_i32 s0, 0x79
	s_mov_b32 s0, -1
	ds_store_b64 v41, v[39:40]
	s_cbranch_scc1 .LBB18_179
; %bb.4:
	scratch_load_b64 v[39:40], off, off offset:136
	v_cmp_eq_u32_e64 s1, 18, v0
	s_movk_i32 s0, 0x50
	s_movk_i32 s3, 0x60
	;; [unrolled: 1-line block ×4, first 2 shown]
	s_waitcnt vmcnt(0)
	ds_store_b64 v42, v[39:40]
	s_waitcnt lgkmcnt(0)
	s_waitcnt_vscnt null, 0x0
	s_barrier
	buffer_gl0_inv
	s_and_saveexec_b32 s6, s1
	s_cbranch_execz .LBB18_10
; %bb.5:
	s_and_b32 vcc_lo, exec_lo, s2
	s_cbranch_vccz .LBB18_7
; %bb.6:
	scratch_load_b64 v[39:40], v43, off
	ds_load_b64 v[44:45], v42
	s_waitcnt vmcnt(0) lgkmcnt(0)
	v_mul_f64 v[39:40], v[39:40], v[44:45]
	s_cbranch_execz .LBB18_8
	s_branch .LBB18_9
.LBB18_7:
                                        ; implicit-def: $vgpr39_vgpr40
.LBB18_8:
	ds_load_b64 v[39:40], v42
.LBB18_9:
	v_mov_b32_e32 v44, 0
	ds_load_b64 v[44:45], v44 offset:136
	s_waitcnt lgkmcnt(0)
	v_mul_f64 v[39:40], v[39:40], v[44:45]
	scratch_store_b64 off, v[39:40], off offset:136
.LBB18_10:
	s_or_b32 exec_lo, exec_lo, s6
	scratch_load_b64 v[39:40], off, off offset:128
	v_add_nc_u32_e64 v44, 0, 16
	v_add_nc_u32_e64 v45, 0, 32
	;; [unrolled: 1-line block ×8, first 2 shown]
	v_cmp_lt_u32_e64 s0, 16, v0
	s_waitcnt vmcnt(0)
	ds_store_b64 v42, v[39:40]
	s_waitcnt lgkmcnt(0)
	s_waitcnt_vscnt null, 0x0
	s_barrier
	buffer_gl0_inv
	s_and_saveexec_b32 s3, s0
	s_cbranch_execz .LBB18_18
; %bb.11:
	s_and_not1_b32 vcc_lo, exec_lo, s2
	s_cbranch_vccnz .LBB18_13
; %bb.12:
	scratch_load_b64 v[39:40], v43, off
	ds_load_b64 v[52:53], v42
	s_waitcnt vmcnt(0) lgkmcnt(0)
	v_mul_f64 v[39:40], v[39:40], v[52:53]
	s_cbranch_execz .LBB18_14
	s_branch .LBB18_15
.LBB18_13:
                                        ; implicit-def: $vgpr39_vgpr40
.LBB18_14:
	ds_load_b64 v[39:40], v42
.LBB18_15:
	s_and_saveexec_b32 s4, s1
	s_cbranch_execz .LBB18_17
; %bb.16:
	scratch_load_b64 v[52:53], off, off offset:136
	v_mov_b32_e32 v54, 0
	ds_load_b64 v[54:55], v54 offset:296
	s_waitcnt vmcnt(0) lgkmcnt(0)
	v_fma_f64 v[39:40], v[52:53], v[54:55], v[39:40]
.LBB18_17:
	s_or_b32 exec_lo, exec_lo, s4
	v_mov_b32_e32 v52, 0
	ds_load_b64 v[52:53], v52 offset:128
	s_waitcnt lgkmcnt(0)
	v_mul_f64 v[39:40], v[39:40], v[52:53]
	scratch_store_b64 off, v[39:40], off offset:128
.LBB18_18:
	s_or_b32 exec_lo, exec_lo, s3
	scratch_load_b64 v[39:40], off, off offset:120
	v_cmp_lt_u32_e64 s1, 15, v0
	s_waitcnt vmcnt(0)
	ds_store_b64 v42, v[39:40]
	s_waitcnt lgkmcnt(0)
	s_waitcnt_vscnt null, 0x0
	s_barrier
	buffer_gl0_inv
	s_and_saveexec_b32 s3, s1
	s_cbranch_execz .LBB18_28
; %bb.19:
	s_and_not1_b32 vcc_lo, exec_lo, s2
	s_cbranch_vccnz .LBB18_21
; %bb.20:
	scratch_load_b64 v[39:40], v43, off
	ds_load_b64 v[52:53], v42
	s_waitcnt vmcnt(0) lgkmcnt(0)
	v_mul_f64 v[39:40], v[39:40], v[52:53]
	s_cbranch_execz .LBB18_22
	s_branch .LBB18_23
.LBB18_21:
                                        ; implicit-def: $vgpr39_vgpr40
.LBB18_22:
	ds_load_b64 v[39:40], v42
.LBB18_23:
	s_and_saveexec_b32 s4, s0
	s_cbranch_execz .LBB18_27
; %bb.24:
	v_add_nc_u32_e32 v52, -16, v0
	s_movk_i32 s5, 0x120
	s_mov_b32 s0, 0
.LBB18_25:                              ; =>This Inner Loop Header: Depth=1
	scratch_load_b64 v[53:54], v51, off
	v_dual_mov_b32 v55, s5 :: v_dual_add_nc_u32 v52, -1, v52
	v_add_nc_u32_e32 v51, 8, v51
	s_add_i32 s5, s5, 8
	ds_load_b64 v[55:56], v55
	v_cmp_eq_u32_e32 vcc_lo, 0, v52
	s_or_b32 s0, vcc_lo, s0
	s_waitcnt vmcnt(0) lgkmcnt(0)
	v_fma_f64 v[39:40], v[53:54], v[55:56], v[39:40]
	s_and_not1_b32 exec_lo, exec_lo, s0
	s_cbranch_execnz .LBB18_25
; %bb.26:
	s_or_b32 exec_lo, exec_lo, s0
.LBB18_27:
	s_delay_alu instid0(SALU_CYCLE_1)
	s_or_b32 exec_lo, exec_lo, s4
	v_mov_b32_e32 v51, 0
	ds_load_b64 v[51:52], v51 offset:120
	s_waitcnt lgkmcnt(0)
	v_mul_f64 v[39:40], v[39:40], v[51:52]
	scratch_store_b64 off, v[39:40], off offset:120
.LBB18_28:
	s_or_b32 exec_lo, exec_lo, s3
	scratch_load_b64 v[39:40], off, off offset:112
	v_cmp_lt_u32_e64 s0, 14, v0
	s_waitcnt vmcnt(0)
	ds_store_b64 v42, v[39:40]
	s_waitcnt lgkmcnt(0)
	s_waitcnt_vscnt null, 0x0
	s_barrier
	buffer_gl0_inv
	s_and_saveexec_b32 s3, s0
	s_cbranch_execz .LBB18_38
; %bb.29:
	s_and_not1_b32 vcc_lo, exec_lo, s2
	s_cbranch_vccnz .LBB18_31
; %bb.30:
	scratch_load_b64 v[39:40], v43, off
	ds_load_b64 v[51:52], v42
	s_waitcnt vmcnt(0) lgkmcnt(0)
	v_mul_f64 v[39:40], v[39:40], v[51:52]
	s_cbranch_execz .LBB18_32
	s_branch .LBB18_33
.LBB18_31:
                                        ; implicit-def: $vgpr39_vgpr40
.LBB18_32:
	ds_load_b64 v[39:40], v42
.LBB18_33:
	s_and_saveexec_b32 s4, s1
	s_cbranch_execz .LBB18_37
; %bb.34:
	v_dual_mov_b32 v51, 0 :: v_dual_add_nc_u32 v52, -15, v0
	s_movk_i32 s5, 0x118
	s_mov_b32 s1, 0
	s_delay_alu instid0(VALU_DEP_1)
	v_add_nc_u32_e32 v51, 0x78, v51
.LBB18_35:                              ; =>This Inner Loop Header: Depth=1
	scratch_load_b64 v[53:54], v51, off
	v_dual_mov_b32 v55, s5 :: v_dual_add_nc_u32 v52, -1, v52
	v_add_nc_u32_e32 v51, 8, v51
	s_add_i32 s5, s5, 8
	ds_load_b64 v[55:56], v55
	v_cmp_eq_u32_e32 vcc_lo, 0, v52
	s_or_b32 s1, vcc_lo, s1
	s_waitcnt vmcnt(0) lgkmcnt(0)
	v_fma_f64 v[39:40], v[53:54], v[55:56], v[39:40]
	s_and_not1_b32 exec_lo, exec_lo, s1
	s_cbranch_execnz .LBB18_35
; %bb.36:
	s_or_b32 exec_lo, exec_lo, s1
.LBB18_37:
	s_delay_alu instid0(SALU_CYCLE_1)
	s_or_b32 exec_lo, exec_lo, s4
	v_mov_b32_e32 v51, 0
	ds_load_b64 v[51:52], v51 offset:112
	s_waitcnt lgkmcnt(0)
	v_mul_f64 v[39:40], v[39:40], v[51:52]
	scratch_store_b64 off, v[39:40], off offset:112
.LBB18_38:
	s_or_b32 exec_lo, exec_lo, s3
	scratch_load_b64 v[39:40], off, off offset:104
	v_cmp_lt_u32_e64 s1, 13, v0
	s_waitcnt vmcnt(0)
	ds_store_b64 v42, v[39:40]
	s_waitcnt lgkmcnt(0)
	s_waitcnt_vscnt null, 0x0
	s_barrier
	buffer_gl0_inv
	s_and_saveexec_b32 s3, s1
	s_cbranch_execz .LBB18_48
; %bb.39:
	s_and_not1_b32 vcc_lo, exec_lo, s2
	s_cbranch_vccnz .LBB18_41
; %bb.40:
	scratch_load_b64 v[39:40], v43, off
	ds_load_b64 v[51:52], v42
	s_waitcnt vmcnt(0) lgkmcnt(0)
	v_mul_f64 v[39:40], v[39:40], v[51:52]
	s_cbranch_execz .LBB18_42
	s_branch .LBB18_43
.LBB18_41:
                                        ; implicit-def: $vgpr39_vgpr40
.LBB18_42:
	ds_load_b64 v[39:40], v42
.LBB18_43:
	s_and_saveexec_b32 s4, s0
	s_cbranch_execz .LBB18_47
; %bb.44:
	v_add_nc_u32_e32 v51, -14, v0
	s_movk_i32 s5, 0x110
	s_mov_b32 s0, 0
.LBB18_45:                              ; =>This Inner Loop Header: Depth=1
	scratch_load_b64 v[52:53], v50, off
	v_dual_mov_b32 v54, s5 :: v_dual_add_nc_u32 v51, -1, v51
	v_add_nc_u32_e32 v50, 8, v50
	s_add_i32 s5, s5, 8
	ds_load_b64 v[54:55], v54
	v_cmp_eq_u32_e32 vcc_lo, 0, v51
	s_or_b32 s0, vcc_lo, s0
	s_waitcnt vmcnt(0) lgkmcnt(0)
	v_fma_f64 v[39:40], v[52:53], v[54:55], v[39:40]
	s_and_not1_b32 exec_lo, exec_lo, s0
	s_cbranch_execnz .LBB18_45
; %bb.46:
	s_or_b32 exec_lo, exec_lo, s0
.LBB18_47:
	s_delay_alu instid0(SALU_CYCLE_1)
	s_or_b32 exec_lo, exec_lo, s4
	v_mov_b32_e32 v50, 0
	ds_load_b64 v[50:51], v50 offset:104
	s_waitcnt lgkmcnt(0)
	v_mul_f64 v[39:40], v[39:40], v[50:51]
	scratch_store_b64 off, v[39:40], off offset:104
.LBB18_48:
	s_or_b32 exec_lo, exec_lo, s3
	scratch_load_b64 v[39:40], off, off offset:96
	v_cmp_lt_u32_e64 s0, 12, v0
	s_waitcnt vmcnt(0)
	ds_store_b64 v42, v[39:40]
	s_waitcnt lgkmcnt(0)
	s_waitcnt_vscnt null, 0x0
	s_barrier
	buffer_gl0_inv
	s_and_saveexec_b32 s3, s0
	s_cbranch_execz .LBB18_58
; %bb.49:
	s_and_not1_b32 vcc_lo, exec_lo, s2
	s_cbranch_vccnz .LBB18_51
; %bb.50:
	scratch_load_b64 v[39:40], v43, off
	ds_load_b64 v[50:51], v42
	s_waitcnt vmcnt(0) lgkmcnt(0)
	v_mul_f64 v[39:40], v[39:40], v[50:51]
	s_cbranch_execz .LBB18_52
	s_branch .LBB18_53
.LBB18_51:
                                        ; implicit-def: $vgpr39_vgpr40
.LBB18_52:
	ds_load_b64 v[39:40], v42
.LBB18_53:
	s_and_saveexec_b32 s4, s1
	s_cbranch_execz .LBB18_57
; %bb.54:
	v_dual_mov_b32 v50, 0 :: v_dual_add_nc_u32 v51, -13, v0
	s_movk_i32 s5, 0x108
	s_mov_b32 s1, 0
	s_delay_alu instid0(VALU_DEP_1)
	v_add_nc_u32_e32 v50, 0x68, v50
.LBB18_55:                              ; =>This Inner Loop Header: Depth=1
	scratch_load_b64 v[52:53], v50, off
	v_dual_mov_b32 v54, s5 :: v_dual_add_nc_u32 v51, -1, v51
	v_add_nc_u32_e32 v50, 8, v50
	s_add_i32 s5, s5, 8
	ds_load_b64 v[54:55], v54
	v_cmp_eq_u32_e32 vcc_lo, 0, v51
	s_or_b32 s1, vcc_lo, s1
	s_waitcnt vmcnt(0) lgkmcnt(0)
	v_fma_f64 v[39:40], v[52:53], v[54:55], v[39:40]
	s_and_not1_b32 exec_lo, exec_lo, s1
	s_cbranch_execnz .LBB18_55
; %bb.56:
	s_or_b32 exec_lo, exec_lo, s1
.LBB18_57:
	s_delay_alu instid0(SALU_CYCLE_1)
	s_or_b32 exec_lo, exec_lo, s4
	v_mov_b32_e32 v50, 0
	ds_load_b64 v[50:51], v50 offset:96
	s_waitcnt lgkmcnt(0)
	v_mul_f64 v[39:40], v[39:40], v[50:51]
	scratch_store_b64 off, v[39:40], off offset:96
.LBB18_58:
	s_or_b32 exec_lo, exec_lo, s3
	scratch_load_b64 v[39:40], off, off offset:88
	v_cmp_lt_u32_e64 s1, 11, v0
	s_waitcnt vmcnt(0)
	ds_store_b64 v42, v[39:40]
	s_waitcnt lgkmcnt(0)
	s_waitcnt_vscnt null, 0x0
	s_barrier
	buffer_gl0_inv
	s_and_saveexec_b32 s3, s1
	s_cbranch_execz .LBB18_68
; %bb.59:
	s_and_not1_b32 vcc_lo, exec_lo, s2
	s_cbranch_vccnz .LBB18_61
; %bb.60:
	scratch_load_b64 v[39:40], v43, off
	ds_load_b64 v[50:51], v42
	s_waitcnt vmcnt(0) lgkmcnt(0)
	v_mul_f64 v[39:40], v[39:40], v[50:51]
	s_cbranch_execz .LBB18_62
	s_branch .LBB18_63
.LBB18_61:
                                        ; implicit-def: $vgpr39_vgpr40
.LBB18_62:
	ds_load_b64 v[39:40], v42
.LBB18_63:
	s_and_saveexec_b32 s4, s0
	s_cbranch_execz .LBB18_67
; %bb.64:
	v_add_nc_u32_e32 v50, -12, v0
	s_movk_i32 s5, 0x100
	s_mov_b32 s0, 0
.LBB18_65:                              ; =>This Inner Loop Header: Depth=1
	scratch_load_b64 v[51:52], v49, off
	v_dual_mov_b32 v53, s5 :: v_dual_add_nc_u32 v50, -1, v50
	v_add_nc_u32_e32 v49, 8, v49
	s_add_i32 s5, s5, 8
	ds_load_b64 v[53:54], v53
	v_cmp_eq_u32_e32 vcc_lo, 0, v50
	s_or_b32 s0, vcc_lo, s0
	s_waitcnt vmcnt(0) lgkmcnt(0)
	v_fma_f64 v[39:40], v[51:52], v[53:54], v[39:40]
	s_and_not1_b32 exec_lo, exec_lo, s0
	s_cbranch_execnz .LBB18_65
; %bb.66:
	s_or_b32 exec_lo, exec_lo, s0
.LBB18_67:
	s_delay_alu instid0(SALU_CYCLE_1)
	s_or_b32 exec_lo, exec_lo, s4
	v_mov_b32_e32 v49, 0
	ds_load_b64 v[49:50], v49 offset:88
	s_waitcnt lgkmcnt(0)
	v_mul_f64 v[39:40], v[39:40], v[49:50]
	scratch_store_b64 off, v[39:40], off offset:88
.LBB18_68:
	s_or_b32 exec_lo, exec_lo, s3
	scratch_load_b64 v[39:40], off, off offset:80
	v_cmp_lt_u32_e64 s0, 10, v0
	s_waitcnt vmcnt(0)
	ds_store_b64 v42, v[39:40]
	s_waitcnt lgkmcnt(0)
	s_waitcnt_vscnt null, 0x0
	s_barrier
	buffer_gl0_inv
	s_and_saveexec_b32 s3, s0
	s_cbranch_execz .LBB18_78
; %bb.69:
	s_and_not1_b32 vcc_lo, exec_lo, s2
	s_cbranch_vccnz .LBB18_71
; %bb.70:
	scratch_load_b64 v[39:40], v43, off
	ds_load_b64 v[49:50], v42
	s_waitcnt vmcnt(0) lgkmcnt(0)
	v_mul_f64 v[39:40], v[39:40], v[49:50]
	s_cbranch_execz .LBB18_72
	s_branch .LBB18_73
.LBB18_71:
                                        ; implicit-def: $vgpr39_vgpr40
.LBB18_72:
	ds_load_b64 v[39:40], v42
.LBB18_73:
	s_and_saveexec_b32 s4, s1
	s_cbranch_execz .LBB18_77
; %bb.74:
	v_dual_mov_b32 v49, 0 :: v_dual_add_nc_u32 v50, -11, v0
	s_movk_i32 s5, 0xf8
	s_mov_b32 s1, 0
	s_delay_alu instid0(VALU_DEP_1)
	v_add_nc_u32_e32 v49, 0x58, v49
.LBB18_75:                              ; =>This Inner Loop Header: Depth=1
	scratch_load_b64 v[51:52], v49, off
	v_dual_mov_b32 v53, s5 :: v_dual_add_nc_u32 v50, -1, v50
	v_add_nc_u32_e32 v49, 8, v49
	s_add_i32 s5, s5, 8
	ds_load_b64 v[53:54], v53
	v_cmp_eq_u32_e32 vcc_lo, 0, v50
	s_or_b32 s1, vcc_lo, s1
	s_waitcnt vmcnt(0) lgkmcnt(0)
	v_fma_f64 v[39:40], v[51:52], v[53:54], v[39:40]
	s_and_not1_b32 exec_lo, exec_lo, s1
	s_cbranch_execnz .LBB18_75
; %bb.76:
	s_or_b32 exec_lo, exec_lo, s1
.LBB18_77:
	s_delay_alu instid0(SALU_CYCLE_1)
	s_or_b32 exec_lo, exec_lo, s4
	v_mov_b32_e32 v49, 0
	ds_load_b64 v[49:50], v49 offset:80
	s_waitcnt lgkmcnt(0)
	v_mul_f64 v[39:40], v[39:40], v[49:50]
	scratch_store_b64 off, v[39:40], off offset:80
.LBB18_78:
	s_or_b32 exec_lo, exec_lo, s3
	scratch_load_b64 v[39:40], off, off offset:72
	v_cmp_lt_u32_e64 s1, 9, v0
	s_waitcnt vmcnt(0)
	ds_store_b64 v42, v[39:40]
	s_waitcnt lgkmcnt(0)
	s_waitcnt_vscnt null, 0x0
	s_barrier
	buffer_gl0_inv
	s_and_saveexec_b32 s3, s1
	s_cbranch_execz .LBB18_88
; %bb.79:
	s_and_not1_b32 vcc_lo, exec_lo, s2
	s_cbranch_vccnz .LBB18_81
; %bb.80:
	scratch_load_b64 v[39:40], v43, off
	ds_load_b64 v[49:50], v42
	s_waitcnt vmcnt(0) lgkmcnt(0)
	v_mul_f64 v[39:40], v[39:40], v[49:50]
	s_cbranch_execz .LBB18_82
	s_branch .LBB18_83
.LBB18_81:
                                        ; implicit-def: $vgpr39_vgpr40
.LBB18_82:
	ds_load_b64 v[39:40], v42
.LBB18_83:
	s_and_saveexec_b32 s4, s0
	s_cbranch_execz .LBB18_87
; %bb.84:
	v_add_nc_u32_e32 v49, -10, v0
	s_movk_i32 s5, 0xf0
	s_mov_b32 s0, 0
.LBB18_85:                              ; =>This Inner Loop Header: Depth=1
	scratch_load_b64 v[50:51], v48, off
	v_dual_mov_b32 v52, s5 :: v_dual_add_nc_u32 v49, -1, v49
	v_add_nc_u32_e32 v48, 8, v48
	s_add_i32 s5, s5, 8
	ds_load_b64 v[52:53], v52
	v_cmp_eq_u32_e32 vcc_lo, 0, v49
	s_or_b32 s0, vcc_lo, s0
	s_waitcnt vmcnt(0) lgkmcnt(0)
	v_fma_f64 v[39:40], v[50:51], v[52:53], v[39:40]
	s_and_not1_b32 exec_lo, exec_lo, s0
	s_cbranch_execnz .LBB18_85
; %bb.86:
	s_or_b32 exec_lo, exec_lo, s0
.LBB18_87:
	s_delay_alu instid0(SALU_CYCLE_1)
	s_or_b32 exec_lo, exec_lo, s4
	v_mov_b32_e32 v48, 0
	ds_load_b64 v[48:49], v48 offset:72
	s_waitcnt lgkmcnt(0)
	v_mul_f64 v[39:40], v[39:40], v[48:49]
	scratch_store_b64 off, v[39:40], off offset:72
.LBB18_88:
	s_or_b32 exec_lo, exec_lo, s3
	scratch_load_b64 v[39:40], off, off offset:64
	v_cmp_lt_u32_e64 s0, 8, v0
	s_waitcnt vmcnt(0)
	ds_store_b64 v42, v[39:40]
	s_waitcnt lgkmcnt(0)
	s_waitcnt_vscnt null, 0x0
	s_barrier
	buffer_gl0_inv
	s_and_saveexec_b32 s3, s0
	s_cbranch_execz .LBB18_98
; %bb.89:
	s_and_not1_b32 vcc_lo, exec_lo, s2
	s_cbranch_vccnz .LBB18_91
; %bb.90:
	scratch_load_b64 v[39:40], v43, off
	ds_load_b64 v[48:49], v42
	s_waitcnt vmcnt(0) lgkmcnt(0)
	v_mul_f64 v[39:40], v[39:40], v[48:49]
	s_cbranch_execz .LBB18_92
	s_branch .LBB18_93
.LBB18_91:
                                        ; implicit-def: $vgpr39_vgpr40
.LBB18_92:
	ds_load_b64 v[39:40], v42
.LBB18_93:
	s_and_saveexec_b32 s4, s1
	s_cbranch_execz .LBB18_97
; %bb.94:
	v_dual_mov_b32 v48, 0 :: v_dual_add_nc_u32 v49, -9, v0
	s_movk_i32 s5, 0xe8
	s_mov_b32 s1, 0
	s_delay_alu instid0(VALU_DEP_1)
	v_add_nc_u32_e32 v48, 0x48, v48
.LBB18_95:                              ; =>This Inner Loop Header: Depth=1
	scratch_load_b64 v[50:51], v48, off
	v_dual_mov_b32 v52, s5 :: v_dual_add_nc_u32 v49, -1, v49
	v_add_nc_u32_e32 v48, 8, v48
	s_add_i32 s5, s5, 8
	ds_load_b64 v[52:53], v52
	v_cmp_eq_u32_e32 vcc_lo, 0, v49
	s_or_b32 s1, vcc_lo, s1
	s_waitcnt vmcnt(0) lgkmcnt(0)
	v_fma_f64 v[39:40], v[50:51], v[52:53], v[39:40]
	s_and_not1_b32 exec_lo, exec_lo, s1
	s_cbranch_execnz .LBB18_95
; %bb.96:
	s_or_b32 exec_lo, exec_lo, s1
.LBB18_97:
	s_delay_alu instid0(SALU_CYCLE_1)
	s_or_b32 exec_lo, exec_lo, s4
	v_mov_b32_e32 v48, 0
	ds_load_b64 v[48:49], v48 offset:64
	s_waitcnt lgkmcnt(0)
	v_mul_f64 v[39:40], v[39:40], v[48:49]
	scratch_store_b64 off, v[39:40], off offset:64
.LBB18_98:
	s_or_b32 exec_lo, exec_lo, s3
	scratch_load_b64 v[39:40], off, off offset:56
	v_cmp_lt_u32_e64 s1, 7, v0
	s_waitcnt vmcnt(0)
	ds_store_b64 v42, v[39:40]
	s_waitcnt lgkmcnt(0)
	s_waitcnt_vscnt null, 0x0
	s_barrier
	buffer_gl0_inv
	s_and_saveexec_b32 s3, s1
	s_cbranch_execz .LBB18_108
; %bb.99:
	s_and_not1_b32 vcc_lo, exec_lo, s2
	s_cbranch_vccnz .LBB18_101
; %bb.100:
	scratch_load_b64 v[39:40], v43, off
	ds_load_b64 v[48:49], v42
	s_waitcnt vmcnt(0) lgkmcnt(0)
	v_mul_f64 v[39:40], v[39:40], v[48:49]
	s_cbranch_execz .LBB18_102
	s_branch .LBB18_103
.LBB18_101:
                                        ; implicit-def: $vgpr39_vgpr40
.LBB18_102:
	ds_load_b64 v[39:40], v42
.LBB18_103:
	s_and_saveexec_b32 s4, s0
	s_cbranch_execz .LBB18_107
; %bb.104:
	v_add_nc_u32_e32 v48, -8, v0
	s_movk_i32 s5, 0xe0
	s_mov_b32 s0, 0
.LBB18_105:                             ; =>This Inner Loop Header: Depth=1
	scratch_load_b64 v[49:50], v47, off
	v_dual_mov_b32 v51, s5 :: v_dual_add_nc_u32 v48, -1, v48
	v_add_nc_u32_e32 v47, 8, v47
	s_add_i32 s5, s5, 8
	ds_load_b64 v[51:52], v51
	v_cmp_eq_u32_e32 vcc_lo, 0, v48
	s_or_b32 s0, vcc_lo, s0
	s_waitcnt vmcnt(0) lgkmcnt(0)
	v_fma_f64 v[39:40], v[49:50], v[51:52], v[39:40]
	s_and_not1_b32 exec_lo, exec_lo, s0
	s_cbranch_execnz .LBB18_105
; %bb.106:
	s_or_b32 exec_lo, exec_lo, s0
.LBB18_107:
	s_delay_alu instid0(SALU_CYCLE_1)
	s_or_b32 exec_lo, exec_lo, s4
	v_mov_b32_e32 v47, 0
	ds_load_b64 v[47:48], v47 offset:56
	s_waitcnt lgkmcnt(0)
	v_mul_f64 v[39:40], v[39:40], v[47:48]
	scratch_store_b64 off, v[39:40], off offset:56
.LBB18_108:
	s_or_b32 exec_lo, exec_lo, s3
	scratch_load_b64 v[39:40], off, off offset:48
	v_cmp_lt_u32_e64 s0, 6, v0
	s_waitcnt vmcnt(0)
	ds_store_b64 v42, v[39:40]
	s_waitcnt lgkmcnt(0)
	s_waitcnt_vscnt null, 0x0
	s_barrier
	buffer_gl0_inv
	s_and_saveexec_b32 s3, s0
	s_cbranch_execz .LBB18_118
; %bb.109:
	s_and_not1_b32 vcc_lo, exec_lo, s2
	s_cbranch_vccnz .LBB18_111
; %bb.110:
	scratch_load_b64 v[39:40], v43, off
	ds_load_b64 v[47:48], v42
	s_waitcnt vmcnt(0) lgkmcnt(0)
	v_mul_f64 v[39:40], v[39:40], v[47:48]
	s_cbranch_execz .LBB18_112
	s_branch .LBB18_113
.LBB18_111:
                                        ; implicit-def: $vgpr39_vgpr40
.LBB18_112:
	ds_load_b64 v[39:40], v42
.LBB18_113:
	s_and_saveexec_b32 s4, s1
	s_cbranch_execz .LBB18_117
; %bb.114:
	v_add_nc_u32_e64 v47, 0, 56
	v_add_nc_u32_e32 v48, -7, v0
	s_movk_i32 s5, 0xd8
	s_mov_b32 s1, 0
.LBB18_115:                             ; =>This Inner Loop Header: Depth=1
	scratch_load_b64 v[49:50], v47, off
	v_dual_mov_b32 v51, s5 :: v_dual_add_nc_u32 v48, -1, v48
	v_add_nc_u32_e32 v47, 8, v47
	s_add_i32 s5, s5, 8
	ds_load_b64 v[51:52], v51
	v_cmp_eq_u32_e32 vcc_lo, 0, v48
	s_or_b32 s1, vcc_lo, s1
	s_waitcnt vmcnt(0) lgkmcnt(0)
	v_fma_f64 v[39:40], v[49:50], v[51:52], v[39:40]
	s_and_not1_b32 exec_lo, exec_lo, s1
	s_cbranch_execnz .LBB18_115
; %bb.116:
	s_or_b32 exec_lo, exec_lo, s1
.LBB18_117:
	s_delay_alu instid0(SALU_CYCLE_1)
	s_or_b32 exec_lo, exec_lo, s4
	v_mov_b32_e32 v47, 0
	ds_load_b64 v[47:48], v47 offset:48
	s_waitcnt lgkmcnt(0)
	v_mul_f64 v[39:40], v[39:40], v[47:48]
	scratch_store_b64 off, v[39:40], off offset:48
.LBB18_118:
	s_or_b32 exec_lo, exec_lo, s3
	scratch_load_b64 v[39:40], off, off offset:40
	v_cmp_lt_u32_e64 s1, 5, v0
	s_waitcnt vmcnt(0)
	ds_store_b64 v42, v[39:40]
	s_waitcnt lgkmcnt(0)
	s_waitcnt_vscnt null, 0x0
	s_barrier
	buffer_gl0_inv
	s_and_saveexec_b32 s3, s1
	s_cbranch_execz .LBB18_128
; %bb.119:
	s_and_not1_b32 vcc_lo, exec_lo, s2
	s_cbranch_vccnz .LBB18_121
; %bb.120:
	scratch_load_b64 v[39:40], v43, off
	ds_load_b64 v[47:48], v42
	s_waitcnt vmcnt(0) lgkmcnt(0)
	v_mul_f64 v[39:40], v[39:40], v[47:48]
	s_cbranch_execz .LBB18_122
	s_branch .LBB18_123
.LBB18_121:
                                        ; implicit-def: $vgpr39_vgpr40
.LBB18_122:
	ds_load_b64 v[39:40], v42
.LBB18_123:
	s_and_saveexec_b32 s4, s0
	s_cbranch_execz .LBB18_127
; %bb.124:
	v_add_nc_u32_e32 v47, -6, v0
	s_movk_i32 s5, 0xd0
	s_mov_b32 s0, 0
.LBB18_125:                             ; =>This Inner Loop Header: Depth=1
	scratch_load_b64 v[48:49], v46, off
	v_dual_mov_b32 v50, s5 :: v_dual_add_nc_u32 v47, -1, v47
	v_add_nc_u32_e32 v46, 8, v46
	s_add_i32 s5, s5, 8
	ds_load_b64 v[50:51], v50
	v_cmp_eq_u32_e32 vcc_lo, 0, v47
	s_or_b32 s0, vcc_lo, s0
	s_waitcnt vmcnt(0) lgkmcnt(0)
	v_fma_f64 v[39:40], v[48:49], v[50:51], v[39:40]
	s_and_not1_b32 exec_lo, exec_lo, s0
	s_cbranch_execnz .LBB18_125
; %bb.126:
	s_or_b32 exec_lo, exec_lo, s0
.LBB18_127:
	s_delay_alu instid0(SALU_CYCLE_1)
	s_or_b32 exec_lo, exec_lo, s4
	v_mov_b32_e32 v46, 0
	ds_load_b64 v[46:47], v46 offset:40
	s_waitcnt lgkmcnt(0)
	v_mul_f64 v[39:40], v[39:40], v[46:47]
	scratch_store_b64 off, v[39:40], off offset:40
.LBB18_128:
	s_or_b32 exec_lo, exec_lo, s3
	scratch_load_b64 v[39:40], off, off offset:32
	v_cmp_lt_u32_e64 s0, 4, v0
	s_waitcnt vmcnt(0)
	ds_store_b64 v42, v[39:40]
	s_waitcnt lgkmcnt(0)
	s_waitcnt_vscnt null, 0x0
	s_barrier
	buffer_gl0_inv
	s_and_saveexec_b32 s3, s0
	s_cbranch_execz .LBB18_138
; %bb.129:
	s_and_not1_b32 vcc_lo, exec_lo, s2
	s_cbranch_vccnz .LBB18_131
; %bb.130:
	scratch_load_b64 v[39:40], v43, off
	ds_load_b64 v[46:47], v42
	s_waitcnt vmcnt(0) lgkmcnt(0)
	v_mul_f64 v[39:40], v[39:40], v[46:47]
	s_cbranch_execz .LBB18_132
	s_branch .LBB18_133
.LBB18_131:
                                        ; implicit-def: $vgpr39_vgpr40
.LBB18_132:
	ds_load_b64 v[39:40], v42
.LBB18_133:
	s_and_saveexec_b32 s4, s1
	s_cbranch_execz .LBB18_137
; %bb.134:
	v_add_nc_u32_e64 v46, 0, 40
	v_add_nc_u32_e32 v47, -5, v0
	s_movk_i32 s5, 0xc8
	s_mov_b32 s1, 0
.LBB18_135:                             ; =>This Inner Loop Header: Depth=1
	scratch_load_b64 v[48:49], v46, off
	v_dual_mov_b32 v50, s5 :: v_dual_add_nc_u32 v47, -1, v47
	v_add_nc_u32_e32 v46, 8, v46
	s_add_i32 s5, s5, 8
	ds_load_b64 v[50:51], v50
	v_cmp_eq_u32_e32 vcc_lo, 0, v47
	s_or_b32 s1, vcc_lo, s1
	s_waitcnt vmcnt(0) lgkmcnt(0)
	v_fma_f64 v[39:40], v[48:49], v[50:51], v[39:40]
	s_and_not1_b32 exec_lo, exec_lo, s1
	s_cbranch_execnz .LBB18_135
; %bb.136:
	s_or_b32 exec_lo, exec_lo, s1
.LBB18_137:
	s_delay_alu instid0(SALU_CYCLE_1)
	s_or_b32 exec_lo, exec_lo, s4
	v_mov_b32_e32 v46, 0
	ds_load_b64 v[46:47], v46 offset:32
	s_waitcnt lgkmcnt(0)
	v_mul_f64 v[39:40], v[39:40], v[46:47]
	scratch_store_b64 off, v[39:40], off offset:32
.LBB18_138:
	s_or_b32 exec_lo, exec_lo, s3
	scratch_load_b64 v[39:40], off, off offset:24
	v_cmp_lt_u32_e64 s1, 3, v0
	s_waitcnt vmcnt(0)
	ds_store_b64 v42, v[39:40]
	s_waitcnt lgkmcnt(0)
	s_waitcnt_vscnt null, 0x0
	s_barrier
	buffer_gl0_inv
	s_and_saveexec_b32 s3, s1
	s_cbranch_execz .LBB18_148
; %bb.139:
	s_and_not1_b32 vcc_lo, exec_lo, s2
	s_cbranch_vccnz .LBB18_141
; %bb.140:
	scratch_load_b64 v[39:40], v43, off
	ds_load_b64 v[46:47], v42
	s_waitcnt vmcnt(0) lgkmcnt(0)
	v_mul_f64 v[39:40], v[39:40], v[46:47]
	s_cbranch_execz .LBB18_142
	s_branch .LBB18_143
.LBB18_141:
                                        ; implicit-def: $vgpr39_vgpr40
.LBB18_142:
	ds_load_b64 v[39:40], v42
.LBB18_143:
	s_and_saveexec_b32 s4, s0
	s_cbranch_execz .LBB18_147
; %bb.144:
	v_add_nc_u32_e32 v46, -4, v0
	s_movk_i32 s5, 0xc0
	s_mov_b32 s0, 0
.LBB18_145:                             ; =>This Inner Loop Header: Depth=1
	scratch_load_b64 v[47:48], v45, off
	v_dual_mov_b32 v49, s5 :: v_dual_add_nc_u32 v46, -1, v46
	v_add_nc_u32_e32 v45, 8, v45
	s_add_i32 s5, s5, 8
	ds_load_b64 v[49:50], v49
	v_cmp_eq_u32_e32 vcc_lo, 0, v46
	s_or_b32 s0, vcc_lo, s0
	s_waitcnt vmcnt(0) lgkmcnt(0)
	v_fma_f64 v[39:40], v[47:48], v[49:50], v[39:40]
	s_and_not1_b32 exec_lo, exec_lo, s0
	s_cbranch_execnz .LBB18_145
; %bb.146:
	s_or_b32 exec_lo, exec_lo, s0
.LBB18_147:
	s_delay_alu instid0(SALU_CYCLE_1)
	s_or_b32 exec_lo, exec_lo, s4
	v_mov_b32_e32 v45, 0
	ds_load_b64 v[45:46], v45 offset:24
	s_waitcnt lgkmcnt(0)
	v_mul_f64 v[39:40], v[39:40], v[45:46]
	scratch_store_b64 off, v[39:40], off offset:24
.LBB18_148:
	s_or_b32 exec_lo, exec_lo, s3
	scratch_load_b64 v[39:40], off, off offset:16
	v_cmp_lt_u32_e64 s0, 2, v0
	s_waitcnt vmcnt(0)
	ds_store_b64 v42, v[39:40]
	s_waitcnt lgkmcnt(0)
	s_waitcnt_vscnt null, 0x0
	s_barrier
	buffer_gl0_inv
	s_and_saveexec_b32 s3, s0
	s_cbranch_execz .LBB18_158
; %bb.149:
	s_and_not1_b32 vcc_lo, exec_lo, s2
	s_cbranch_vccnz .LBB18_151
; %bb.150:
	scratch_load_b64 v[39:40], v43, off
	ds_load_b64 v[45:46], v42
	s_waitcnt vmcnt(0) lgkmcnt(0)
	v_mul_f64 v[39:40], v[39:40], v[45:46]
	s_cbranch_execz .LBB18_152
	s_branch .LBB18_153
.LBB18_151:
                                        ; implicit-def: $vgpr39_vgpr40
.LBB18_152:
	ds_load_b64 v[39:40], v42
.LBB18_153:
	s_and_saveexec_b32 s4, s1
	s_cbranch_execz .LBB18_157
; %bb.154:
	v_add_nc_u32_e64 v45, 0, 24
	v_add_nc_u32_e32 v46, -3, v0
	s_movk_i32 s5, 0xb8
	s_mov_b32 s1, 0
.LBB18_155:                             ; =>This Inner Loop Header: Depth=1
	scratch_load_b64 v[47:48], v45, off
	v_dual_mov_b32 v49, s5 :: v_dual_add_nc_u32 v46, -1, v46
	v_add_nc_u32_e32 v45, 8, v45
	s_add_i32 s5, s5, 8
	ds_load_b64 v[49:50], v49
	v_cmp_eq_u32_e32 vcc_lo, 0, v46
	s_or_b32 s1, vcc_lo, s1
	s_waitcnt vmcnt(0) lgkmcnt(0)
	v_fma_f64 v[39:40], v[47:48], v[49:50], v[39:40]
	s_and_not1_b32 exec_lo, exec_lo, s1
	s_cbranch_execnz .LBB18_155
; %bb.156:
	s_or_b32 exec_lo, exec_lo, s1
.LBB18_157:
	s_delay_alu instid0(SALU_CYCLE_1)
	s_or_b32 exec_lo, exec_lo, s4
	v_mov_b32_e32 v45, 0
	ds_load_b64 v[45:46], v45 offset:16
	s_waitcnt lgkmcnt(0)
	v_mul_f64 v[39:40], v[39:40], v[45:46]
	scratch_store_b64 off, v[39:40], off offset:16
.LBB18_158:
	s_or_b32 exec_lo, exec_lo, s3
	scratch_load_b64 v[39:40], off, off offset:8
	v_cmp_lt_u32_e64 s1, 1, v0
	s_waitcnt vmcnt(0)
	ds_store_b64 v42, v[39:40]
	s_waitcnt lgkmcnt(0)
	s_waitcnt_vscnt null, 0x0
	s_barrier
	buffer_gl0_inv
	s_and_saveexec_b32 s3, s1
	s_cbranch_execz .LBB18_168
; %bb.159:
	s_and_not1_b32 vcc_lo, exec_lo, s2
	s_cbranch_vccnz .LBB18_161
; %bb.160:
	scratch_load_b64 v[39:40], v43, off
	ds_load_b64 v[45:46], v42
	s_waitcnt vmcnt(0) lgkmcnt(0)
	v_mul_f64 v[39:40], v[39:40], v[45:46]
	s_cbranch_execz .LBB18_162
	s_branch .LBB18_163
.LBB18_161:
                                        ; implicit-def: $vgpr39_vgpr40
.LBB18_162:
	ds_load_b64 v[39:40], v42
.LBB18_163:
	s_and_saveexec_b32 s4, s0
	s_cbranch_execz .LBB18_167
; %bb.164:
	v_add_nc_u32_e32 v45, -2, v0
	s_movk_i32 s5, 0xb0
	s_mov_b32 s0, 0
.LBB18_165:                             ; =>This Inner Loop Header: Depth=1
	scratch_load_b64 v[46:47], v44, off
	v_dual_mov_b32 v48, s5 :: v_dual_add_nc_u32 v45, -1, v45
	v_add_nc_u32_e32 v44, 8, v44
	s_add_i32 s5, s5, 8
	ds_load_b64 v[48:49], v48
	v_cmp_eq_u32_e32 vcc_lo, 0, v45
	s_or_b32 s0, vcc_lo, s0
	s_waitcnt vmcnt(0) lgkmcnt(0)
	v_fma_f64 v[39:40], v[46:47], v[48:49], v[39:40]
	s_and_not1_b32 exec_lo, exec_lo, s0
	s_cbranch_execnz .LBB18_165
; %bb.166:
	s_or_b32 exec_lo, exec_lo, s0
.LBB18_167:
	s_delay_alu instid0(SALU_CYCLE_1)
	s_or_b32 exec_lo, exec_lo, s4
	v_mov_b32_e32 v44, 0
	ds_load_b64 v[44:45], v44 offset:8
	s_waitcnt lgkmcnt(0)
	v_mul_f64 v[39:40], v[39:40], v[44:45]
	scratch_store_b64 off, v[39:40], off offset:8
.LBB18_168:
	s_or_b32 exec_lo, exec_lo, s3
	scratch_load_b64 v[39:40], off, off
	s_mov_b32 s0, 0
	s_mov_b32 s3, exec_lo
	s_waitcnt vmcnt(0)
	ds_store_b64 v42, v[39:40]
	s_waitcnt lgkmcnt(0)
	s_waitcnt_vscnt null, 0x0
	s_barrier
	buffer_gl0_inv
	v_cmpx_ne_u32_e32 0, v0
	s_cbranch_execz .LBB18_178
; %bb.169:
	s_and_not1_b32 vcc_lo, exec_lo, s2
	s_cbranch_vccnz .LBB18_171
; %bb.170:
	scratch_load_b64 v[39:40], v43, off
	ds_load_b64 v[44:45], v42
	s_waitcnt vmcnt(0) lgkmcnt(0)
	v_mul_f64 v[39:40], v[39:40], v[44:45]
	s_cbranch_execz .LBB18_172
	s_branch .LBB18_173
.LBB18_171:
                                        ; implicit-def: $vgpr39_vgpr40
.LBB18_172:
	ds_load_b64 v[39:40], v42
.LBB18_173:
	s_and_saveexec_b32 s4, s1
	s_cbranch_execz .LBB18_177
; %bb.174:
	v_or_b32_e64 v44, 0, 8
	v_add_nc_u32_e32 v45, -1, v0
	s_movk_i32 s5, 0xa8
	s_mov_b32 s1, 0
.LBB18_175:                             ; =>This Inner Loop Header: Depth=1
	scratch_load_b64 v[46:47], v44, off
	v_dual_mov_b32 v48, s5 :: v_dual_add_nc_u32 v45, -1, v45
	v_add_nc_u32_e32 v44, 8, v44
	s_add_i32 s5, s5, 8
	ds_load_b64 v[48:49], v48
	v_cmp_eq_u32_e32 vcc_lo, 0, v45
	s_or_b32 s1, vcc_lo, s1
	s_waitcnt vmcnt(0) lgkmcnt(0)
	v_fma_f64 v[39:40], v[46:47], v[48:49], v[39:40]
	s_and_not1_b32 exec_lo, exec_lo, s1
	s_cbranch_execnz .LBB18_175
; %bb.176:
	s_or_b32 exec_lo, exec_lo, s1
.LBB18_177:
	s_delay_alu instid0(SALU_CYCLE_1)
	s_or_b32 exec_lo, exec_lo, s4
	v_mov_b32_e32 v44, 0
	ds_load_b64 v[44:45], v44
	s_waitcnt lgkmcnt(0)
	v_mul_f64 v[39:40], v[39:40], v[44:45]
	scratch_store_b64 off, v[39:40], off
.LBB18_178:
	s_or_b32 exec_lo, exec_lo, s3
.LBB18_179:
	s_delay_alu instid0(SALU_CYCLE_1)
	s_and_b32 vcc_lo, exec_lo, s0
	s_cbranch_vccz .LBB18_355
; %bb.180:
	scratch_load_b64 v[39:40], off, off offset:8
	v_cmp_eq_u32_e64 s0, 0, v0
	s_waitcnt vmcnt(0)
	ds_store_b64 v42, v[39:40]
	s_waitcnt lgkmcnt(0)
	s_waitcnt_vscnt null, 0x0
	s_barrier
	buffer_gl0_inv
	s_and_saveexec_b32 s1, s0
	s_cbranch_execz .LBB18_186
; %bb.181:
	s_and_b32 vcc_lo, exec_lo, s2
	s_cbranch_vccz .LBB18_183
; %bb.182:
	scratch_load_b64 v[39:40], v43, off
	ds_load_b64 v[44:45], v42
	s_waitcnt vmcnt(0) lgkmcnt(0)
	v_mul_f64 v[39:40], v[39:40], v[44:45]
	s_cbranch_execz .LBB18_184
	s_branch .LBB18_185
.LBB18_183:
                                        ; implicit-def: $vgpr39_vgpr40
.LBB18_184:
	ds_load_b64 v[39:40], v42
.LBB18_185:
	v_mov_b32_e32 v44, 0
	ds_load_b64 v[44:45], v44 offset:8
	s_waitcnt lgkmcnt(0)
	v_mul_f64 v[39:40], v[39:40], v[44:45]
	scratch_store_b64 off, v[39:40], off offset:8
.LBB18_186:
	s_or_b32 exec_lo, exec_lo, s1
	scratch_load_b64 v[39:40], off, off offset:16
	v_cndmask_b32_e64 v44, 0, 1, s2
	s_mov_b32 s1, exec_lo
	s_waitcnt vmcnt(0)
	ds_store_b64 v42, v[39:40]
	s_waitcnt lgkmcnt(0)
	s_waitcnt_vscnt null, 0x0
	s_barrier
	buffer_gl0_inv
	v_cmpx_gt_u32_e32 2, v0
	s_cbranch_execz .LBB18_194
; %bb.187:
	s_and_not1_b32 vcc_lo, exec_lo, s2
	s_cbranch_vccnz .LBB18_189
; %bb.188:
	scratch_load_b64 v[39:40], v43, off
	ds_load_b64 v[45:46], v42
	s_waitcnt vmcnt(0) lgkmcnt(0)
	v_mul_f64 v[39:40], v[39:40], v[45:46]
	s_cbranch_execz .LBB18_190
	s_branch .LBB18_191
.LBB18_189:
                                        ; implicit-def: $vgpr39_vgpr40
.LBB18_190:
	ds_load_b64 v[39:40], v42
.LBB18_191:
	s_and_saveexec_b32 s2, s0
	s_cbranch_execz .LBB18_193
; %bb.192:
	scratch_load_b64 v[45:46], v43, off offset:8
	ds_load_b64 v[47:48], v42 offset:8
	s_waitcnt vmcnt(0) lgkmcnt(0)
	v_fma_f64 v[39:40], v[45:46], v[47:48], v[39:40]
.LBB18_193:
	s_or_b32 exec_lo, exec_lo, s2
	v_mov_b32_e32 v45, 0
	ds_load_b64 v[45:46], v45 offset:16
	s_waitcnt lgkmcnt(0)
	v_mul_f64 v[39:40], v[39:40], v[45:46]
	scratch_store_b64 off, v[39:40], off offset:16
.LBB18_194:
	s_or_b32 exec_lo, exec_lo, s1
	scratch_load_b64 v[39:40], off, off offset:24
	s_mov_b32 s1, exec_lo
	s_waitcnt vmcnt(0)
	ds_store_b64 v42, v[39:40]
	s_waitcnt lgkmcnt(0)
	s_waitcnt_vscnt null, 0x0
	s_barrier
	buffer_gl0_inv
	v_cmpx_gt_u32_e32 3, v0
	s_cbranch_execz .LBB18_204
; %bb.195:
	v_cmp_ne_u32_e32 vcc_lo, 1, v44
	s_cbranch_vccnz .LBB18_197
; %bb.196:
	scratch_load_b64 v[39:40], v43, off
	ds_load_b64 v[45:46], v42
	s_waitcnt vmcnt(0) lgkmcnt(0)
	v_mul_f64 v[39:40], v[39:40], v[45:46]
	s_cbranch_execz .LBB18_198
	s_branch .LBB18_199
.LBB18_197:
                                        ; implicit-def: $vgpr39_vgpr40
.LBB18_198:
	ds_load_b64 v[39:40], v42
.LBB18_199:
	s_mov_b32 s2, exec_lo
	v_cmpx_ne_u32_e32 2, v0
	s_cbranch_execz .LBB18_203
; %bb.200:
	scratch_load_b64 v[45:46], v43, off offset:8
	ds_load_b64 v[47:48], v42 offset:8
	s_waitcnt vmcnt(0) lgkmcnt(0)
	v_fma_f64 v[39:40], v[45:46], v[47:48], v[39:40]
	s_and_saveexec_b32 s3, s0
	s_cbranch_execz .LBB18_202
; %bb.201:
	scratch_load_b64 v[45:46], off, off offset:16
	v_mov_b32_e32 v47, 0
	ds_load_b64 v[47:48], v47 offset:176
	s_waitcnt vmcnt(0) lgkmcnt(0)
	v_fma_f64 v[39:40], v[45:46], v[47:48], v[39:40]
.LBB18_202:
	s_or_b32 exec_lo, exec_lo, s3
.LBB18_203:
	s_delay_alu instid0(SALU_CYCLE_1)
	s_or_b32 exec_lo, exec_lo, s2
	v_mov_b32_e32 v45, 0
	ds_load_b64 v[45:46], v45 offset:24
	s_waitcnt lgkmcnt(0)
	v_mul_f64 v[39:40], v[39:40], v[45:46]
	scratch_store_b64 off, v[39:40], off offset:24
.LBB18_204:
	s_or_b32 exec_lo, exec_lo, s1
	scratch_load_b64 v[39:40], off, off offset:32
	s_mov_b32 s0, exec_lo
	s_waitcnt vmcnt(0)
	ds_store_b64 v42, v[39:40]
	s_waitcnt lgkmcnt(0)
	s_waitcnt_vscnt null, 0x0
	s_barrier
	buffer_gl0_inv
	v_cmpx_gt_u32_e32 4, v0
	s_cbranch_execz .LBB18_214
; %bb.205:
	v_cmp_ne_u32_e32 vcc_lo, 1, v44
	s_cbranch_vccnz .LBB18_207
; %bb.206:
	scratch_load_b64 v[39:40], v43, off
	ds_load_b64 v[45:46], v42
	s_waitcnt vmcnt(0) lgkmcnt(0)
	v_mul_f64 v[39:40], v[39:40], v[45:46]
	s_cbranch_execz .LBB18_208
	s_branch .LBB18_209
.LBB18_207:
                                        ; implicit-def: $vgpr39_vgpr40
.LBB18_208:
	ds_load_b64 v[39:40], v42
.LBB18_209:
	s_mov_b32 s1, exec_lo
	v_cmpx_ne_u32_e32 3, v0
	s_cbranch_execz .LBB18_213
; %bb.210:
	v_add_nc_u32_e32 v45, 0xa8, v41
	v_add3_u32 v46, 0, v41, 8
	v_mov_b32_e32 v47, v0
	s_mov_b32 s2, 0
.LBB18_211:                             ; =>This Inner Loop Header: Depth=1
	scratch_load_b64 v[48:49], v46, off
	ds_load_b64 v[50:51], v45
	v_add_nc_u32_e32 v47, 1, v47
	v_add_nc_u32_e32 v45, 8, v45
	v_add_nc_u32_e32 v46, 8, v46
	s_delay_alu instid0(VALU_DEP_3)
	v_cmp_lt_u32_e32 vcc_lo, 2, v47
	s_or_b32 s2, vcc_lo, s2
	s_waitcnt vmcnt(0) lgkmcnt(0)
	v_fma_f64 v[39:40], v[48:49], v[50:51], v[39:40]
	s_and_not1_b32 exec_lo, exec_lo, s2
	s_cbranch_execnz .LBB18_211
; %bb.212:
	s_or_b32 exec_lo, exec_lo, s2
.LBB18_213:
	s_delay_alu instid0(SALU_CYCLE_1)
	s_or_b32 exec_lo, exec_lo, s1
	v_mov_b32_e32 v45, 0
	ds_load_b64 v[45:46], v45 offset:32
	s_waitcnt lgkmcnt(0)
	v_mul_f64 v[39:40], v[39:40], v[45:46]
	scratch_store_b64 off, v[39:40], off offset:32
.LBB18_214:
	s_or_b32 exec_lo, exec_lo, s0
	scratch_load_b64 v[39:40], off, off offset:40
	s_mov_b32 s0, exec_lo
	s_waitcnt vmcnt(0)
	ds_store_b64 v42, v[39:40]
	s_waitcnt lgkmcnt(0)
	s_waitcnt_vscnt null, 0x0
	s_barrier
	buffer_gl0_inv
	v_cmpx_gt_u32_e32 5, v0
	s_cbranch_execz .LBB18_224
; %bb.215:
	v_cmp_ne_u32_e32 vcc_lo, 1, v44
	s_cbranch_vccnz .LBB18_217
; %bb.216:
	scratch_load_b64 v[39:40], v43, off
	ds_load_b64 v[45:46], v42
	s_waitcnt vmcnt(0) lgkmcnt(0)
	v_mul_f64 v[39:40], v[39:40], v[45:46]
	s_cbranch_execz .LBB18_218
	s_branch .LBB18_219
.LBB18_217:
                                        ; implicit-def: $vgpr39_vgpr40
.LBB18_218:
	ds_load_b64 v[39:40], v42
.LBB18_219:
	s_mov_b32 s1, exec_lo
	v_cmpx_ne_u32_e32 4, v0
	s_cbranch_execz .LBB18_223
; %bb.220:
	v_add_nc_u32_e32 v45, 0xa8, v41
	v_add3_u32 v46, 0, v41, 8
	v_mov_b32_e32 v47, v0
	s_mov_b32 s2, 0
.LBB18_221:                             ; =>This Inner Loop Header: Depth=1
	scratch_load_b64 v[48:49], v46, off
	ds_load_b64 v[50:51], v45
	v_add_nc_u32_e32 v47, 1, v47
	v_add_nc_u32_e32 v45, 8, v45
	v_add_nc_u32_e32 v46, 8, v46
	s_delay_alu instid0(VALU_DEP_3)
	v_cmp_lt_u32_e32 vcc_lo, 3, v47
	s_or_b32 s2, vcc_lo, s2
	s_waitcnt vmcnt(0) lgkmcnt(0)
	v_fma_f64 v[39:40], v[48:49], v[50:51], v[39:40]
	s_and_not1_b32 exec_lo, exec_lo, s2
	s_cbranch_execnz .LBB18_221
; %bb.222:
	s_or_b32 exec_lo, exec_lo, s2
.LBB18_223:
	s_delay_alu instid0(SALU_CYCLE_1)
	s_or_b32 exec_lo, exec_lo, s1
	v_mov_b32_e32 v45, 0
	ds_load_b64 v[45:46], v45 offset:40
	s_waitcnt lgkmcnt(0)
	v_mul_f64 v[39:40], v[39:40], v[45:46]
	scratch_store_b64 off, v[39:40], off offset:40
.LBB18_224:
	s_or_b32 exec_lo, exec_lo, s0
	scratch_load_b64 v[39:40], off, off offset:48
	s_mov_b32 s0, exec_lo
	s_waitcnt vmcnt(0)
	ds_store_b64 v42, v[39:40]
	s_waitcnt lgkmcnt(0)
	s_waitcnt_vscnt null, 0x0
	s_barrier
	buffer_gl0_inv
	v_cmpx_gt_u32_e32 6, v0
	s_cbranch_execz .LBB18_234
; %bb.225:
	v_cmp_ne_u32_e32 vcc_lo, 1, v44
	s_cbranch_vccnz .LBB18_227
; %bb.226:
	scratch_load_b64 v[39:40], v43, off
	ds_load_b64 v[45:46], v42
	s_waitcnt vmcnt(0) lgkmcnt(0)
	v_mul_f64 v[39:40], v[39:40], v[45:46]
	s_cbranch_execz .LBB18_228
	s_branch .LBB18_229
.LBB18_227:
                                        ; implicit-def: $vgpr39_vgpr40
.LBB18_228:
	ds_load_b64 v[39:40], v42
.LBB18_229:
	s_mov_b32 s1, exec_lo
	v_cmpx_ne_u32_e32 5, v0
	s_cbranch_execz .LBB18_233
; %bb.230:
	v_add_nc_u32_e32 v45, 0xa8, v41
	v_add3_u32 v46, 0, v41, 8
	v_mov_b32_e32 v47, v0
	s_mov_b32 s2, 0
.LBB18_231:                             ; =>This Inner Loop Header: Depth=1
	scratch_load_b64 v[48:49], v46, off
	ds_load_b64 v[50:51], v45
	v_add_nc_u32_e32 v47, 1, v47
	v_add_nc_u32_e32 v45, 8, v45
	v_add_nc_u32_e32 v46, 8, v46
	s_delay_alu instid0(VALU_DEP_3)
	v_cmp_lt_u32_e32 vcc_lo, 4, v47
	s_or_b32 s2, vcc_lo, s2
	s_waitcnt vmcnt(0) lgkmcnt(0)
	v_fma_f64 v[39:40], v[48:49], v[50:51], v[39:40]
	s_and_not1_b32 exec_lo, exec_lo, s2
	s_cbranch_execnz .LBB18_231
; %bb.232:
	s_or_b32 exec_lo, exec_lo, s2
.LBB18_233:
	s_delay_alu instid0(SALU_CYCLE_1)
	s_or_b32 exec_lo, exec_lo, s1
	v_mov_b32_e32 v45, 0
	ds_load_b64 v[45:46], v45 offset:48
	s_waitcnt lgkmcnt(0)
	v_mul_f64 v[39:40], v[39:40], v[45:46]
	scratch_store_b64 off, v[39:40], off offset:48
.LBB18_234:
	s_or_b32 exec_lo, exec_lo, s0
	scratch_load_b64 v[39:40], off, off offset:56
	s_mov_b32 s0, exec_lo
	s_waitcnt vmcnt(0)
	ds_store_b64 v42, v[39:40]
	s_waitcnt lgkmcnt(0)
	s_waitcnt_vscnt null, 0x0
	s_barrier
	buffer_gl0_inv
	v_cmpx_gt_u32_e32 7, v0
	s_cbranch_execz .LBB18_244
; %bb.235:
	v_cmp_ne_u32_e32 vcc_lo, 1, v44
	s_cbranch_vccnz .LBB18_237
; %bb.236:
	scratch_load_b64 v[39:40], v43, off
	ds_load_b64 v[45:46], v42
	s_waitcnt vmcnt(0) lgkmcnt(0)
	v_mul_f64 v[39:40], v[39:40], v[45:46]
	s_cbranch_execz .LBB18_238
	s_branch .LBB18_239
.LBB18_237:
                                        ; implicit-def: $vgpr39_vgpr40
.LBB18_238:
	ds_load_b64 v[39:40], v42
.LBB18_239:
	s_mov_b32 s1, exec_lo
	v_cmpx_ne_u32_e32 6, v0
	s_cbranch_execz .LBB18_243
; %bb.240:
	v_add_nc_u32_e32 v45, 0xa8, v41
	v_add3_u32 v46, 0, v41, 8
	v_mov_b32_e32 v47, v0
	s_mov_b32 s2, 0
.LBB18_241:                             ; =>This Inner Loop Header: Depth=1
	scratch_load_b64 v[48:49], v46, off
	ds_load_b64 v[50:51], v45
	v_add_nc_u32_e32 v47, 1, v47
	v_add_nc_u32_e32 v45, 8, v45
	v_add_nc_u32_e32 v46, 8, v46
	s_delay_alu instid0(VALU_DEP_3)
	v_cmp_lt_u32_e32 vcc_lo, 5, v47
	s_or_b32 s2, vcc_lo, s2
	s_waitcnt vmcnt(0) lgkmcnt(0)
	v_fma_f64 v[39:40], v[48:49], v[50:51], v[39:40]
	s_and_not1_b32 exec_lo, exec_lo, s2
	s_cbranch_execnz .LBB18_241
; %bb.242:
	s_or_b32 exec_lo, exec_lo, s2
.LBB18_243:
	s_delay_alu instid0(SALU_CYCLE_1)
	s_or_b32 exec_lo, exec_lo, s1
	v_mov_b32_e32 v45, 0
	ds_load_b64 v[45:46], v45 offset:56
	s_waitcnt lgkmcnt(0)
	v_mul_f64 v[39:40], v[39:40], v[45:46]
	scratch_store_b64 off, v[39:40], off offset:56
.LBB18_244:
	s_or_b32 exec_lo, exec_lo, s0
	scratch_load_b64 v[39:40], off, off offset:64
	s_mov_b32 s0, exec_lo
	s_waitcnt vmcnt(0)
	ds_store_b64 v42, v[39:40]
	s_waitcnt lgkmcnt(0)
	s_waitcnt_vscnt null, 0x0
	s_barrier
	buffer_gl0_inv
	v_cmpx_gt_u32_e32 8, v0
	s_cbranch_execz .LBB18_254
; %bb.245:
	v_cmp_ne_u32_e32 vcc_lo, 1, v44
	s_cbranch_vccnz .LBB18_247
; %bb.246:
	scratch_load_b64 v[39:40], v43, off
	ds_load_b64 v[45:46], v42
	s_waitcnt vmcnt(0) lgkmcnt(0)
	v_mul_f64 v[39:40], v[39:40], v[45:46]
	s_cbranch_execz .LBB18_248
	s_branch .LBB18_249
.LBB18_247:
                                        ; implicit-def: $vgpr39_vgpr40
.LBB18_248:
	ds_load_b64 v[39:40], v42
.LBB18_249:
	s_mov_b32 s1, exec_lo
	v_cmpx_ne_u32_e32 7, v0
	s_cbranch_execz .LBB18_253
; %bb.250:
	v_add_nc_u32_e32 v45, 0xa8, v41
	v_add3_u32 v46, 0, v41, 8
	v_mov_b32_e32 v47, v0
	s_mov_b32 s2, 0
.LBB18_251:                             ; =>This Inner Loop Header: Depth=1
	scratch_load_b64 v[48:49], v46, off
	ds_load_b64 v[50:51], v45
	v_add_nc_u32_e32 v47, 1, v47
	v_add_nc_u32_e32 v45, 8, v45
	v_add_nc_u32_e32 v46, 8, v46
	s_delay_alu instid0(VALU_DEP_3)
	v_cmp_lt_u32_e32 vcc_lo, 6, v47
	s_or_b32 s2, vcc_lo, s2
	s_waitcnt vmcnt(0) lgkmcnt(0)
	v_fma_f64 v[39:40], v[48:49], v[50:51], v[39:40]
	s_and_not1_b32 exec_lo, exec_lo, s2
	s_cbranch_execnz .LBB18_251
; %bb.252:
	s_or_b32 exec_lo, exec_lo, s2
.LBB18_253:
	s_delay_alu instid0(SALU_CYCLE_1)
	s_or_b32 exec_lo, exec_lo, s1
	v_mov_b32_e32 v45, 0
	ds_load_b64 v[45:46], v45 offset:64
	s_waitcnt lgkmcnt(0)
	v_mul_f64 v[39:40], v[39:40], v[45:46]
	scratch_store_b64 off, v[39:40], off offset:64
.LBB18_254:
	s_or_b32 exec_lo, exec_lo, s0
	scratch_load_b64 v[39:40], off, off offset:72
	s_mov_b32 s0, exec_lo
	s_waitcnt vmcnt(0)
	ds_store_b64 v42, v[39:40]
	s_waitcnt lgkmcnt(0)
	s_waitcnt_vscnt null, 0x0
	s_barrier
	buffer_gl0_inv
	v_cmpx_gt_u32_e32 9, v0
	s_cbranch_execz .LBB18_264
; %bb.255:
	v_cmp_ne_u32_e32 vcc_lo, 1, v44
	s_cbranch_vccnz .LBB18_257
; %bb.256:
	scratch_load_b64 v[39:40], v43, off
	ds_load_b64 v[45:46], v42
	s_waitcnt vmcnt(0) lgkmcnt(0)
	v_mul_f64 v[39:40], v[39:40], v[45:46]
	s_cbranch_execz .LBB18_258
	s_branch .LBB18_259
.LBB18_257:
                                        ; implicit-def: $vgpr39_vgpr40
.LBB18_258:
	ds_load_b64 v[39:40], v42
.LBB18_259:
	s_mov_b32 s1, exec_lo
	v_cmpx_ne_u32_e32 8, v0
	s_cbranch_execz .LBB18_263
; %bb.260:
	v_add_nc_u32_e32 v45, 0xa8, v41
	v_add3_u32 v46, 0, v41, 8
	v_mov_b32_e32 v47, v0
	s_mov_b32 s2, 0
.LBB18_261:                             ; =>This Inner Loop Header: Depth=1
	scratch_load_b64 v[48:49], v46, off
	ds_load_b64 v[50:51], v45
	v_add_nc_u32_e32 v47, 1, v47
	v_add_nc_u32_e32 v45, 8, v45
	v_add_nc_u32_e32 v46, 8, v46
	s_delay_alu instid0(VALU_DEP_3)
	v_cmp_lt_u32_e32 vcc_lo, 7, v47
	s_or_b32 s2, vcc_lo, s2
	s_waitcnt vmcnt(0) lgkmcnt(0)
	v_fma_f64 v[39:40], v[48:49], v[50:51], v[39:40]
	s_and_not1_b32 exec_lo, exec_lo, s2
	s_cbranch_execnz .LBB18_261
; %bb.262:
	s_or_b32 exec_lo, exec_lo, s2
.LBB18_263:
	s_delay_alu instid0(SALU_CYCLE_1)
	s_or_b32 exec_lo, exec_lo, s1
	v_mov_b32_e32 v45, 0
	ds_load_b64 v[45:46], v45 offset:72
	s_waitcnt lgkmcnt(0)
	v_mul_f64 v[39:40], v[39:40], v[45:46]
	scratch_store_b64 off, v[39:40], off offset:72
.LBB18_264:
	s_or_b32 exec_lo, exec_lo, s0
	scratch_load_b64 v[39:40], off, off offset:80
	s_mov_b32 s0, exec_lo
	s_waitcnt vmcnt(0)
	ds_store_b64 v42, v[39:40]
	s_waitcnt lgkmcnt(0)
	s_waitcnt_vscnt null, 0x0
	s_barrier
	buffer_gl0_inv
	v_cmpx_gt_u32_e32 10, v0
	s_cbranch_execz .LBB18_274
; %bb.265:
	v_cmp_ne_u32_e32 vcc_lo, 1, v44
	s_cbranch_vccnz .LBB18_267
; %bb.266:
	scratch_load_b64 v[39:40], v43, off
	ds_load_b64 v[45:46], v42
	s_waitcnt vmcnt(0) lgkmcnt(0)
	v_mul_f64 v[39:40], v[39:40], v[45:46]
	s_cbranch_execz .LBB18_268
	s_branch .LBB18_269
.LBB18_267:
                                        ; implicit-def: $vgpr39_vgpr40
.LBB18_268:
	ds_load_b64 v[39:40], v42
.LBB18_269:
	s_mov_b32 s1, exec_lo
	v_cmpx_ne_u32_e32 9, v0
	s_cbranch_execz .LBB18_273
; %bb.270:
	v_add_nc_u32_e32 v45, 0xa8, v41
	v_add3_u32 v46, 0, v41, 8
	v_mov_b32_e32 v47, v0
	s_mov_b32 s2, 0
.LBB18_271:                             ; =>This Inner Loop Header: Depth=1
	scratch_load_b64 v[48:49], v46, off
	ds_load_b64 v[50:51], v45
	v_add_nc_u32_e32 v47, 1, v47
	v_add_nc_u32_e32 v45, 8, v45
	v_add_nc_u32_e32 v46, 8, v46
	s_delay_alu instid0(VALU_DEP_3)
	v_cmp_lt_u32_e32 vcc_lo, 8, v47
	s_or_b32 s2, vcc_lo, s2
	s_waitcnt vmcnt(0) lgkmcnt(0)
	v_fma_f64 v[39:40], v[48:49], v[50:51], v[39:40]
	s_and_not1_b32 exec_lo, exec_lo, s2
	s_cbranch_execnz .LBB18_271
; %bb.272:
	s_or_b32 exec_lo, exec_lo, s2
.LBB18_273:
	s_delay_alu instid0(SALU_CYCLE_1)
	s_or_b32 exec_lo, exec_lo, s1
	v_mov_b32_e32 v45, 0
	ds_load_b64 v[45:46], v45 offset:80
	s_waitcnt lgkmcnt(0)
	v_mul_f64 v[39:40], v[39:40], v[45:46]
	scratch_store_b64 off, v[39:40], off offset:80
.LBB18_274:
	s_or_b32 exec_lo, exec_lo, s0
	scratch_load_b64 v[39:40], off, off offset:88
	s_mov_b32 s0, exec_lo
	s_waitcnt vmcnt(0)
	ds_store_b64 v42, v[39:40]
	s_waitcnt lgkmcnt(0)
	s_waitcnt_vscnt null, 0x0
	s_barrier
	buffer_gl0_inv
	v_cmpx_gt_u32_e32 11, v0
	s_cbranch_execz .LBB18_284
; %bb.275:
	v_cmp_ne_u32_e32 vcc_lo, 1, v44
	s_cbranch_vccnz .LBB18_277
; %bb.276:
	scratch_load_b64 v[39:40], v43, off
	ds_load_b64 v[45:46], v42
	s_waitcnt vmcnt(0) lgkmcnt(0)
	v_mul_f64 v[39:40], v[39:40], v[45:46]
	s_cbranch_execz .LBB18_278
	s_branch .LBB18_279
.LBB18_277:
                                        ; implicit-def: $vgpr39_vgpr40
.LBB18_278:
	ds_load_b64 v[39:40], v42
.LBB18_279:
	s_mov_b32 s1, exec_lo
	v_cmpx_ne_u32_e32 10, v0
	s_cbranch_execz .LBB18_283
; %bb.280:
	v_add_nc_u32_e32 v45, 0xa8, v41
	v_add3_u32 v46, 0, v41, 8
	v_mov_b32_e32 v47, v0
	s_mov_b32 s2, 0
.LBB18_281:                             ; =>This Inner Loop Header: Depth=1
	scratch_load_b64 v[48:49], v46, off
	ds_load_b64 v[50:51], v45
	v_add_nc_u32_e32 v47, 1, v47
	v_add_nc_u32_e32 v45, 8, v45
	v_add_nc_u32_e32 v46, 8, v46
	s_delay_alu instid0(VALU_DEP_3)
	v_cmp_lt_u32_e32 vcc_lo, 9, v47
	s_or_b32 s2, vcc_lo, s2
	s_waitcnt vmcnt(0) lgkmcnt(0)
	v_fma_f64 v[39:40], v[48:49], v[50:51], v[39:40]
	s_and_not1_b32 exec_lo, exec_lo, s2
	s_cbranch_execnz .LBB18_281
; %bb.282:
	s_or_b32 exec_lo, exec_lo, s2
.LBB18_283:
	s_delay_alu instid0(SALU_CYCLE_1)
	s_or_b32 exec_lo, exec_lo, s1
	v_mov_b32_e32 v45, 0
	ds_load_b64 v[45:46], v45 offset:88
	s_waitcnt lgkmcnt(0)
	v_mul_f64 v[39:40], v[39:40], v[45:46]
	scratch_store_b64 off, v[39:40], off offset:88
.LBB18_284:
	s_or_b32 exec_lo, exec_lo, s0
	scratch_load_b64 v[39:40], off, off offset:96
	s_mov_b32 s0, exec_lo
	s_waitcnt vmcnt(0)
	ds_store_b64 v42, v[39:40]
	s_waitcnt lgkmcnt(0)
	s_waitcnt_vscnt null, 0x0
	s_barrier
	buffer_gl0_inv
	v_cmpx_gt_u32_e32 12, v0
	s_cbranch_execz .LBB18_294
; %bb.285:
	v_cmp_ne_u32_e32 vcc_lo, 1, v44
	s_cbranch_vccnz .LBB18_287
; %bb.286:
	scratch_load_b64 v[39:40], v43, off
	ds_load_b64 v[45:46], v42
	s_waitcnt vmcnt(0) lgkmcnt(0)
	v_mul_f64 v[39:40], v[39:40], v[45:46]
	s_cbranch_execz .LBB18_288
	s_branch .LBB18_289
.LBB18_287:
                                        ; implicit-def: $vgpr39_vgpr40
.LBB18_288:
	ds_load_b64 v[39:40], v42
.LBB18_289:
	s_mov_b32 s1, exec_lo
	v_cmpx_ne_u32_e32 11, v0
	s_cbranch_execz .LBB18_293
; %bb.290:
	v_add_nc_u32_e32 v45, 0xa8, v41
	v_add3_u32 v46, 0, v41, 8
	v_mov_b32_e32 v47, v0
	s_mov_b32 s2, 0
.LBB18_291:                             ; =>This Inner Loop Header: Depth=1
	scratch_load_b64 v[48:49], v46, off
	ds_load_b64 v[50:51], v45
	v_add_nc_u32_e32 v47, 1, v47
	v_add_nc_u32_e32 v45, 8, v45
	v_add_nc_u32_e32 v46, 8, v46
	s_delay_alu instid0(VALU_DEP_3)
	v_cmp_lt_u32_e32 vcc_lo, 10, v47
	s_or_b32 s2, vcc_lo, s2
	s_waitcnt vmcnt(0) lgkmcnt(0)
	v_fma_f64 v[39:40], v[48:49], v[50:51], v[39:40]
	s_and_not1_b32 exec_lo, exec_lo, s2
	s_cbranch_execnz .LBB18_291
; %bb.292:
	s_or_b32 exec_lo, exec_lo, s2
.LBB18_293:
	s_delay_alu instid0(SALU_CYCLE_1)
	s_or_b32 exec_lo, exec_lo, s1
	v_mov_b32_e32 v45, 0
	ds_load_b64 v[45:46], v45 offset:96
	s_waitcnt lgkmcnt(0)
	v_mul_f64 v[39:40], v[39:40], v[45:46]
	scratch_store_b64 off, v[39:40], off offset:96
.LBB18_294:
	s_or_b32 exec_lo, exec_lo, s0
	scratch_load_b64 v[39:40], off, off offset:104
	s_mov_b32 s0, exec_lo
	s_waitcnt vmcnt(0)
	ds_store_b64 v42, v[39:40]
	s_waitcnt lgkmcnt(0)
	s_waitcnt_vscnt null, 0x0
	s_barrier
	buffer_gl0_inv
	v_cmpx_gt_u32_e32 13, v0
	s_cbranch_execz .LBB18_304
; %bb.295:
	v_cmp_ne_u32_e32 vcc_lo, 1, v44
	s_cbranch_vccnz .LBB18_297
; %bb.296:
	scratch_load_b64 v[39:40], v43, off
	ds_load_b64 v[45:46], v42
	s_waitcnt vmcnt(0) lgkmcnt(0)
	v_mul_f64 v[39:40], v[39:40], v[45:46]
	s_cbranch_execz .LBB18_298
	s_branch .LBB18_299
.LBB18_297:
                                        ; implicit-def: $vgpr39_vgpr40
.LBB18_298:
	ds_load_b64 v[39:40], v42
.LBB18_299:
	s_mov_b32 s1, exec_lo
	v_cmpx_ne_u32_e32 12, v0
	s_cbranch_execz .LBB18_303
; %bb.300:
	v_add_nc_u32_e32 v45, 0xa8, v41
	v_add3_u32 v46, 0, v41, 8
	v_mov_b32_e32 v47, v0
	s_mov_b32 s2, 0
.LBB18_301:                             ; =>This Inner Loop Header: Depth=1
	scratch_load_b64 v[48:49], v46, off
	ds_load_b64 v[50:51], v45
	v_add_nc_u32_e32 v47, 1, v47
	v_add_nc_u32_e32 v45, 8, v45
	v_add_nc_u32_e32 v46, 8, v46
	s_delay_alu instid0(VALU_DEP_3)
	v_cmp_lt_u32_e32 vcc_lo, 11, v47
	s_or_b32 s2, vcc_lo, s2
	s_waitcnt vmcnt(0) lgkmcnt(0)
	v_fma_f64 v[39:40], v[48:49], v[50:51], v[39:40]
	s_and_not1_b32 exec_lo, exec_lo, s2
	s_cbranch_execnz .LBB18_301
; %bb.302:
	s_or_b32 exec_lo, exec_lo, s2
.LBB18_303:
	s_delay_alu instid0(SALU_CYCLE_1)
	s_or_b32 exec_lo, exec_lo, s1
	v_mov_b32_e32 v45, 0
	ds_load_b64 v[45:46], v45 offset:104
	s_waitcnt lgkmcnt(0)
	v_mul_f64 v[39:40], v[39:40], v[45:46]
	scratch_store_b64 off, v[39:40], off offset:104
.LBB18_304:
	s_or_b32 exec_lo, exec_lo, s0
	scratch_load_b64 v[39:40], off, off offset:112
	s_mov_b32 s0, exec_lo
	s_waitcnt vmcnt(0)
	ds_store_b64 v42, v[39:40]
	s_waitcnt lgkmcnt(0)
	s_waitcnt_vscnt null, 0x0
	s_barrier
	buffer_gl0_inv
	v_cmpx_gt_u32_e32 14, v0
	s_cbranch_execz .LBB18_314
; %bb.305:
	v_cmp_ne_u32_e32 vcc_lo, 1, v44
	s_cbranch_vccnz .LBB18_307
; %bb.306:
	scratch_load_b64 v[39:40], v43, off
	ds_load_b64 v[45:46], v42
	s_waitcnt vmcnt(0) lgkmcnt(0)
	v_mul_f64 v[39:40], v[39:40], v[45:46]
	s_cbranch_execz .LBB18_308
	s_branch .LBB18_309
.LBB18_307:
                                        ; implicit-def: $vgpr39_vgpr40
.LBB18_308:
	ds_load_b64 v[39:40], v42
.LBB18_309:
	s_mov_b32 s1, exec_lo
	v_cmpx_ne_u32_e32 13, v0
	s_cbranch_execz .LBB18_313
; %bb.310:
	v_add_nc_u32_e32 v45, 0xa8, v41
	v_add3_u32 v46, 0, v41, 8
	v_mov_b32_e32 v47, v0
	s_mov_b32 s2, 0
.LBB18_311:                             ; =>This Inner Loop Header: Depth=1
	scratch_load_b64 v[48:49], v46, off
	ds_load_b64 v[50:51], v45
	v_add_nc_u32_e32 v47, 1, v47
	v_add_nc_u32_e32 v45, 8, v45
	v_add_nc_u32_e32 v46, 8, v46
	s_delay_alu instid0(VALU_DEP_3)
	v_cmp_lt_u32_e32 vcc_lo, 12, v47
	s_or_b32 s2, vcc_lo, s2
	s_waitcnt vmcnt(0) lgkmcnt(0)
	v_fma_f64 v[39:40], v[48:49], v[50:51], v[39:40]
	s_and_not1_b32 exec_lo, exec_lo, s2
	s_cbranch_execnz .LBB18_311
; %bb.312:
	s_or_b32 exec_lo, exec_lo, s2
.LBB18_313:
	s_delay_alu instid0(SALU_CYCLE_1)
	s_or_b32 exec_lo, exec_lo, s1
	v_mov_b32_e32 v45, 0
	ds_load_b64 v[45:46], v45 offset:112
	s_waitcnt lgkmcnt(0)
	v_mul_f64 v[39:40], v[39:40], v[45:46]
	scratch_store_b64 off, v[39:40], off offset:112
.LBB18_314:
	s_or_b32 exec_lo, exec_lo, s0
	scratch_load_b64 v[39:40], off, off offset:120
	s_mov_b32 s0, exec_lo
	s_waitcnt vmcnt(0)
	ds_store_b64 v42, v[39:40]
	s_waitcnt lgkmcnt(0)
	s_waitcnt_vscnt null, 0x0
	s_barrier
	buffer_gl0_inv
	v_cmpx_gt_u32_e32 15, v0
	s_cbranch_execz .LBB18_324
; %bb.315:
	v_cmp_ne_u32_e32 vcc_lo, 1, v44
	s_cbranch_vccnz .LBB18_317
; %bb.316:
	scratch_load_b64 v[39:40], v43, off
	ds_load_b64 v[45:46], v42
	s_waitcnt vmcnt(0) lgkmcnt(0)
	v_mul_f64 v[39:40], v[39:40], v[45:46]
	s_cbranch_execz .LBB18_318
	s_branch .LBB18_319
.LBB18_317:
                                        ; implicit-def: $vgpr39_vgpr40
.LBB18_318:
	ds_load_b64 v[39:40], v42
.LBB18_319:
	s_mov_b32 s1, exec_lo
	v_cmpx_ne_u32_e32 14, v0
	s_cbranch_execz .LBB18_323
; %bb.320:
	v_add_nc_u32_e32 v45, 0xa8, v41
	v_add3_u32 v46, 0, v41, 8
	v_mov_b32_e32 v47, v0
	s_mov_b32 s2, 0
.LBB18_321:                             ; =>This Inner Loop Header: Depth=1
	scratch_load_b64 v[48:49], v46, off
	ds_load_b64 v[50:51], v45
	v_add_nc_u32_e32 v47, 1, v47
	v_add_nc_u32_e32 v45, 8, v45
	v_add_nc_u32_e32 v46, 8, v46
	s_delay_alu instid0(VALU_DEP_3)
	v_cmp_lt_u32_e32 vcc_lo, 13, v47
	s_or_b32 s2, vcc_lo, s2
	s_waitcnt vmcnt(0) lgkmcnt(0)
	v_fma_f64 v[39:40], v[48:49], v[50:51], v[39:40]
	s_and_not1_b32 exec_lo, exec_lo, s2
	s_cbranch_execnz .LBB18_321
; %bb.322:
	s_or_b32 exec_lo, exec_lo, s2
.LBB18_323:
	s_delay_alu instid0(SALU_CYCLE_1)
	s_or_b32 exec_lo, exec_lo, s1
	v_mov_b32_e32 v45, 0
	ds_load_b64 v[45:46], v45 offset:120
	s_waitcnt lgkmcnt(0)
	v_mul_f64 v[39:40], v[39:40], v[45:46]
	scratch_store_b64 off, v[39:40], off offset:120
.LBB18_324:
	s_or_b32 exec_lo, exec_lo, s0
	scratch_load_b64 v[39:40], off, off offset:128
	s_mov_b32 s0, exec_lo
	s_waitcnt vmcnt(0)
	ds_store_b64 v42, v[39:40]
	s_waitcnt lgkmcnt(0)
	s_waitcnt_vscnt null, 0x0
	s_barrier
	buffer_gl0_inv
	v_cmpx_gt_u32_e32 16, v0
	s_cbranch_execz .LBB18_334
; %bb.325:
	v_cmp_ne_u32_e32 vcc_lo, 1, v44
	s_cbranch_vccnz .LBB18_327
; %bb.326:
	scratch_load_b64 v[39:40], v43, off
	ds_load_b64 v[45:46], v42
	s_waitcnt vmcnt(0) lgkmcnt(0)
	v_mul_f64 v[39:40], v[39:40], v[45:46]
	s_cbranch_execz .LBB18_328
	s_branch .LBB18_329
.LBB18_327:
                                        ; implicit-def: $vgpr39_vgpr40
.LBB18_328:
	ds_load_b64 v[39:40], v42
.LBB18_329:
	s_mov_b32 s1, exec_lo
	v_cmpx_ne_u32_e32 15, v0
	s_cbranch_execz .LBB18_333
; %bb.330:
	v_add_nc_u32_e32 v45, 0xa8, v41
	v_add3_u32 v46, 0, v41, 8
	v_mov_b32_e32 v47, v0
	s_mov_b32 s2, 0
.LBB18_331:                             ; =>This Inner Loop Header: Depth=1
	scratch_load_b64 v[48:49], v46, off
	ds_load_b64 v[50:51], v45
	v_add_nc_u32_e32 v47, 1, v47
	v_add_nc_u32_e32 v45, 8, v45
	v_add_nc_u32_e32 v46, 8, v46
	s_delay_alu instid0(VALU_DEP_3)
	v_cmp_lt_u32_e32 vcc_lo, 14, v47
	s_or_b32 s2, vcc_lo, s2
	s_waitcnt vmcnt(0) lgkmcnt(0)
	v_fma_f64 v[39:40], v[48:49], v[50:51], v[39:40]
	s_and_not1_b32 exec_lo, exec_lo, s2
	s_cbranch_execnz .LBB18_331
; %bb.332:
	s_or_b32 exec_lo, exec_lo, s2
.LBB18_333:
	s_delay_alu instid0(SALU_CYCLE_1)
	s_or_b32 exec_lo, exec_lo, s1
	v_mov_b32_e32 v45, 0
	ds_load_b64 v[45:46], v45 offset:128
	s_waitcnt lgkmcnt(0)
	v_mul_f64 v[39:40], v[39:40], v[45:46]
	scratch_store_b64 off, v[39:40], off offset:128
.LBB18_334:
	s_or_b32 exec_lo, exec_lo, s0
	scratch_load_b64 v[39:40], off, off offset:136
	v_cmp_gt_u32_e64 s0, 17, v0
	s_waitcnt vmcnt(0)
	ds_store_b64 v42, v[39:40]
	s_waitcnt lgkmcnt(0)
	s_waitcnt_vscnt null, 0x0
	s_barrier
	buffer_gl0_inv
	s_and_saveexec_b32 s1, s0
	s_cbranch_execz .LBB18_344
; %bb.335:
	v_cmp_ne_u32_e32 vcc_lo, 1, v44
	s_cbranch_vccnz .LBB18_337
; %bb.336:
	scratch_load_b64 v[39:40], v43, off
	ds_load_b64 v[45:46], v42
	s_waitcnt vmcnt(0) lgkmcnt(0)
	v_mul_f64 v[39:40], v[39:40], v[45:46]
	s_cbranch_execz .LBB18_338
	s_branch .LBB18_339
.LBB18_337:
                                        ; implicit-def: $vgpr39_vgpr40
.LBB18_338:
	ds_load_b64 v[39:40], v42
.LBB18_339:
	s_mov_b32 s2, exec_lo
	v_cmpx_ne_u32_e32 16, v0
	s_cbranch_execz .LBB18_343
; %bb.340:
	v_add_nc_u32_e32 v45, 0xa8, v41
	v_add3_u32 v46, 0, v41, 8
	v_mov_b32_e32 v47, v0
	s_mov_b32 s3, 0
.LBB18_341:                             ; =>This Inner Loop Header: Depth=1
	scratch_load_b64 v[48:49], v46, off
	ds_load_b64 v[50:51], v45
	v_add_nc_u32_e32 v47, 1, v47
	v_add_nc_u32_e32 v45, 8, v45
	;; [unrolled: 1-line block ×3, first 2 shown]
	s_delay_alu instid0(VALU_DEP_3)
	v_cmp_lt_u32_e32 vcc_lo, 15, v47
	s_or_b32 s3, vcc_lo, s3
	s_waitcnt vmcnt(0) lgkmcnt(0)
	v_fma_f64 v[39:40], v[48:49], v[50:51], v[39:40]
	s_and_not1_b32 exec_lo, exec_lo, s3
	s_cbranch_execnz .LBB18_341
; %bb.342:
	s_or_b32 exec_lo, exec_lo, s3
.LBB18_343:
	s_delay_alu instid0(SALU_CYCLE_1)
	s_or_b32 exec_lo, exec_lo, s2
	v_mov_b32_e32 v45, 0
	ds_load_b64 v[45:46], v45 offset:136
	s_waitcnt lgkmcnt(0)
	v_mul_f64 v[39:40], v[39:40], v[45:46]
	scratch_store_b64 off, v[39:40], off offset:136
.LBB18_344:
	s_or_b32 exec_lo, exec_lo, s1
	scratch_load_b64 v[39:40], off, off offset:144
	s_mov_b32 s1, exec_lo
	s_waitcnt vmcnt(0)
	ds_store_b64 v42, v[39:40]
	s_waitcnt lgkmcnt(0)
	s_waitcnt_vscnt null, 0x0
	s_barrier
	buffer_gl0_inv
	v_cmpx_ne_u32_e32 18, v0
	s_cbranch_execz .LBB18_354
; %bb.345:
	v_cmp_ne_u32_e32 vcc_lo, 1, v44
	s_cbranch_vccnz .LBB18_347
; %bb.346:
	scratch_load_b64 v[39:40], v43, off
	ds_load_b64 v[43:44], v42
	s_waitcnt vmcnt(0) lgkmcnt(0)
	v_mul_f64 v[39:40], v[39:40], v[43:44]
	s_cbranch_execz .LBB18_348
	s_branch .LBB18_349
.LBB18_347:
                                        ; implicit-def: $vgpr39_vgpr40
.LBB18_348:
	ds_load_b64 v[39:40], v42
.LBB18_349:
	s_and_saveexec_b32 s2, s0
	s_cbranch_execz .LBB18_353
; %bb.350:
	v_add_nc_u32_e32 v42, 0xa8, v41
	v_add3_u32 v41, 0, v41, 8
	s_mov_b32 s0, 0
.LBB18_351:                             ; =>This Inner Loop Header: Depth=1
	scratch_load_b64 v[43:44], v41, off
	ds_load_b64 v[45:46], v42
	v_add_nc_u32_e32 v0, 1, v0
	v_add_nc_u32_e32 v42, 8, v42
	;; [unrolled: 1-line block ×3, first 2 shown]
	s_delay_alu instid0(VALU_DEP_3)
	v_cmp_lt_u32_e32 vcc_lo, 16, v0
	s_or_b32 s0, vcc_lo, s0
	s_waitcnt vmcnt(0) lgkmcnt(0)
	v_fma_f64 v[39:40], v[43:44], v[45:46], v[39:40]
	s_and_not1_b32 exec_lo, exec_lo, s0
	s_cbranch_execnz .LBB18_351
; %bb.352:
	s_or_b32 exec_lo, exec_lo, s0
.LBB18_353:
	s_delay_alu instid0(SALU_CYCLE_1)
	s_or_b32 exec_lo, exec_lo, s2
	v_mov_b32_e32 v0, 0
	ds_load_b64 v[41:42], v0 offset:144
	s_waitcnt lgkmcnt(0)
	v_mul_f64 v[39:40], v[39:40], v[41:42]
	scratch_store_b64 off, v[39:40], off offset:144
.LBB18_354:
	s_or_b32 exec_lo, exec_lo, s1
.LBB18_355:
	s_clause 0x9
	scratch_load_b128 v[39:42], off, off
	scratch_load_b128 v[43:46], off, off offset:16
	scratch_load_b128 v[47:50], off, off offset:32
	;; [unrolled: 1-line block ×8, first 2 shown]
	scratch_load_b64 v[75:76], off, off offset:144
	s_waitcnt vmcnt(9)
	s_clause 0x1
	global_store_b64 v[1:2], v[39:40], off
	global_store_b64 v[3:4], v[41:42], off
	s_waitcnt vmcnt(8)
	s_clause 0x1
	global_store_b64 v[5:6], v[43:44], off
	global_store_b64 v[7:8], v[45:46], off
	;; [unrolled: 4-line block ×9, first 2 shown]
	s_waitcnt vmcnt(0)
	global_store_b64 v[37:38], v[75:76], off
.LBB18_356:
	s_endpgm
	.section	.rodata,"a",@progbits
	.p2align	6, 0x0
	.amdhsa_kernel _ZN9rocsolver6v33100L18trti2_kernel_smallILi19EdPdEEv13rocblas_fill_17rocblas_diagonal_T1_iil
		.amdhsa_group_segment_fixed_size 312
		.amdhsa_private_segment_fixed_size 160
		.amdhsa_kernarg_size 32
		.amdhsa_user_sgpr_count 15
		.amdhsa_user_sgpr_dispatch_ptr 0
		.amdhsa_user_sgpr_queue_ptr 0
		.amdhsa_user_sgpr_kernarg_segment_ptr 1
		.amdhsa_user_sgpr_dispatch_id 0
		.amdhsa_user_sgpr_private_segment_size 0
		.amdhsa_wavefront_size32 1
		.amdhsa_uses_dynamic_stack 0
		.amdhsa_enable_private_segment 1
		.amdhsa_system_sgpr_workgroup_id_x 1
		.amdhsa_system_sgpr_workgroup_id_y 0
		.amdhsa_system_sgpr_workgroup_id_z 0
		.amdhsa_system_sgpr_workgroup_info 0
		.amdhsa_system_vgpr_workitem_id 0
		.amdhsa_next_free_vgpr 80
		.amdhsa_next_free_sgpr 16
		.amdhsa_reserve_vcc 1
		.amdhsa_float_round_mode_32 0
		.amdhsa_float_round_mode_16_64 0
		.amdhsa_float_denorm_mode_32 3
		.amdhsa_float_denorm_mode_16_64 3
		.amdhsa_dx10_clamp 1
		.amdhsa_ieee_mode 1
		.amdhsa_fp16_overflow 0
		.amdhsa_workgroup_processor_mode 1
		.amdhsa_memory_ordered 1
		.amdhsa_forward_progress 0
		.amdhsa_shared_vgpr_count 0
		.amdhsa_exception_fp_ieee_invalid_op 0
		.amdhsa_exception_fp_denorm_src 0
		.amdhsa_exception_fp_ieee_div_zero 0
		.amdhsa_exception_fp_ieee_overflow 0
		.amdhsa_exception_fp_ieee_underflow 0
		.amdhsa_exception_fp_ieee_inexact 0
		.amdhsa_exception_int_div_zero 0
	.end_amdhsa_kernel
	.section	.text._ZN9rocsolver6v33100L18trti2_kernel_smallILi19EdPdEEv13rocblas_fill_17rocblas_diagonal_T1_iil,"axG",@progbits,_ZN9rocsolver6v33100L18trti2_kernel_smallILi19EdPdEEv13rocblas_fill_17rocblas_diagonal_T1_iil,comdat
.Lfunc_end18:
	.size	_ZN9rocsolver6v33100L18trti2_kernel_smallILi19EdPdEEv13rocblas_fill_17rocblas_diagonal_T1_iil, .Lfunc_end18-_ZN9rocsolver6v33100L18trti2_kernel_smallILi19EdPdEEv13rocblas_fill_17rocblas_diagonal_T1_iil
                                        ; -- End function
	.section	.AMDGPU.csdata,"",@progbits
; Kernel info:
; codeLenInByte = 10012
; NumSgprs: 18
; NumVgprs: 80
; ScratchSize: 160
; MemoryBound: 0
; FloatMode: 240
; IeeeMode: 1
; LDSByteSize: 312 bytes/workgroup (compile time only)
; SGPRBlocks: 2
; VGPRBlocks: 9
; NumSGPRsForWavesPerEU: 18
; NumVGPRsForWavesPerEU: 80
; Occupancy: 16
; WaveLimiterHint : 0
; COMPUTE_PGM_RSRC2:SCRATCH_EN: 1
; COMPUTE_PGM_RSRC2:USER_SGPR: 15
; COMPUTE_PGM_RSRC2:TRAP_HANDLER: 0
; COMPUTE_PGM_RSRC2:TGID_X_EN: 1
; COMPUTE_PGM_RSRC2:TGID_Y_EN: 0
; COMPUTE_PGM_RSRC2:TGID_Z_EN: 0
; COMPUTE_PGM_RSRC2:TIDIG_COMP_CNT: 0
	.section	.text._ZN9rocsolver6v33100L18trti2_kernel_smallILi20EdPdEEv13rocblas_fill_17rocblas_diagonal_T1_iil,"axG",@progbits,_ZN9rocsolver6v33100L18trti2_kernel_smallILi20EdPdEEv13rocblas_fill_17rocblas_diagonal_T1_iil,comdat
	.globl	_ZN9rocsolver6v33100L18trti2_kernel_smallILi20EdPdEEv13rocblas_fill_17rocblas_diagonal_T1_iil ; -- Begin function _ZN9rocsolver6v33100L18trti2_kernel_smallILi20EdPdEEv13rocblas_fill_17rocblas_diagonal_T1_iil
	.p2align	8
	.type	_ZN9rocsolver6v33100L18trti2_kernel_smallILi20EdPdEEv13rocblas_fill_17rocblas_diagonal_T1_iil,@function
_ZN9rocsolver6v33100L18trti2_kernel_smallILi20EdPdEEv13rocblas_fill_17rocblas_diagonal_T1_iil: ; @_ZN9rocsolver6v33100L18trti2_kernel_smallILi20EdPdEEv13rocblas_fill_17rocblas_diagonal_T1_iil
; %bb.0:
	s_mov_b32 s2, exec_lo
	v_cmpx_gt_u32_e32 20, v0
	s_cbranch_execz .LBB19_376
; %bb.1:
	s_load_b256 s[0:7], s[0:1], 0x0
	s_ashr_i32 s10, s15, 31
	v_lshlrev_b32_e32 v43, 3, v0
	s_waitcnt lgkmcnt(0)
	s_ashr_i32 s9, s4, 31
	s_mov_b32 s8, s4
	s_mul_i32 s4, s15, s7
	s_mul_hi_u32 s7, s15, s6
	v_add3_u32 v1, s5, s5, v0
	s_mul_i32 s11, s10, s6
	s_add_i32 s4, s7, s4
	s_mul_i32 s6, s15, s6
	s_add_i32 s7, s4, s11
	v_add_nc_u32_e32 v3, s5, v1
	s_lshl_b64 s[6:7], s[6:7], 3
	v_ashrrev_i32_e32 v2, 31, v1
	s_add_u32 s4, s2, s6
	s_addc_u32 s6, s3, s7
	s_lshl_b64 s[2:3], s[8:9], 3
	v_add_nc_u32_e32 v7, s5, v3
	s_add_u32 s2, s4, s2
	v_lshlrev_b64 v[5:6], 3, v[1:2]
	v_ashrrev_i32_e32 v4, 31, v3
	s_addc_u32 s3, s6, s3
	v_add_co_u32 v1, s4, s2, v43
	s_mov_b32 s10, s5
	s_ashr_i32 s11, s5, 31
	v_add_co_ci_u32_e64 v2, null, s3, 0, s4
	s_lshl_b64 s[6:7], s[10:11], 3
	v_ashrrev_i32_e32 v8, 31, v7
	v_lshlrev_b64 v[9:10], 3, v[3:4]
	v_add_co_u32 v3, vcc_lo, v1, s6
	v_add_nc_u32_e32 v13, s5, v7
	v_add_co_ci_u32_e32 v4, vcc_lo, s7, v2, vcc_lo
	v_add_co_u32 v5, vcc_lo, s2, v5
	v_lshlrev_b64 v[11:12], 3, v[7:8]
	v_add_co_ci_u32_e32 v6, vcc_lo, s3, v6, vcc_lo
	v_add_co_u32 v7, vcc_lo, s2, v9
	v_ashrrev_i32_e32 v14, 31, v13
	v_add_nc_u32_e32 v15, s5, v13
	v_add_co_ci_u32_e32 v8, vcc_lo, s3, v10, vcc_lo
	v_add_co_u32 v9, vcc_lo, s2, v11
	v_add_co_ci_u32_e32 v10, vcc_lo, s3, v12, vcc_lo
	v_lshlrev_b64 v[11:12], 3, v[13:14]
	v_add_nc_u32_e32 v13, s5, v15
	v_ashrrev_i32_e32 v16, 31, v15
	s_cmpk_lg_i32 s1, 0x84
	s_delay_alu instid0(VALU_DEP_2) | instskip(SKIP_1) | instid1(VALU_DEP_3)
	v_add_nc_u32_e32 v17, s5, v13
	v_ashrrev_i32_e32 v14, 31, v13
	v_lshlrev_b64 v[15:16], 3, v[15:16]
	v_add_co_u32 v11, vcc_lo, s2, v11
	s_delay_alu instid0(VALU_DEP_4) | instskip(NEXT) | instid1(VALU_DEP_4)
	v_ashrrev_i32_e32 v18, 31, v17
	v_lshlrev_b64 v[19:20], 3, v[13:14]
	v_add_nc_u32_e32 v23, s5, v17
	v_add_co_ci_u32_e32 v12, vcc_lo, s3, v12, vcc_lo
	v_add_co_u32 v13, vcc_lo, s2, v15
	v_lshlrev_b64 v[21:22], 3, v[17:18]
	v_add_co_ci_u32_e32 v14, vcc_lo, s3, v16, vcc_lo
	v_add_co_u32 v15, vcc_lo, s2, v19
	v_ashrrev_i32_e32 v24, 31, v23
	v_add_nc_u32_e32 v19, s5, v23
	v_add_co_ci_u32_e32 v16, vcc_lo, s3, v20, vcc_lo
	v_add_co_u32 v17, vcc_lo, s2, v21
	v_add_co_ci_u32_e32 v18, vcc_lo, s3, v22, vcc_lo
	v_lshlrev_b64 v[21:22], 3, v[23:24]
	v_add_nc_u32_e32 v23, s5, v19
	v_ashrrev_i32_e32 v20, 31, v19
	s_delay_alu instid0(VALU_DEP_2) | instskip(NEXT) | instid1(VALU_DEP_2)
	v_add_nc_u32_e32 v27, s5, v23
	v_lshlrev_b64 v[25:26], 3, v[19:20]
	v_add_co_u32 v19, vcc_lo, s2, v21
	v_add_co_ci_u32_e32 v20, vcc_lo, s3, v22, vcc_lo
	s_delay_alu instid0(VALU_DEP_4) | instskip(NEXT) | instid1(VALU_DEP_4)
	v_ashrrev_i32_e32 v28, 31, v27
	v_add_co_u32 v21, vcc_lo, s2, v25
	v_add_co_ci_u32_e32 v22, vcc_lo, s3, v26, vcc_lo
	s_delay_alu instid0(VALU_DEP_3) | instskip(SKIP_2) | instid1(VALU_DEP_2)
	v_lshlrev_b64 v[25:26], 3, v[27:28]
	v_add_nc_u32_e32 v27, s5, v27
	v_ashrrev_i32_e32 v24, 31, v23
	v_add_nc_u32_e32 v29, s5, v27
	s_delay_alu instid0(VALU_DEP_2) | instskip(SKIP_1) | instid1(VALU_DEP_3)
	v_lshlrev_b64 v[23:24], 3, v[23:24]
	v_ashrrev_i32_e32 v28, 31, v27
	v_add_nc_u32_e32 v31, s5, v29
	v_ashrrev_i32_e32 v30, 31, v29
	s_delay_alu instid0(VALU_DEP_4) | instskip(NEXT) | instid1(VALU_DEP_4)
	v_add_co_u32 v23, vcc_lo, s2, v23
	v_lshlrev_b64 v[27:28], 3, v[27:28]
	s_delay_alu instid0(VALU_DEP_4) | instskip(SKIP_3) | instid1(VALU_DEP_4)
	v_add_nc_u32_e32 v33, s5, v31
	v_ashrrev_i32_e32 v32, 31, v31
	v_add_co_ci_u32_e32 v24, vcc_lo, s3, v24, vcc_lo
	v_add_co_u32 v25, vcc_lo, s2, v25
	v_add_nc_u32_e32 v35, s5, v33
	v_lshlrev_b64 v[29:30], 3, v[29:30]
	v_ashrrev_i32_e32 v34, 31, v33
	v_add_co_ci_u32_e32 v26, vcc_lo, s3, v26, vcc_lo
	s_delay_alu instid0(VALU_DEP_4)
	v_add_nc_u32_e32 v37, s5, v35
	v_add_co_u32 v27, vcc_lo, s2, v27
	v_lshlrev_b64 v[31:32], 3, v[31:32]
	v_add_co_ci_u32_e32 v28, vcc_lo, s3, v28, vcc_lo
	v_add_co_u32 v29, vcc_lo, s2, v29
	v_lshlrev_b64 v[33:34], 3, v[33:34]
	v_ashrrev_i32_e32 v36, 31, v35
	v_add_nc_u32_e32 v41, s5, v37
	v_add_co_ci_u32_e32 v30, vcc_lo, s3, v30, vcc_lo
	v_add_co_u32 v31, vcc_lo, s2, v31
	v_ashrrev_i32_e32 v38, 31, v37
	v_add_co_ci_u32_e32 v32, vcc_lo, s3, v32, vcc_lo
	v_lshlrev_b64 v[39:40], 3, v[35:36]
	v_add_co_u32 v35, vcc_lo, s2, v33
	v_ashrrev_i32_e32 v42, 31, v41
	v_add_co_ci_u32_e32 v36, vcc_lo, s3, v34, vcc_lo
	v_lshlrev_b64 v[33:34], 3, v[37:38]
	v_add_co_u32 v39, vcc_lo, s2, v39
	s_delay_alu instid0(VALU_DEP_4) | instskip(SKIP_1) | instid1(VALU_DEP_4)
	v_lshlrev_b64 v[37:38], 3, v[41:42]
	v_add_co_ci_u32_e32 v40, vcc_lo, s3, v40, vcc_lo
	v_add_co_u32 v33, vcc_lo, s2, v33
	v_add_co_ci_u32_e32 v34, vcc_lo, s3, v34, vcc_lo
	s_delay_alu instid0(VALU_DEP_4)
	v_add_co_u32 v37, vcc_lo, s2, v37
	v_mov_b32_e32 v41, 0
	v_mov_b32_e32 v42, 0xbff00000
	s_clause 0xc
	global_load_b64 v[44:45], v43, s[2:3]
	global_load_b64 v[46:47], v[3:4], off
	global_load_b64 v[48:49], v[5:6], off
	global_load_b64 v[50:51], v[7:8], off
	global_load_b64 v[52:53], v[9:10], off
	global_load_b64 v[54:55], v[11:12], off
	global_load_b64 v[56:57], v[13:14], off
	global_load_b64 v[58:59], v[15:16], off
	global_load_b64 v[60:61], v[17:18], off
	global_load_b64 v[62:63], v[19:20], off
	global_load_b64 v[64:65], v[21:22], off
	global_load_b64 v[66:67], v[23:24], off
	global_load_b64 v[68:69], v[25:26], off
	v_add_co_ci_u32_e32 v38, vcc_lo, s3, v38, vcc_lo
	s_clause 0x6
	global_load_b64 v[70:71], v[27:28], off
	global_load_b64 v[72:73], v[29:30], off
	;; [unrolled: 1-line block ×7, first 2 shown]
	s_cselect_b32 s2, -1, 0
	s_cmpk_eq_i32 s1, 0x84
	s_waitcnt vmcnt(18)
	scratch_store_b128 off, v[44:47], off
	s_waitcnt vmcnt(16)
	scratch_store_b128 off, v[48:51], off offset:16
	s_waitcnt vmcnt(14)
	scratch_store_b128 off, v[52:55], off offset:32
	;; [unrolled: 2-line block ×9, first 2 shown]
	s_cbranch_scc1 .LBB19_3
; %bb.2:
	scratch_load_b64 v[41:42], v43, off
	s_waitcnt vmcnt(0)
	v_div_scale_f64 v[44:45], null, v[41:42], v[41:42], 1.0
	v_div_scale_f64 v[50:51], vcc_lo, 1.0, v[41:42], 1.0
	s_delay_alu instid0(VALU_DEP_2) | instskip(SKIP_2) | instid1(VALU_DEP_1)
	v_rcp_f64_e32 v[46:47], v[44:45]
	s_waitcnt_depctr 0xfff
	v_fma_f64 v[48:49], -v[44:45], v[46:47], 1.0
	v_fma_f64 v[46:47], v[46:47], v[48:49], v[46:47]
	s_delay_alu instid0(VALU_DEP_1) | instskip(NEXT) | instid1(VALU_DEP_1)
	v_fma_f64 v[48:49], -v[44:45], v[46:47], 1.0
	v_fma_f64 v[46:47], v[46:47], v[48:49], v[46:47]
	s_delay_alu instid0(VALU_DEP_1) | instskip(NEXT) | instid1(VALU_DEP_1)
	v_mul_f64 v[48:49], v[50:51], v[46:47]
	v_fma_f64 v[44:45], -v[44:45], v[48:49], v[50:51]
	s_delay_alu instid0(VALU_DEP_1) | instskip(NEXT) | instid1(VALU_DEP_1)
	v_div_fmas_f64 v[44:45], v[44:45], v[46:47], v[48:49]
	v_div_fixup_f64 v[41:42], v[44:45], v[41:42], 1.0
	scratch_store_b64 v43, v[41:42], off
	v_xor_b32_e32 v42, 0x80000000, v42
.LBB19_3:
	v_add_nc_u32_e32 v44, 0xa0, v43
	v_add_nc_u32_e32 v45, 0, v43
	s_cmpk_eq_i32 s0, 0x79
	s_mov_b32 s0, -1
	ds_store_b64 v43, v[41:42]
	s_cbranch_scc1 .LBB19_189
; %bb.4:
	scratch_load_b64 v[41:42], off, off offset:144
	v_cmp_eq_u32_e64 s0, 19, v0
	s_movk_i32 s1, 0x50
	s_movk_i32 s3, 0x60
	;; [unrolled: 1-line block ×4, first 2 shown]
	s_waitcnt vmcnt(0)
	ds_store_b64 v44, v[41:42]
	s_waitcnt lgkmcnt(0)
	s_waitcnt_vscnt null, 0x0
	s_barrier
	buffer_gl0_inv
	s_and_saveexec_b32 s6, s0
	s_cbranch_execz .LBB19_10
; %bb.5:
	s_and_b32 vcc_lo, exec_lo, s2
	s_cbranch_vccz .LBB19_7
; %bb.6:
	scratch_load_b64 v[41:42], v45, off
	ds_load_b64 v[46:47], v44
	s_waitcnt vmcnt(0) lgkmcnt(0)
	v_mul_f64 v[41:42], v[41:42], v[46:47]
	s_cbranch_execz .LBB19_8
	s_branch .LBB19_9
.LBB19_7:
                                        ; implicit-def: $vgpr41_vgpr42
.LBB19_8:
	ds_load_b64 v[41:42], v44
.LBB19_9:
	v_mov_b32_e32 v46, 0
	ds_load_b64 v[46:47], v46 offset:144
	s_waitcnt lgkmcnt(0)
	v_mul_f64 v[41:42], v[41:42], v[46:47]
	scratch_store_b64 off, v[41:42], off offset:144
.LBB19_10:
	s_or_b32 exec_lo, exec_lo, s6
	scratch_load_b64 v[41:42], off, off offset:136
	v_add_nc_u32_e64 v46, 0, 16
	v_add_nc_u32_e64 v47, 0, 32
	;; [unrolled: 1-line block ×8, first 2 shown]
	v_cmp_lt_u32_e64 s1, 17, v0
	s_waitcnt vmcnt(0)
	ds_store_b64 v44, v[41:42]
	s_waitcnt lgkmcnt(0)
	s_waitcnt_vscnt null, 0x0
	s_barrier
	buffer_gl0_inv
	s_and_saveexec_b32 s3, s1
	s_cbranch_execz .LBB19_18
; %bb.11:
	s_and_not1_b32 vcc_lo, exec_lo, s2
	s_cbranch_vccnz .LBB19_13
; %bb.12:
	scratch_load_b64 v[41:42], v45, off
	ds_load_b64 v[54:55], v44
	s_waitcnt vmcnt(0) lgkmcnt(0)
	v_mul_f64 v[41:42], v[41:42], v[54:55]
	s_cbranch_execz .LBB19_14
	s_branch .LBB19_15
.LBB19_13:
                                        ; implicit-def: $vgpr41_vgpr42
.LBB19_14:
	ds_load_b64 v[41:42], v44
.LBB19_15:
	s_and_saveexec_b32 s4, s0
	s_cbranch_execz .LBB19_17
; %bb.16:
	scratch_load_b64 v[54:55], off, off offset:144
	v_mov_b32_e32 v56, 0
	ds_load_b64 v[56:57], v56 offset:304
	s_waitcnt vmcnt(0) lgkmcnt(0)
	v_fma_f64 v[41:42], v[54:55], v[56:57], v[41:42]
.LBB19_17:
	s_or_b32 exec_lo, exec_lo, s4
	v_mov_b32_e32 v54, 0
	ds_load_b64 v[54:55], v54 offset:136
	s_waitcnt lgkmcnt(0)
	v_mul_f64 v[41:42], v[41:42], v[54:55]
	scratch_store_b64 off, v[41:42], off offset:136
.LBB19_18:
	s_or_b32 exec_lo, exec_lo, s3
	scratch_load_b64 v[41:42], off, off offset:128
	v_cmp_lt_u32_e64 s0, 16, v0
	s_waitcnt vmcnt(0)
	ds_store_b64 v44, v[41:42]
	s_waitcnt lgkmcnt(0)
	s_waitcnt_vscnt null, 0x0
	s_barrier
	buffer_gl0_inv
	s_and_saveexec_b32 s3, s0
	s_cbranch_execz .LBB19_28
; %bb.19:
	s_and_not1_b32 vcc_lo, exec_lo, s2
	s_cbranch_vccnz .LBB19_21
; %bb.20:
	scratch_load_b64 v[41:42], v45, off
	ds_load_b64 v[54:55], v44
	s_waitcnt vmcnt(0) lgkmcnt(0)
	v_mul_f64 v[41:42], v[41:42], v[54:55]
	s_cbranch_execz .LBB19_22
	s_branch .LBB19_23
.LBB19_21:
                                        ; implicit-def: $vgpr41_vgpr42
.LBB19_22:
	ds_load_b64 v[41:42], v44
.LBB19_23:
	s_and_saveexec_b32 s4, s1
	s_cbranch_execz .LBB19_27
; %bb.24:
	v_mov_b32_e32 v54, 0
	v_subrev_nc_u32_e32 v55, 17, v0
	s_movk_i32 s5, 0x128
	s_mov_b32 s1, 0
	s_delay_alu instid0(VALU_DEP_2)
	v_add_nc_u32_e32 v54, 0x88, v54
.LBB19_25:                              ; =>This Inner Loop Header: Depth=1
	scratch_load_b64 v[56:57], v54, off
	v_dual_mov_b32 v58, s5 :: v_dual_add_nc_u32 v55, -1, v55
	v_add_nc_u32_e32 v54, 8, v54
	s_add_i32 s5, s5, 8
	ds_load_b64 v[58:59], v58
	v_cmp_eq_u32_e32 vcc_lo, 0, v55
	s_or_b32 s1, vcc_lo, s1
	s_waitcnt vmcnt(0) lgkmcnt(0)
	v_fma_f64 v[41:42], v[56:57], v[58:59], v[41:42]
	s_and_not1_b32 exec_lo, exec_lo, s1
	s_cbranch_execnz .LBB19_25
; %bb.26:
	s_or_b32 exec_lo, exec_lo, s1
.LBB19_27:
	s_delay_alu instid0(SALU_CYCLE_1)
	s_or_b32 exec_lo, exec_lo, s4
	v_mov_b32_e32 v54, 0
	ds_load_b64 v[54:55], v54 offset:128
	s_waitcnt lgkmcnt(0)
	v_mul_f64 v[41:42], v[41:42], v[54:55]
	scratch_store_b64 off, v[41:42], off offset:128
.LBB19_28:
	s_or_b32 exec_lo, exec_lo, s3
	scratch_load_b64 v[41:42], off, off offset:120
	v_cmp_lt_u32_e64 s1, 15, v0
	s_waitcnt vmcnt(0)
	ds_store_b64 v44, v[41:42]
	s_waitcnt lgkmcnt(0)
	s_waitcnt_vscnt null, 0x0
	s_barrier
	buffer_gl0_inv
	s_and_saveexec_b32 s3, s1
	s_cbranch_execz .LBB19_38
; %bb.29:
	s_and_not1_b32 vcc_lo, exec_lo, s2
	s_cbranch_vccnz .LBB19_31
; %bb.30:
	scratch_load_b64 v[41:42], v45, off
	ds_load_b64 v[54:55], v44
	s_waitcnt vmcnt(0) lgkmcnt(0)
	v_mul_f64 v[41:42], v[41:42], v[54:55]
	s_cbranch_execz .LBB19_32
	s_branch .LBB19_33
.LBB19_31:
                                        ; implicit-def: $vgpr41_vgpr42
.LBB19_32:
	ds_load_b64 v[41:42], v44
.LBB19_33:
	s_and_saveexec_b32 s4, s0
	s_cbranch_execz .LBB19_37
; %bb.34:
	v_add_nc_u32_e32 v54, -16, v0
	s_movk_i32 s5, 0x120
	s_mov_b32 s0, 0
.LBB19_35:                              ; =>This Inner Loop Header: Depth=1
	scratch_load_b64 v[55:56], v53, off
	v_dual_mov_b32 v57, s5 :: v_dual_add_nc_u32 v54, -1, v54
	v_add_nc_u32_e32 v53, 8, v53
	s_add_i32 s5, s5, 8
	ds_load_b64 v[57:58], v57
	v_cmp_eq_u32_e32 vcc_lo, 0, v54
	s_or_b32 s0, vcc_lo, s0
	s_waitcnt vmcnt(0) lgkmcnt(0)
	v_fma_f64 v[41:42], v[55:56], v[57:58], v[41:42]
	s_and_not1_b32 exec_lo, exec_lo, s0
	s_cbranch_execnz .LBB19_35
; %bb.36:
	s_or_b32 exec_lo, exec_lo, s0
.LBB19_37:
	s_delay_alu instid0(SALU_CYCLE_1)
	s_or_b32 exec_lo, exec_lo, s4
	v_mov_b32_e32 v53, 0
	ds_load_b64 v[53:54], v53 offset:120
	s_waitcnt lgkmcnt(0)
	v_mul_f64 v[41:42], v[41:42], v[53:54]
	scratch_store_b64 off, v[41:42], off offset:120
.LBB19_38:
	s_or_b32 exec_lo, exec_lo, s3
	scratch_load_b64 v[41:42], off, off offset:112
	v_cmp_lt_u32_e64 s0, 14, v0
	s_waitcnt vmcnt(0)
	ds_store_b64 v44, v[41:42]
	s_waitcnt lgkmcnt(0)
	s_waitcnt_vscnt null, 0x0
	s_barrier
	buffer_gl0_inv
	s_and_saveexec_b32 s3, s0
	s_cbranch_execz .LBB19_48
; %bb.39:
	s_and_not1_b32 vcc_lo, exec_lo, s2
	s_cbranch_vccnz .LBB19_41
; %bb.40:
	scratch_load_b64 v[41:42], v45, off
	ds_load_b64 v[53:54], v44
	s_waitcnt vmcnt(0) lgkmcnt(0)
	v_mul_f64 v[41:42], v[41:42], v[53:54]
	s_cbranch_execz .LBB19_42
	s_branch .LBB19_43
.LBB19_41:
                                        ; implicit-def: $vgpr41_vgpr42
.LBB19_42:
	ds_load_b64 v[41:42], v44
.LBB19_43:
	s_and_saveexec_b32 s4, s1
	s_cbranch_execz .LBB19_47
; %bb.44:
	v_dual_mov_b32 v53, 0 :: v_dual_add_nc_u32 v54, -15, v0
	s_movk_i32 s5, 0x118
	s_mov_b32 s1, 0
	s_delay_alu instid0(VALU_DEP_1)
	v_add_nc_u32_e32 v53, 0x78, v53
.LBB19_45:                              ; =>This Inner Loop Header: Depth=1
	scratch_load_b64 v[55:56], v53, off
	v_dual_mov_b32 v57, s5 :: v_dual_add_nc_u32 v54, -1, v54
	v_add_nc_u32_e32 v53, 8, v53
	s_add_i32 s5, s5, 8
	ds_load_b64 v[57:58], v57
	v_cmp_eq_u32_e32 vcc_lo, 0, v54
	s_or_b32 s1, vcc_lo, s1
	s_waitcnt vmcnt(0) lgkmcnt(0)
	v_fma_f64 v[41:42], v[55:56], v[57:58], v[41:42]
	s_and_not1_b32 exec_lo, exec_lo, s1
	s_cbranch_execnz .LBB19_45
; %bb.46:
	s_or_b32 exec_lo, exec_lo, s1
.LBB19_47:
	s_delay_alu instid0(SALU_CYCLE_1)
	s_or_b32 exec_lo, exec_lo, s4
	v_mov_b32_e32 v53, 0
	ds_load_b64 v[53:54], v53 offset:112
	s_waitcnt lgkmcnt(0)
	v_mul_f64 v[41:42], v[41:42], v[53:54]
	scratch_store_b64 off, v[41:42], off offset:112
.LBB19_48:
	s_or_b32 exec_lo, exec_lo, s3
	scratch_load_b64 v[41:42], off, off offset:104
	v_cmp_lt_u32_e64 s1, 13, v0
	s_waitcnt vmcnt(0)
	ds_store_b64 v44, v[41:42]
	s_waitcnt lgkmcnt(0)
	s_waitcnt_vscnt null, 0x0
	s_barrier
	buffer_gl0_inv
	s_and_saveexec_b32 s3, s1
	s_cbranch_execz .LBB19_58
; %bb.49:
	s_and_not1_b32 vcc_lo, exec_lo, s2
	s_cbranch_vccnz .LBB19_51
; %bb.50:
	scratch_load_b64 v[41:42], v45, off
	ds_load_b64 v[53:54], v44
	s_waitcnt vmcnt(0) lgkmcnt(0)
	v_mul_f64 v[41:42], v[41:42], v[53:54]
	s_cbranch_execz .LBB19_52
	s_branch .LBB19_53
.LBB19_51:
                                        ; implicit-def: $vgpr41_vgpr42
.LBB19_52:
	ds_load_b64 v[41:42], v44
.LBB19_53:
	s_and_saveexec_b32 s4, s0
	s_cbranch_execz .LBB19_57
; %bb.54:
	v_add_nc_u32_e32 v53, -14, v0
	s_movk_i32 s5, 0x110
	s_mov_b32 s0, 0
.LBB19_55:                              ; =>This Inner Loop Header: Depth=1
	scratch_load_b64 v[54:55], v52, off
	v_dual_mov_b32 v56, s5 :: v_dual_add_nc_u32 v53, -1, v53
	v_add_nc_u32_e32 v52, 8, v52
	s_add_i32 s5, s5, 8
	ds_load_b64 v[56:57], v56
	v_cmp_eq_u32_e32 vcc_lo, 0, v53
	s_or_b32 s0, vcc_lo, s0
	s_waitcnt vmcnt(0) lgkmcnt(0)
	v_fma_f64 v[41:42], v[54:55], v[56:57], v[41:42]
	s_and_not1_b32 exec_lo, exec_lo, s0
	s_cbranch_execnz .LBB19_55
; %bb.56:
	s_or_b32 exec_lo, exec_lo, s0
.LBB19_57:
	s_delay_alu instid0(SALU_CYCLE_1)
	s_or_b32 exec_lo, exec_lo, s4
	v_mov_b32_e32 v52, 0
	ds_load_b64 v[52:53], v52 offset:104
	s_waitcnt lgkmcnt(0)
	v_mul_f64 v[41:42], v[41:42], v[52:53]
	scratch_store_b64 off, v[41:42], off offset:104
.LBB19_58:
	s_or_b32 exec_lo, exec_lo, s3
	scratch_load_b64 v[41:42], off, off offset:96
	v_cmp_lt_u32_e64 s0, 12, v0
	s_waitcnt vmcnt(0)
	ds_store_b64 v44, v[41:42]
	s_waitcnt lgkmcnt(0)
	s_waitcnt_vscnt null, 0x0
	s_barrier
	buffer_gl0_inv
	s_and_saveexec_b32 s3, s0
	s_cbranch_execz .LBB19_68
; %bb.59:
	s_and_not1_b32 vcc_lo, exec_lo, s2
	s_cbranch_vccnz .LBB19_61
; %bb.60:
	scratch_load_b64 v[41:42], v45, off
	ds_load_b64 v[52:53], v44
	s_waitcnt vmcnt(0) lgkmcnt(0)
	v_mul_f64 v[41:42], v[41:42], v[52:53]
	s_cbranch_execz .LBB19_62
	s_branch .LBB19_63
.LBB19_61:
                                        ; implicit-def: $vgpr41_vgpr42
.LBB19_62:
	ds_load_b64 v[41:42], v44
.LBB19_63:
	s_and_saveexec_b32 s4, s1
	s_cbranch_execz .LBB19_67
; %bb.64:
	v_dual_mov_b32 v52, 0 :: v_dual_add_nc_u32 v53, -13, v0
	s_movk_i32 s5, 0x108
	s_mov_b32 s1, 0
	s_delay_alu instid0(VALU_DEP_1)
	v_add_nc_u32_e32 v52, 0x68, v52
.LBB19_65:                              ; =>This Inner Loop Header: Depth=1
	scratch_load_b64 v[54:55], v52, off
	v_dual_mov_b32 v56, s5 :: v_dual_add_nc_u32 v53, -1, v53
	v_add_nc_u32_e32 v52, 8, v52
	s_add_i32 s5, s5, 8
	ds_load_b64 v[56:57], v56
	v_cmp_eq_u32_e32 vcc_lo, 0, v53
	s_or_b32 s1, vcc_lo, s1
	s_waitcnt vmcnt(0) lgkmcnt(0)
	v_fma_f64 v[41:42], v[54:55], v[56:57], v[41:42]
	s_and_not1_b32 exec_lo, exec_lo, s1
	s_cbranch_execnz .LBB19_65
; %bb.66:
	s_or_b32 exec_lo, exec_lo, s1
.LBB19_67:
	s_delay_alu instid0(SALU_CYCLE_1)
	s_or_b32 exec_lo, exec_lo, s4
	v_mov_b32_e32 v52, 0
	ds_load_b64 v[52:53], v52 offset:96
	s_waitcnt lgkmcnt(0)
	v_mul_f64 v[41:42], v[41:42], v[52:53]
	scratch_store_b64 off, v[41:42], off offset:96
.LBB19_68:
	s_or_b32 exec_lo, exec_lo, s3
	scratch_load_b64 v[41:42], off, off offset:88
	v_cmp_lt_u32_e64 s1, 11, v0
	s_waitcnt vmcnt(0)
	ds_store_b64 v44, v[41:42]
	s_waitcnt lgkmcnt(0)
	s_waitcnt_vscnt null, 0x0
	s_barrier
	buffer_gl0_inv
	s_and_saveexec_b32 s3, s1
	s_cbranch_execz .LBB19_78
; %bb.69:
	s_and_not1_b32 vcc_lo, exec_lo, s2
	s_cbranch_vccnz .LBB19_71
; %bb.70:
	scratch_load_b64 v[41:42], v45, off
	ds_load_b64 v[52:53], v44
	s_waitcnt vmcnt(0) lgkmcnt(0)
	v_mul_f64 v[41:42], v[41:42], v[52:53]
	s_cbranch_execz .LBB19_72
	s_branch .LBB19_73
.LBB19_71:
                                        ; implicit-def: $vgpr41_vgpr42
.LBB19_72:
	ds_load_b64 v[41:42], v44
.LBB19_73:
	s_and_saveexec_b32 s4, s0
	s_cbranch_execz .LBB19_77
; %bb.74:
	v_add_nc_u32_e32 v52, -12, v0
	s_movk_i32 s5, 0x100
	s_mov_b32 s0, 0
.LBB19_75:                              ; =>This Inner Loop Header: Depth=1
	scratch_load_b64 v[53:54], v51, off
	v_dual_mov_b32 v55, s5 :: v_dual_add_nc_u32 v52, -1, v52
	v_add_nc_u32_e32 v51, 8, v51
	s_add_i32 s5, s5, 8
	ds_load_b64 v[55:56], v55
	v_cmp_eq_u32_e32 vcc_lo, 0, v52
	s_or_b32 s0, vcc_lo, s0
	s_waitcnt vmcnt(0) lgkmcnt(0)
	v_fma_f64 v[41:42], v[53:54], v[55:56], v[41:42]
	s_and_not1_b32 exec_lo, exec_lo, s0
	s_cbranch_execnz .LBB19_75
; %bb.76:
	s_or_b32 exec_lo, exec_lo, s0
.LBB19_77:
	s_delay_alu instid0(SALU_CYCLE_1)
	s_or_b32 exec_lo, exec_lo, s4
	v_mov_b32_e32 v51, 0
	ds_load_b64 v[51:52], v51 offset:88
	s_waitcnt lgkmcnt(0)
	v_mul_f64 v[41:42], v[41:42], v[51:52]
	scratch_store_b64 off, v[41:42], off offset:88
.LBB19_78:
	s_or_b32 exec_lo, exec_lo, s3
	scratch_load_b64 v[41:42], off, off offset:80
	v_cmp_lt_u32_e64 s0, 10, v0
	s_waitcnt vmcnt(0)
	ds_store_b64 v44, v[41:42]
	s_waitcnt lgkmcnt(0)
	s_waitcnt_vscnt null, 0x0
	s_barrier
	buffer_gl0_inv
	s_and_saveexec_b32 s3, s0
	s_cbranch_execz .LBB19_88
; %bb.79:
	s_and_not1_b32 vcc_lo, exec_lo, s2
	s_cbranch_vccnz .LBB19_81
; %bb.80:
	scratch_load_b64 v[41:42], v45, off
	ds_load_b64 v[51:52], v44
	s_waitcnt vmcnt(0) lgkmcnt(0)
	v_mul_f64 v[41:42], v[41:42], v[51:52]
	s_cbranch_execz .LBB19_82
	s_branch .LBB19_83
.LBB19_81:
                                        ; implicit-def: $vgpr41_vgpr42
.LBB19_82:
	ds_load_b64 v[41:42], v44
.LBB19_83:
	s_and_saveexec_b32 s4, s1
	s_cbranch_execz .LBB19_87
; %bb.84:
	v_dual_mov_b32 v51, 0 :: v_dual_add_nc_u32 v52, -11, v0
	s_movk_i32 s5, 0xf8
	s_mov_b32 s1, 0
	s_delay_alu instid0(VALU_DEP_1)
	v_add_nc_u32_e32 v51, 0x58, v51
.LBB19_85:                              ; =>This Inner Loop Header: Depth=1
	scratch_load_b64 v[53:54], v51, off
	v_dual_mov_b32 v55, s5 :: v_dual_add_nc_u32 v52, -1, v52
	v_add_nc_u32_e32 v51, 8, v51
	s_add_i32 s5, s5, 8
	ds_load_b64 v[55:56], v55
	v_cmp_eq_u32_e32 vcc_lo, 0, v52
	s_or_b32 s1, vcc_lo, s1
	s_waitcnt vmcnt(0) lgkmcnt(0)
	v_fma_f64 v[41:42], v[53:54], v[55:56], v[41:42]
	s_and_not1_b32 exec_lo, exec_lo, s1
	s_cbranch_execnz .LBB19_85
; %bb.86:
	s_or_b32 exec_lo, exec_lo, s1
.LBB19_87:
	s_delay_alu instid0(SALU_CYCLE_1)
	s_or_b32 exec_lo, exec_lo, s4
	v_mov_b32_e32 v51, 0
	ds_load_b64 v[51:52], v51 offset:80
	s_waitcnt lgkmcnt(0)
	v_mul_f64 v[41:42], v[41:42], v[51:52]
	scratch_store_b64 off, v[41:42], off offset:80
.LBB19_88:
	s_or_b32 exec_lo, exec_lo, s3
	scratch_load_b64 v[41:42], off, off offset:72
	v_cmp_lt_u32_e64 s1, 9, v0
	s_waitcnt vmcnt(0)
	ds_store_b64 v44, v[41:42]
	s_waitcnt lgkmcnt(0)
	s_waitcnt_vscnt null, 0x0
	s_barrier
	buffer_gl0_inv
	s_and_saveexec_b32 s3, s1
	s_cbranch_execz .LBB19_98
; %bb.89:
	s_and_not1_b32 vcc_lo, exec_lo, s2
	s_cbranch_vccnz .LBB19_91
; %bb.90:
	scratch_load_b64 v[41:42], v45, off
	ds_load_b64 v[51:52], v44
	s_waitcnt vmcnt(0) lgkmcnt(0)
	v_mul_f64 v[41:42], v[41:42], v[51:52]
	s_cbranch_execz .LBB19_92
	s_branch .LBB19_93
.LBB19_91:
                                        ; implicit-def: $vgpr41_vgpr42
.LBB19_92:
	ds_load_b64 v[41:42], v44
.LBB19_93:
	s_and_saveexec_b32 s4, s0
	s_cbranch_execz .LBB19_97
; %bb.94:
	v_add_nc_u32_e32 v51, -10, v0
	s_movk_i32 s5, 0xf0
	s_mov_b32 s0, 0
.LBB19_95:                              ; =>This Inner Loop Header: Depth=1
	scratch_load_b64 v[52:53], v50, off
	v_dual_mov_b32 v54, s5 :: v_dual_add_nc_u32 v51, -1, v51
	v_add_nc_u32_e32 v50, 8, v50
	s_add_i32 s5, s5, 8
	ds_load_b64 v[54:55], v54
	v_cmp_eq_u32_e32 vcc_lo, 0, v51
	s_or_b32 s0, vcc_lo, s0
	s_waitcnt vmcnt(0) lgkmcnt(0)
	v_fma_f64 v[41:42], v[52:53], v[54:55], v[41:42]
	s_and_not1_b32 exec_lo, exec_lo, s0
	s_cbranch_execnz .LBB19_95
; %bb.96:
	s_or_b32 exec_lo, exec_lo, s0
.LBB19_97:
	s_delay_alu instid0(SALU_CYCLE_1)
	s_or_b32 exec_lo, exec_lo, s4
	v_mov_b32_e32 v50, 0
	ds_load_b64 v[50:51], v50 offset:72
	s_waitcnt lgkmcnt(0)
	v_mul_f64 v[41:42], v[41:42], v[50:51]
	scratch_store_b64 off, v[41:42], off offset:72
.LBB19_98:
	s_or_b32 exec_lo, exec_lo, s3
	scratch_load_b64 v[41:42], off, off offset:64
	v_cmp_lt_u32_e64 s0, 8, v0
	s_waitcnt vmcnt(0)
	ds_store_b64 v44, v[41:42]
	s_waitcnt lgkmcnt(0)
	s_waitcnt_vscnt null, 0x0
	s_barrier
	buffer_gl0_inv
	s_and_saveexec_b32 s3, s0
	s_cbranch_execz .LBB19_108
; %bb.99:
	s_and_not1_b32 vcc_lo, exec_lo, s2
	s_cbranch_vccnz .LBB19_101
; %bb.100:
	scratch_load_b64 v[41:42], v45, off
	ds_load_b64 v[50:51], v44
	s_waitcnt vmcnt(0) lgkmcnt(0)
	v_mul_f64 v[41:42], v[41:42], v[50:51]
	s_cbranch_execz .LBB19_102
	s_branch .LBB19_103
.LBB19_101:
                                        ; implicit-def: $vgpr41_vgpr42
.LBB19_102:
	ds_load_b64 v[41:42], v44
.LBB19_103:
	s_and_saveexec_b32 s4, s1
	s_cbranch_execz .LBB19_107
; %bb.104:
	v_dual_mov_b32 v50, 0 :: v_dual_add_nc_u32 v51, -9, v0
	s_movk_i32 s5, 0xe8
	s_mov_b32 s1, 0
	s_delay_alu instid0(VALU_DEP_1)
	v_add_nc_u32_e32 v50, 0x48, v50
.LBB19_105:                             ; =>This Inner Loop Header: Depth=1
	scratch_load_b64 v[52:53], v50, off
	v_dual_mov_b32 v54, s5 :: v_dual_add_nc_u32 v51, -1, v51
	v_add_nc_u32_e32 v50, 8, v50
	s_add_i32 s5, s5, 8
	ds_load_b64 v[54:55], v54
	v_cmp_eq_u32_e32 vcc_lo, 0, v51
	s_or_b32 s1, vcc_lo, s1
	s_waitcnt vmcnt(0) lgkmcnt(0)
	v_fma_f64 v[41:42], v[52:53], v[54:55], v[41:42]
	s_and_not1_b32 exec_lo, exec_lo, s1
	s_cbranch_execnz .LBB19_105
; %bb.106:
	s_or_b32 exec_lo, exec_lo, s1
.LBB19_107:
	s_delay_alu instid0(SALU_CYCLE_1)
	s_or_b32 exec_lo, exec_lo, s4
	v_mov_b32_e32 v50, 0
	ds_load_b64 v[50:51], v50 offset:64
	s_waitcnt lgkmcnt(0)
	v_mul_f64 v[41:42], v[41:42], v[50:51]
	scratch_store_b64 off, v[41:42], off offset:64
.LBB19_108:
	s_or_b32 exec_lo, exec_lo, s3
	scratch_load_b64 v[41:42], off, off offset:56
	v_cmp_lt_u32_e64 s1, 7, v0
	s_waitcnt vmcnt(0)
	ds_store_b64 v44, v[41:42]
	s_waitcnt lgkmcnt(0)
	s_waitcnt_vscnt null, 0x0
	s_barrier
	buffer_gl0_inv
	s_and_saveexec_b32 s3, s1
	s_cbranch_execz .LBB19_118
; %bb.109:
	s_and_not1_b32 vcc_lo, exec_lo, s2
	s_cbranch_vccnz .LBB19_111
; %bb.110:
	scratch_load_b64 v[41:42], v45, off
	ds_load_b64 v[50:51], v44
	s_waitcnt vmcnt(0) lgkmcnt(0)
	v_mul_f64 v[41:42], v[41:42], v[50:51]
	s_cbranch_execz .LBB19_112
	s_branch .LBB19_113
.LBB19_111:
                                        ; implicit-def: $vgpr41_vgpr42
.LBB19_112:
	ds_load_b64 v[41:42], v44
.LBB19_113:
	s_and_saveexec_b32 s4, s0
	s_cbranch_execz .LBB19_117
; %bb.114:
	v_add_nc_u32_e32 v50, -8, v0
	s_movk_i32 s5, 0xe0
	s_mov_b32 s0, 0
.LBB19_115:                             ; =>This Inner Loop Header: Depth=1
	scratch_load_b64 v[51:52], v49, off
	v_dual_mov_b32 v53, s5 :: v_dual_add_nc_u32 v50, -1, v50
	v_add_nc_u32_e32 v49, 8, v49
	s_add_i32 s5, s5, 8
	ds_load_b64 v[53:54], v53
	v_cmp_eq_u32_e32 vcc_lo, 0, v50
	s_or_b32 s0, vcc_lo, s0
	s_waitcnt vmcnt(0) lgkmcnt(0)
	v_fma_f64 v[41:42], v[51:52], v[53:54], v[41:42]
	s_and_not1_b32 exec_lo, exec_lo, s0
	s_cbranch_execnz .LBB19_115
; %bb.116:
	s_or_b32 exec_lo, exec_lo, s0
.LBB19_117:
	s_delay_alu instid0(SALU_CYCLE_1)
	s_or_b32 exec_lo, exec_lo, s4
	v_mov_b32_e32 v49, 0
	ds_load_b64 v[49:50], v49 offset:56
	s_waitcnt lgkmcnt(0)
	v_mul_f64 v[41:42], v[41:42], v[49:50]
	scratch_store_b64 off, v[41:42], off offset:56
.LBB19_118:
	s_or_b32 exec_lo, exec_lo, s3
	scratch_load_b64 v[41:42], off, off offset:48
	v_cmp_lt_u32_e64 s0, 6, v0
	s_waitcnt vmcnt(0)
	ds_store_b64 v44, v[41:42]
	s_waitcnt lgkmcnt(0)
	s_waitcnt_vscnt null, 0x0
	s_barrier
	buffer_gl0_inv
	s_and_saveexec_b32 s3, s0
	s_cbranch_execz .LBB19_128
; %bb.119:
	s_and_not1_b32 vcc_lo, exec_lo, s2
	s_cbranch_vccnz .LBB19_121
; %bb.120:
	scratch_load_b64 v[41:42], v45, off
	ds_load_b64 v[49:50], v44
	s_waitcnt vmcnt(0) lgkmcnt(0)
	v_mul_f64 v[41:42], v[41:42], v[49:50]
	s_cbranch_execz .LBB19_122
	s_branch .LBB19_123
.LBB19_121:
                                        ; implicit-def: $vgpr41_vgpr42
.LBB19_122:
	ds_load_b64 v[41:42], v44
.LBB19_123:
	s_and_saveexec_b32 s4, s1
	s_cbranch_execz .LBB19_127
; %bb.124:
	v_add_nc_u32_e64 v49, 0, 56
	v_add_nc_u32_e32 v50, -7, v0
	s_movk_i32 s5, 0xd8
	s_mov_b32 s1, 0
.LBB19_125:                             ; =>This Inner Loop Header: Depth=1
	scratch_load_b64 v[51:52], v49, off
	v_dual_mov_b32 v53, s5 :: v_dual_add_nc_u32 v50, -1, v50
	v_add_nc_u32_e32 v49, 8, v49
	s_add_i32 s5, s5, 8
	ds_load_b64 v[53:54], v53
	v_cmp_eq_u32_e32 vcc_lo, 0, v50
	s_or_b32 s1, vcc_lo, s1
	s_waitcnt vmcnt(0) lgkmcnt(0)
	v_fma_f64 v[41:42], v[51:52], v[53:54], v[41:42]
	s_and_not1_b32 exec_lo, exec_lo, s1
	s_cbranch_execnz .LBB19_125
; %bb.126:
	s_or_b32 exec_lo, exec_lo, s1
.LBB19_127:
	s_delay_alu instid0(SALU_CYCLE_1)
	s_or_b32 exec_lo, exec_lo, s4
	v_mov_b32_e32 v49, 0
	ds_load_b64 v[49:50], v49 offset:48
	s_waitcnt lgkmcnt(0)
	v_mul_f64 v[41:42], v[41:42], v[49:50]
	scratch_store_b64 off, v[41:42], off offset:48
.LBB19_128:
	s_or_b32 exec_lo, exec_lo, s3
	scratch_load_b64 v[41:42], off, off offset:40
	v_cmp_lt_u32_e64 s1, 5, v0
	s_waitcnt vmcnt(0)
	ds_store_b64 v44, v[41:42]
	s_waitcnt lgkmcnt(0)
	s_waitcnt_vscnt null, 0x0
	s_barrier
	buffer_gl0_inv
	s_and_saveexec_b32 s3, s1
	s_cbranch_execz .LBB19_138
; %bb.129:
	s_and_not1_b32 vcc_lo, exec_lo, s2
	s_cbranch_vccnz .LBB19_131
; %bb.130:
	scratch_load_b64 v[41:42], v45, off
	ds_load_b64 v[49:50], v44
	s_waitcnt vmcnt(0) lgkmcnt(0)
	v_mul_f64 v[41:42], v[41:42], v[49:50]
	s_cbranch_execz .LBB19_132
	s_branch .LBB19_133
.LBB19_131:
                                        ; implicit-def: $vgpr41_vgpr42
.LBB19_132:
	ds_load_b64 v[41:42], v44
.LBB19_133:
	s_and_saveexec_b32 s4, s0
	s_cbranch_execz .LBB19_137
; %bb.134:
	v_add_nc_u32_e32 v49, -6, v0
	s_movk_i32 s5, 0xd0
	s_mov_b32 s0, 0
.LBB19_135:                             ; =>This Inner Loop Header: Depth=1
	scratch_load_b64 v[50:51], v48, off
	v_dual_mov_b32 v52, s5 :: v_dual_add_nc_u32 v49, -1, v49
	v_add_nc_u32_e32 v48, 8, v48
	s_add_i32 s5, s5, 8
	ds_load_b64 v[52:53], v52
	v_cmp_eq_u32_e32 vcc_lo, 0, v49
	s_or_b32 s0, vcc_lo, s0
	s_waitcnt vmcnt(0) lgkmcnt(0)
	v_fma_f64 v[41:42], v[50:51], v[52:53], v[41:42]
	s_and_not1_b32 exec_lo, exec_lo, s0
	s_cbranch_execnz .LBB19_135
; %bb.136:
	s_or_b32 exec_lo, exec_lo, s0
.LBB19_137:
	s_delay_alu instid0(SALU_CYCLE_1)
	s_or_b32 exec_lo, exec_lo, s4
	v_mov_b32_e32 v48, 0
	ds_load_b64 v[48:49], v48 offset:40
	s_waitcnt lgkmcnt(0)
	v_mul_f64 v[41:42], v[41:42], v[48:49]
	scratch_store_b64 off, v[41:42], off offset:40
.LBB19_138:
	s_or_b32 exec_lo, exec_lo, s3
	scratch_load_b64 v[41:42], off, off offset:32
	v_cmp_lt_u32_e64 s0, 4, v0
	s_waitcnt vmcnt(0)
	ds_store_b64 v44, v[41:42]
	s_waitcnt lgkmcnt(0)
	s_waitcnt_vscnt null, 0x0
	s_barrier
	buffer_gl0_inv
	s_and_saveexec_b32 s3, s0
	s_cbranch_execz .LBB19_148
; %bb.139:
	s_and_not1_b32 vcc_lo, exec_lo, s2
	s_cbranch_vccnz .LBB19_141
; %bb.140:
	scratch_load_b64 v[41:42], v45, off
	ds_load_b64 v[48:49], v44
	s_waitcnt vmcnt(0) lgkmcnt(0)
	v_mul_f64 v[41:42], v[41:42], v[48:49]
	s_cbranch_execz .LBB19_142
	s_branch .LBB19_143
.LBB19_141:
                                        ; implicit-def: $vgpr41_vgpr42
.LBB19_142:
	ds_load_b64 v[41:42], v44
.LBB19_143:
	s_and_saveexec_b32 s4, s1
	s_cbranch_execz .LBB19_147
; %bb.144:
	v_add_nc_u32_e64 v48, 0, 40
	v_add_nc_u32_e32 v49, -5, v0
	s_movk_i32 s5, 0xc8
	s_mov_b32 s1, 0
.LBB19_145:                             ; =>This Inner Loop Header: Depth=1
	scratch_load_b64 v[50:51], v48, off
	v_dual_mov_b32 v52, s5 :: v_dual_add_nc_u32 v49, -1, v49
	v_add_nc_u32_e32 v48, 8, v48
	s_add_i32 s5, s5, 8
	ds_load_b64 v[52:53], v52
	v_cmp_eq_u32_e32 vcc_lo, 0, v49
	s_or_b32 s1, vcc_lo, s1
	s_waitcnt vmcnt(0) lgkmcnt(0)
	v_fma_f64 v[41:42], v[50:51], v[52:53], v[41:42]
	s_and_not1_b32 exec_lo, exec_lo, s1
	s_cbranch_execnz .LBB19_145
; %bb.146:
	s_or_b32 exec_lo, exec_lo, s1
.LBB19_147:
	s_delay_alu instid0(SALU_CYCLE_1)
	s_or_b32 exec_lo, exec_lo, s4
	v_mov_b32_e32 v48, 0
	ds_load_b64 v[48:49], v48 offset:32
	s_waitcnt lgkmcnt(0)
	v_mul_f64 v[41:42], v[41:42], v[48:49]
	scratch_store_b64 off, v[41:42], off offset:32
.LBB19_148:
	s_or_b32 exec_lo, exec_lo, s3
	scratch_load_b64 v[41:42], off, off offset:24
	v_cmp_lt_u32_e64 s1, 3, v0
	s_waitcnt vmcnt(0)
	ds_store_b64 v44, v[41:42]
	s_waitcnt lgkmcnt(0)
	s_waitcnt_vscnt null, 0x0
	s_barrier
	buffer_gl0_inv
	s_and_saveexec_b32 s3, s1
	s_cbranch_execz .LBB19_158
; %bb.149:
	s_and_not1_b32 vcc_lo, exec_lo, s2
	s_cbranch_vccnz .LBB19_151
; %bb.150:
	scratch_load_b64 v[41:42], v45, off
	ds_load_b64 v[48:49], v44
	s_waitcnt vmcnt(0) lgkmcnt(0)
	v_mul_f64 v[41:42], v[41:42], v[48:49]
	s_cbranch_execz .LBB19_152
	s_branch .LBB19_153
.LBB19_151:
                                        ; implicit-def: $vgpr41_vgpr42
.LBB19_152:
	ds_load_b64 v[41:42], v44
.LBB19_153:
	s_and_saveexec_b32 s4, s0
	s_cbranch_execz .LBB19_157
; %bb.154:
	v_add_nc_u32_e32 v48, -4, v0
	s_movk_i32 s5, 0xc0
	s_mov_b32 s0, 0
.LBB19_155:                             ; =>This Inner Loop Header: Depth=1
	scratch_load_b64 v[49:50], v47, off
	v_dual_mov_b32 v51, s5 :: v_dual_add_nc_u32 v48, -1, v48
	v_add_nc_u32_e32 v47, 8, v47
	s_add_i32 s5, s5, 8
	ds_load_b64 v[51:52], v51
	v_cmp_eq_u32_e32 vcc_lo, 0, v48
	s_or_b32 s0, vcc_lo, s0
	s_waitcnt vmcnt(0) lgkmcnt(0)
	v_fma_f64 v[41:42], v[49:50], v[51:52], v[41:42]
	s_and_not1_b32 exec_lo, exec_lo, s0
	s_cbranch_execnz .LBB19_155
; %bb.156:
	s_or_b32 exec_lo, exec_lo, s0
.LBB19_157:
	s_delay_alu instid0(SALU_CYCLE_1)
	s_or_b32 exec_lo, exec_lo, s4
	v_mov_b32_e32 v47, 0
	ds_load_b64 v[47:48], v47 offset:24
	s_waitcnt lgkmcnt(0)
	v_mul_f64 v[41:42], v[41:42], v[47:48]
	scratch_store_b64 off, v[41:42], off offset:24
.LBB19_158:
	s_or_b32 exec_lo, exec_lo, s3
	scratch_load_b64 v[41:42], off, off offset:16
	v_cmp_lt_u32_e64 s0, 2, v0
	s_waitcnt vmcnt(0)
	ds_store_b64 v44, v[41:42]
	s_waitcnt lgkmcnt(0)
	s_waitcnt_vscnt null, 0x0
	s_barrier
	buffer_gl0_inv
	s_and_saveexec_b32 s3, s0
	s_cbranch_execz .LBB19_168
; %bb.159:
	s_and_not1_b32 vcc_lo, exec_lo, s2
	s_cbranch_vccnz .LBB19_161
; %bb.160:
	scratch_load_b64 v[41:42], v45, off
	ds_load_b64 v[47:48], v44
	s_waitcnt vmcnt(0) lgkmcnt(0)
	v_mul_f64 v[41:42], v[41:42], v[47:48]
	s_cbranch_execz .LBB19_162
	s_branch .LBB19_163
.LBB19_161:
                                        ; implicit-def: $vgpr41_vgpr42
.LBB19_162:
	ds_load_b64 v[41:42], v44
.LBB19_163:
	s_and_saveexec_b32 s4, s1
	s_cbranch_execz .LBB19_167
; %bb.164:
	v_add_nc_u32_e64 v47, 0, 24
	v_add_nc_u32_e32 v48, -3, v0
	s_movk_i32 s5, 0xb8
	s_mov_b32 s1, 0
.LBB19_165:                             ; =>This Inner Loop Header: Depth=1
	scratch_load_b64 v[49:50], v47, off
	v_dual_mov_b32 v51, s5 :: v_dual_add_nc_u32 v48, -1, v48
	v_add_nc_u32_e32 v47, 8, v47
	s_add_i32 s5, s5, 8
	ds_load_b64 v[51:52], v51
	v_cmp_eq_u32_e32 vcc_lo, 0, v48
	s_or_b32 s1, vcc_lo, s1
	s_waitcnt vmcnt(0) lgkmcnt(0)
	v_fma_f64 v[41:42], v[49:50], v[51:52], v[41:42]
	s_and_not1_b32 exec_lo, exec_lo, s1
	s_cbranch_execnz .LBB19_165
; %bb.166:
	s_or_b32 exec_lo, exec_lo, s1
.LBB19_167:
	s_delay_alu instid0(SALU_CYCLE_1)
	s_or_b32 exec_lo, exec_lo, s4
	v_mov_b32_e32 v47, 0
	ds_load_b64 v[47:48], v47 offset:16
	s_waitcnt lgkmcnt(0)
	v_mul_f64 v[41:42], v[41:42], v[47:48]
	scratch_store_b64 off, v[41:42], off offset:16
.LBB19_168:
	s_or_b32 exec_lo, exec_lo, s3
	scratch_load_b64 v[41:42], off, off offset:8
	v_cmp_lt_u32_e64 s1, 1, v0
	s_waitcnt vmcnt(0)
	ds_store_b64 v44, v[41:42]
	s_waitcnt lgkmcnt(0)
	s_waitcnt_vscnt null, 0x0
	s_barrier
	buffer_gl0_inv
	s_and_saveexec_b32 s3, s1
	s_cbranch_execz .LBB19_178
; %bb.169:
	s_and_not1_b32 vcc_lo, exec_lo, s2
	s_cbranch_vccnz .LBB19_171
; %bb.170:
	scratch_load_b64 v[41:42], v45, off
	ds_load_b64 v[47:48], v44
	s_waitcnt vmcnt(0) lgkmcnt(0)
	v_mul_f64 v[41:42], v[41:42], v[47:48]
	s_cbranch_execz .LBB19_172
	s_branch .LBB19_173
.LBB19_171:
                                        ; implicit-def: $vgpr41_vgpr42
.LBB19_172:
	ds_load_b64 v[41:42], v44
.LBB19_173:
	s_and_saveexec_b32 s4, s0
	s_cbranch_execz .LBB19_177
; %bb.174:
	v_add_nc_u32_e32 v47, -2, v0
	s_movk_i32 s5, 0xb0
	s_mov_b32 s0, 0
.LBB19_175:                             ; =>This Inner Loop Header: Depth=1
	scratch_load_b64 v[48:49], v46, off
	v_dual_mov_b32 v50, s5 :: v_dual_add_nc_u32 v47, -1, v47
	v_add_nc_u32_e32 v46, 8, v46
	s_add_i32 s5, s5, 8
	ds_load_b64 v[50:51], v50
	v_cmp_eq_u32_e32 vcc_lo, 0, v47
	s_or_b32 s0, vcc_lo, s0
	s_waitcnt vmcnt(0) lgkmcnt(0)
	v_fma_f64 v[41:42], v[48:49], v[50:51], v[41:42]
	s_and_not1_b32 exec_lo, exec_lo, s0
	s_cbranch_execnz .LBB19_175
; %bb.176:
	s_or_b32 exec_lo, exec_lo, s0
.LBB19_177:
	s_delay_alu instid0(SALU_CYCLE_1)
	s_or_b32 exec_lo, exec_lo, s4
	v_mov_b32_e32 v46, 0
	ds_load_b64 v[46:47], v46 offset:8
	s_waitcnt lgkmcnt(0)
	v_mul_f64 v[41:42], v[41:42], v[46:47]
	scratch_store_b64 off, v[41:42], off offset:8
.LBB19_178:
	s_or_b32 exec_lo, exec_lo, s3
	scratch_load_b64 v[41:42], off, off
	s_mov_b32 s0, 0
	s_mov_b32 s3, exec_lo
	s_waitcnt vmcnt(0)
	ds_store_b64 v44, v[41:42]
	s_waitcnt lgkmcnt(0)
	s_waitcnt_vscnt null, 0x0
	s_barrier
	buffer_gl0_inv
	v_cmpx_ne_u32_e32 0, v0
	s_cbranch_execz .LBB19_188
; %bb.179:
	s_and_not1_b32 vcc_lo, exec_lo, s2
	s_cbranch_vccnz .LBB19_181
; %bb.180:
	scratch_load_b64 v[41:42], v45, off
	ds_load_b64 v[46:47], v44
	s_waitcnt vmcnt(0) lgkmcnt(0)
	v_mul_f64 v[41:42], v[41:42], v[46:47]
	s_cbranch_execz .LBB19_182
	s_branch .LBB19_183
.LBB19_181:
                                        ; implicit-def: $vgpr41_vgpr42
.LBB19_182:
	ds_load_b64 v[41:42], v44
.LBB19_183:
	s_and_saveexec_b32 s4, s1
	s_cbranch_execz .LBB19_187
; %bb.184:
	v_or_b32_e64 v46, 0, 8
	v_add_nc_u32_e32 v47, -1, v0
	s_movk_i32 s5, 0xa8
	s_mov_b32 s1, 0
.LBB19_185:                             ; =>This Inner Loop Header: Depth=1
	scratch_load_b64 v[48:49], v46, off
	v_dual_mov_b32 v50, s5 :: v_dual_add_nc_u32 v47, -1, v47
	v_add_nc_u32_e32 v46, 8, v46
	s_add_i32 s5, s5, 8
	ds_load_b64 v[50:51], v50
	v_cmp_eq_u32_e32 vcc_lo, 0, v47
	s_or_b32 s1, vcc_lo, s1
	s_waitcnt vmcnt(0) lgkmcnt(0)
	v_fma_f64 v[41:42], v[48:49], v[50:51], v[41:42]
	s_and_not1_b32 exec_lo, exec_lo, s1
	s_cbranch_execnz .LBB19_185
; %bb.186:
	s_or_b32 exec_lo, exec_lo, s1
.LBB19_187:
	s_delay_alu instid0(SALU_CYCLE_1)
	s_or_b32 exec_lo, exec_lo, s4
	v_mov_b32_e32 v46, 0
	ds_load_b64 v[46:47], v46
	s_waitcnt lgkmcnt(0)
	v_mul_f64 v[41:42], v[41:42], v[46:47]
	scratch_store_b64 off, v[41:42], off
.LBB19_188:
	s_or_b32 exec_lo, exec_lo, s3
.LBB19_189:
	s_delay_alu instid0(SALU_CYCLE_1)
	s_and_b32 vcc_lo, exec_lo, s0
	s_cbranch_vccz .LBB19_375
; %bb.190:
	scratch_load_b64 v[41:42], off, off offset:8
	v_cmp_eq_u32_e64 s0, 0, v0
	s_waitcnt vmcnt(0)
	ds_store_b64 v44, v[41:42]
	s_waitcnt lgkmcnt(0)
	s_waitcnt_vscnt null, 0x0
	s_barrier
	buffer_gl0_inv
	s_and_saveexec_b32 s1, s0
	s_cbranch_execz .LBB19_196
; %bb.191:
	s_and_b32 vcc_lo, exec_lo, s2
	s_cbranch_vccz .LBB19_193
; %bb.192:
	scratch_load_b64 v[41:42], v45, off
	ds_load_b64 v[46:47], v44
	s_waitcnt vmcnt(0) lgkmcnt(0)
	v_mul_f64 v[41:42], v[41:42], v[46:47]
	s_cbranch_execz .LBB19_194
	s_branch .LBB19_195
.LBB19_193:
                                        ; implicit-def: $vgpr41_vgpr42
.LBB19_194:
	ds_load_b64 v[41:42], v44
.LBB19_195:
	v_mov_b32_e32 v46, 0
	ds_load_b64 v[46:47], v46 offset:8
	s_waitcnt lgkmcnt(0)
	v_mul_f64 v[41:42], v[41:42], v[46:47]
	scratch_store_b64 off, v[41:42], off offset:8
.LBB19_196:
	s_or_b32 exec_lo, exec_lo, s1
	scratch_load_b64 v[41:42], off, off offset:16
	v_cndmask_b32_e64 v46, 0, 1, s2
	s_mov_b32 s1, exec_lo
	s_waitcnt vmcnt(0)
	ds_store_b64 v44, v[41:42]
	s_waitcnt lgkmcnt(0)
	s_waitcnt_vscnt null, 0x0
	s_barrier
	buffer_gl0_inv
	v_cmpx_gt_u32_e32 2, v0
	s_cbranch_execz .LBB19_204
; %bb.197:
	s_and_not1_b32 vcc_lo, exec_lo, s2
	s_cbranch_vccnz .LBB19_199
; %bb.198:
	scratch_load_b64 v[41:42], v45, off
	ds_load_b64 v[47:48], v44
	s_waitcnt vmcnt(0) lgkmcnt(0)
	v_mul_f64 v[41:42], v[41:42], v[47:48]
	s_cbranch_execz .LBB19_200
	s_branch .LBB19_201
.LBB19_199:
                                        ; implicit-def: $vgpr41_vgpr42
.LBB19_200:
	ds_load_b64 v[41:42], v44
.LBB19_201:
	s_and_saveexec_b32 s2, s0
	s_cbranch_execz .LBB19_203
; %bb.202:
	scratch_load_b64 v[47:48], v45, off offset:8
	ds_load_b64 v[49:50], v44 offset:8
	s_waitcnt vmcnt(0) lgkmcnt(0)
	v_fma_f64 v[41:42], v[47:48], v[49:50], v[41:42]
.LBB19_203:
	s_or_b32 exec_lo, exec_lo, s2
	v_mov_b32_e32 v47, 0
	ds_load_b64 v[47:48], v47 offset:16
	s_waitcnt lgkmcnt(0)
	v_mul_f64 v[41:42], v[41:42], v[47:48]
	scratch_store_b64 off, v[41:42], off offset:16
.LBB19_204:
	s_or_b32 exec_lo, exec_lo, s1
	scratch_load_b64 v[41:42], off, off offset:24
	s_mov_b32 s1, exec_lo
	s_waitcnt vmcnt(0)
	ds_store_b64 v44, v[41:42]
	s_waitcnt lgkmcnt(0)
	s_waitcnt_vscnt null, 0x0
	s_barrier
	buffer_gl0_inv
	v_cmpx_gt_u32_e32 3, v0
	s_cbranch_execz .LBB19_214
; %bb.205:
	v_cmp_ne_u32_e32 vcc_lo, 1, v46
	s_cbranch_vccnz .LBB19_207
; %bb.206:
	scratch_load_b64 v[41:42], v45, off
	ds_load_b64 v[47:48], v44
	s_waitcnt vmcnt(0) lgkmcnt(0)
	v_mul_f64 v[41:42], v[41:42], v[47:48]
	s_cbranch_execz .LBB19_208
	s_branch .LBB19_209
.LBB19_207:
                                        ; implicit-def: $vgpr41_vgpr42
.LBB19_208:
	ds_load_b64 v[41:42], v44
.LBB19_209:
	s_mov_b32 s2, exec_lo
	v_cmpx_ne_u32_e32 2, v0
	s_cbranch_execz .LBB19_213
; %bb.210:
	scratch_load_b64 v[47:48], v45, off offset:8
	ds_load_b64 v[49:50], v44 offset:8
	s_waitcnt vmcnt(0) lgkmcnt(0)
	v_fma_f64 v[41:42], v[47:48], v[49:50], v[41:42]
	s_and_saveexec_b32 s3, s0
	s_cbranch_execz .LBB19_212
; %bb.211:
	scratch_load_b64 v[47:48], off, off offset:16
	v_mov_b32_e32 v49, 0
	ds_load_b64 v[49:50], v49 offset:176
	s_waitcnt vmcnt(0) lgkmcnt(0)
	v_fma_f64 v[41:42], v[47:48], v[49:50], v[41:42]
.LBB19_212:
	s_or_b32 exec_lo, exec_lo, s3
.LBB19_213:
	s_delay_alu instid0(SALU_CYCLE_1)
	s_or_b32 exec_lo, exec_lo, s2
	v_mov_b32_e32 v47, 0
	ds_load_b64 v[47:48], v47 offset:24
	s_waitcnt lgkmcnt(0)
	v_mul_f64 v[41:42], v[41:42], v[47:48]
	scratch_store_b64 off, v[41:42], off offset:24
.LBB19_214:
	s_or_b32 exec_lo, exec_lo, s1
	scratch_load_b64 v[41:42], off, off offset:32
	s_mov_b32 s0, exec_lo
	s_waitcnt vmcnt(0)
	ds_store_b64 v44, v[41:42]
	s_waitcnt lgkmcnt(0)
	s_waitcnt_vscnt null, 0x0
	s_barrier
	buffer_gl0_inv
	v_cmpx_gt_u32_e32 4, v0
	s_cbranch_execz .LBB19_224
; %bb.215:
	v_cmp_ne_u32_e32 vcc_lo, 1, v46
	s_cbranch_vccnz .LBB19_217
; %bb.216:
	scratch_load_b64 v[41:42], v45, off
	ds_load_b64 v[47:48], v44
	s_waitcnt vmcnt(0) lgkmcnt(0)
	v_mul_f64 v[41:42], v[41:42], v[47:48]
	s_cbranch_execz .LBB19_218
	s_branch .LBB19_219
.LBB19_217:
                                        ; implicit-def: $vgpr41_vgpr42
.LBB19_218:
	ds_load_b64 v[41:42], v44
.LBB19_219:
	s_mov_b32 s1, exec_lo
	v_cmpx_ne_u32_e32 3, v0
	s_cbranch_execz .LBB19_223
; %bb.220:
	v_add_nc_u32_e32 v47, 0xa8, v43
	v_add3_u32 v48, 0, v43, 8
	v_mov_b32_e32 v49, v0
	s_mov_b32 s2, 0
.LBB19_221:                             ; =>This Inner Loop Header: Depth=1
	scratch_load_b64 v[50:51], v48, off
	ds_load_b64 v[52:53], v47
	v_add_nc_u32_e32 v49, 1, v49
	v_add_nc_u32_e32 v47, 8, v47
	v_add_nc_u32_e32 v48, 8, v48
	s_delay_alu instid0(VALU_DEP_3)
	v_cmp_lt_u32_e32 vcc_lo, 2, v49
	s_or_b32 s2, vcc_lo, s2
	s_waitcnt vmcnt(0) lgkmcnt(0)
	v_fma_f64 v[41:42], v[50:51], v[52:53], v[41:42]
	s_and_not1_b32 exec_lo, exec_lo, s2
	s_cbranch_execnz .LBB19_221
; %bb.222:
	s_or_b32 exec_lo, exec_lo, s2
.LBB19_223:
	s_delay_alu instid0(SALU_CYCLE_1)
	s_or_b32 exec_lo, exec_lo, s1
	v_mov_b32_e32 v47, 0
	ds_load_b64 v[47:48], v47 offset:32
	s_waitcnt lgkmcnt(0)
	v_mul_f64 v[41:42], v[41:42], v[47:48]
	scratch_store_b64 off, v[41:42], off offset:32
.LBB19_224:
	s_or_b32 exec_lo, exec_lo, s0
	scratch_load_b64 v[41:42], off, off offset:40
	s_mov_b32 s0, exec_lo
	s_waitcnt vmcnt(0)
	ds_store_b64 v44, v[41:42]
	s_waitcnt lgkmcnt(0)
	s_waitcnt_vscnt null, 0x0
	s_barrier
	buffer_gl0_inv
	v_cmpx_gt_u32_e32 5, v0
	s_cbranch_execz .LBB19_234
; %bb.225:
	v_cmp_ne_u32_e32 vcc_lo, 1, v46
	s_cbranch_vccnz .LBB19_227
; %bb.226:
	scratch_load_b64 v[41:42], v45, off
	ds_load_b64 v[47:48], v44
	s_waitcnt vmcnt(0) lgkmcnt(0)
	v_mul_f64 v[41:42], v[41:42], v[47:48]
	s_cbranch_execz .LBB19_228
	s_branch .LBB19_229
.LBB19_227:
                                        ; implicit-def: $vgpr41_vgpr42
.LBB19_228:
	ds_load_b64 v[41:42], v44
.LBB19_229:
	s_mov_b32 s1, exec_lo
	v_cmpx_ne_u32_e32 4, v0
	s_cbranch_execz .LBB19_233
; %bb.230:
	v_add_nc_u32_e32 v47, 0xa8, v43
	v_add3_u32 v48, 0, v43, 8
	v_mov_b32_e32 v49, v0
	s_mov_b32 s2, 0
.LBB19_231:                             ; =>This Inner Loop Header: Depth=1
	scratch_load_b64 v[50:51], v48, off
	ds_load_b64 v[52:53], v47
	v_add_nc_u32_e32 v49, 1, v49
	v_add_nc_u32_e32 v47, 8, v47
	v_add_nc_u32_e32 v48, 8, v48
	s_delay_alu instid0(VALU_DEP_3)
	v_cmp_lt_u32_e32 vcc_lo, 3, v49
	s_or_b32 s2, vcc_lo, s2
	s_waitcnt vmcnt(0) lgkmcnt(0)
	v_fma_f64 v[41:42], v[50:51], v[52:53], v[41:42]
	s_and_not1_b32 exec_lo, exec_lo, s2
	s_cbranch_execnz .LBB19_231
; %bb.232:
	s_or_b32 exec_lo, exec_lo, s2
.LBB19_233:
	s_delay_alu instid0(SALU_CYCLE_1)
	s_or_b32 exec_lo, exec_lo, s1
	v_mov_b32_e32 v47, 0
	ds_load_b64 v[47:48], v47 offset:40
	s_waitcnt lgkmcnt(0)
	v_mul_f64 v[41:42], v[41:42], v[47:48]
	scratch_store_b64 off, v[41:42], off offset:40
.LBB19_234:
	;; [unrolled: 58-line block ×14, first 2 shown]
	s_or_b32 exec_lo, exec_lo, s0
	scratch_load_b64 v[41:42], off, off offset:144
	v_cmp_gt_u32_e64 s0, 18, v0
	s_waitcnt vmcnt(0)
	ds_store_b64 v44, v[41:42]
	s_waitcnt lgkmcnt(0)
	s_waitcnt_vscnt null, 0x0
	s_barrier
	buffer_gl0_inv
	s_and_saveexec_b32 s1, s0
	s_cbranch_execz .LBB19_364
; %bb.355:
	v_cmp_ne_u32_e32 vcc_lo, 1, v46
	s_cbranch_vccnz .LBB19_357
; %bb.356:
	scratch_load_b64 v[41:42], v45, off
	ds_load_b64 v[47:48], v44
	s_waitcnt vmcnt(0) lgkmcnt(0)
	v_mul_f64 v[41:42], v[41:42], v[47:48]
	s_cbranch_execz .LBB19_358
	s_branch .LBB19_359
.LBB19_357:
                                        ; implicit-def: $vgpr41_vgpr42
.LBB19_358:
	ds_load_b64 v[41:42], v44
.LBB19_359:
	s_mov_b32 s2, exec_lo
	v_cmpx_ne_u32_e32 17, v0
	s_cbranch_execz .LBB19_363
; %bb.360:
	v_add_nc_u32_e32 v47, 0xa8, v43
	v_add3_u32 v48, 0, v43, 8
	v_mov_b32_e32 v49, v0
	s_mov_b32 s3, 0
.LBB19_361:                             ; =>This Inner Loop Header: Depth=1
	scratch_load_b64 v[50:51], v48, off
	ds_load_b64 v[52:53], v47
	v_add_nc_u32_e32 v49, 1, v49
	v_add_nc_u32_e32 v47, 8, v47
	;; [unrolled: 1-line block ×3, first 2 shown]
	s_delay_alu instid0(VALU_DEP_3)
	v_cmp_lt_u32_e32 vcc_lo, 16, v49
	s_or_b32 s3, vcc_lo, s3
	s_waitcnt vmcnt(0) lgkmcnt(0)
	v_fma_f64 v[41:42], v[50:51], v[52:53], v[41:42]
	s_and_not1_b32 exec_lo, exec_lo, s3
	s_cbranch_execnz .LBB19_361
; %bb.362:
	s_or_b32 exec_lo, exec_lo, s3
.LBB19_363:
	s_delay_alu instid0(SALU_CYCLE_1)
	s_or_b32 exec_lo, exec_lo, s2
	v_mov_b32_e32 v47, 0
	ds_load_b64 v[47:48], v47 offset:144
	s_waitcnt lgkmcnt(0)
	v_mul_f64 v[41:42], v[41:42], v[47:48]
	scratch_store_b64 off, v[41:42], off offset:144
.LBB19_364:
	s_or_b32 exec_lo, exec_lo, s1
	scratch_load_b64 v[41:42], off, off offset:152
	s_mov_b32 s1, exec_lo
	s_waitcnt vmcnt(0)
	ds_store_b64 v44, v[41:42]
	s_waitcnt lgkmcnt(0)
	s_waitcnt_vscnt null, 0x0
	s_barrier
	buffer_gl0_inv
	v_cmpx_ne_u32_e32 19, v0
	s_cbranch_execz .LBB19_374
; %bb.365:
	v_cmp_ne_u32_e32 vcc_lo, 1, v46
	s_cbranch_vccnz .LBB19_367
; %bb.366:
	scratch_load_b64 v[41:42], v45, off
	ds_load_b64 v[45:46], v44
	s_waitcnt vmcnt(0) lgkmcnt(0)
	v_mul_f64 v[41:42], v[41:42], v[45:46]
	s_cbranch_execz .LBB19_368
	s_branch .LBB19_369
.LBB19_367:
                                        ; implicit-def: $vgpr41_vgpr42
.LBB19_368:
	ds_load_b64 v[41:42], v44
.LBB19_369:
	s_and_saveexec_b32 s2, s0
	s_cbranch_execz .LBB19_373
; %bb.370:
	v_add_nc_u32_e32 v44, 0xa8, v43
	v_add3_u32 v43, 0, v43, 8
	s_mov_b32 s0, 0
.LBB19_371:                             ; =>This Inner Loop Header: Depth=1
	scratch_load_b64 v[45:46], v43, off
	ds_load_b64 v[47:48], v44
	v_add_nc_u32_e32 v0, 1, v0
	v_add_nc_u32_e32 v44, 8, v44
	;; [unrolled: 1-line block ×3, first 2 shown]
	s_delay_alu instid0(VALU_DEP_3)
	v_cmp_lt_u32_e32 vcc_lo, 17, v0
	s_or_b32 s0, vcc_lo, s0
	s_waitcnt vmcnt(0) lgkmcnt(0)
	v_fma_f64 v[41:42], v[45:46], v[47:48], v[41:42]
	s_and_not1_b32 exec_lo, exec_lo, s0
	s_cbranch_execnz .LBB19_371
; %bb.372:
	s_or_b32 exec_lo, exec_lo, s0
.LBB19_373:
	s_delay_alu instid0(SALU_CYCLE_1)
	s_or_b32 exec_lo, exec_lo, s2
	v_mov_b32_e32 v0, 0
	ds_load_b64 v[43:44], v0 offset:152
	s_waitcnt lgkmcnt(0)
	v_mul_f64 v[41:42], v[41:42], v[43:44]
	scratch_store_b64 off, v[41:42], off offset:152
.LBB19_374:
	s_or_b32 exec_lo, exec_lo, s1
.LBB19_375:
	s_clause 0x9
	scratch_load_b128 v[41:44], off, off
	scratch_load_b128 v[45:48], off, off offset:16
	scratch_load_b128 v[49:52], off, off offset:32
	;; [unrolled: 1-line block ×9, first 2 shown]
	s_waitcnt vmcnt(9)
	s_clause 0x1
	global_store_b64 v[1:2], v[41:42], off
	global_store_b64 v[3:4], v[43:44], off
	s_waitcnt vmcnt(8)
	s_clause 0x1
	global_store_b64 v[5:6], v[45:46], off
	global_store_b64 v[7:8], v[47:48], off
	s_waitcnt vmcnt(7)
	s_clause 0x1
	global_store_b64 v[9:10], v[49:50], off
	global_store_b64 v[11:12], v[51:52], off
	s_waitcnt vmcnt(6)
	s_clause 0x1
	global_store_b64 v[13:14], v[53:54], off
	global_store_b64 v[15:16], v[55:56], off
	s_waitcnt vmcnt(5)
	s_clause 0x1
	global_store_b64 v[17:18], v[57:58], off
	global_store_b64 v[19:20], v[59:60], off
	s_waitcnt vmcnt(4)
	s_clause 0x1
	global_store_b64 v[21:22], v[61:62], off
	global_store_b64 v[23:24], v[63:64], off
	s_waitcnt vmcnt(3)
	s_clause 0x1
	global_store_b64 v[25:26], v[65:66], off
	global_store_b64 v[27:28], v[67:68], off
	s_waitcnt vmcnt(2)
	s_clause 0x1
	global_store_b64 v[29:30], v[69:70], off
	global_store_b64 v[31:32], v[71:72], off
	s_waitcnt vmcnt(1)
	s_clause 0x1
	global_store_b64 v[35:36], v[73:74], off
	global_store_b64 v[39:40], v[75:76], off
	s_waitcnt vmcnt(0)
	s_clause 0x1
	global_store_b64 v[33:34], v[77:78], off
	global_store_b64 v[37:38], v[79:80], off
.LBB19_376:
	s_endpgm
	.section	.rodata,"a",@progbits
	.p2align	6, 0x0
	.amdhsa_kernel _ZN9rocsolver6v33100L18trti2_kernel_smallILi20EdPdEEv13rocblas_fill_17rocblas_diagonal_T1_iil
		.amdhsa_group_segment_fixed_size 320
		.amdhsa_private_segment_fixed_size 176
		.amdhsa_kernarg_size 32
		.amdhsa_user_sgpr_count 15
		.amdhsa_user_sgpr_dispatch_ptr 0
		.amdhsa_user_sgpr_queue_ptr 0
		.amdhsa_user_sgpr_kernarg_segment_ptr 1
		.amdhsa_user_sgpr_dispatch_id 0
		.amdhsa_user_sgpr_private_segment_size 0
		.amdhsa_wavefront_size32 1
		.amdhsa_uses_dynamic_stack 0
		.amdhsa_enable_private_segment 1
		.amdhsa_system_sgpr_workgroup_id_x 1
		.amdhsa_system_sgpr_workgroup_id_y 0
		.amdhsa_system_sgpr_workgroup_id_z 0
		.amdhsa_system_sgpr_workgroup_info 0
		.amdhsa_system_vgpr_workitem_id 0
		.amdhsa_next_free_vgpr 84
		.amdhsa_next_free_sgpr 16
		.amdhsa_reserve_vcc 1
		.amdhsa_float_round_mode_32 0
		.amdhsa_float_round_mode_16_64 0
		.amdhsa_float_denorm_mode_32 3
		.amdhsa_float_denorm_mode_16_64 3
		.amdhsa_dx10_clamp 1
		.amdhsa_ieee_mode 1
		.amdhsa_fp16_overflow 0
		.amdhsa_workgroup_processor_mode 1
		.amdhsa_memory_ordered 1
		.amdhsa_forward_progress 0
		.amdhsa_shared_vgpr_count 0
		.amdhsa_exception_fp_ieee_invalid_op 0
		.amdhsa_exception_fp_denorm_src 0
		.amdhsa_exception_fp_ieee_div_zero 0
		.amdhsa_exception_fp_ieee_overflow 0
		.amdhsa_exception_fp_ieee_underflow 0
		.amdhsa_exception_fp_ieee_inexact 0
		.amdhsa_exception_int_div_zero 0
	.end_amdhsa_kernel
	.section	.text._ZN9rocsolver6v33100L18trti2_kernel_smallILi20EdPdEEv13rocblas_fill_17rocblas_diagonal_T1_iil,"axG",@progbits,_ZN9rocsolver6v33100L18trti2_kernel_smallILi20EdPdEEv13rocblas_fill_17rocblas_diagonal_T1_iil,comdat
.Lfunc_end19:
	.size	_ZN9rocsolver6v33100L18trti2_kernel_smallILi20EdPdEEv13rocblas_fill_17rocblas_diagonal_T1_iil, .Lfunc_end19-_ZN9rocsolver6v33100L18trti2_kernel_smallILi20EdPdEEv13rocblas_fill_17rocblas_diagonal_T1_iil
                                        ; -- End function
	.section	.AMDGPU.csdata,"",@progbits
; Kernel info:
; codeLenInByte = 10564
; NumSgprs: 18
; NumVgprs: 84
; ScratchSize: 176
; MemoryBound: 0
; FloatMode: 240
; IeeeMode: 1
; LDSByteSize: 320 bytes/workgroup (compile time only)
; SGPRBlocks: 2
; VGPRBlocks: 10
; NumSGPRsForWavesPerEU: 18
; NumVGPRsForWavesPerEU: 84
; Occupancy: 16
; WaveLimiterHint : 0
; COMPUTE_PGM_RSRC2:SCRATCH_EN: 1
; COMPUTE_PGM_RSRC2:USER_SGPR: 15
; COMPUTE_PGM_RSRC2:TRAP_HANDLER: 0
; COMPUTE_PGM_RSRC2:TGID_X_EN: 1
; COMPUTE_PGM_RSRC2:TGID_Y_EN: 0
; COMPUTE_PGM_RSRC2:TGID_Z_EN: 0
; COMPUTE_PGM_RSRC2:TIDIG_COMP_CNT: 0
	.section	.text._ZN9rocsolver6v33100L18trti2_kernel_smallILi21EdPdEEv13rocblas_fill_17rocblas_diagonal_T1_iil,"axG",@progbits,_ZN9rocsolver6v33100L18trti2_kernel_smallILi21EdPdEEv13rocblas_fill_17rocblas_diagonal_T1_iil,comdat
	.globl	_ZN9rocsolver6v33100L18trti2_kernel_smallILi21EdPdEEv13rocblas_fill_17rocblas_diagonal_T1_iil ; -- Begin function _ZN9rocsolver6v33100L18trti2_kernel_smallILi21EdPdEEv13rocblas_fill_17rocblas_diagonal_T1_iil
	.p2align	8
	.type	_ZN9rocsolver6v33100L18trti2_kernel_smallILi21EdPdEEv13rocblas_fill_17rocblas_diagonal_T1_iil,@function
_ZN9rocsolver6v33100L18trti2_kernel_smallILi21EdPdEEv13rocblas_fill_17rocblas_diagonal_T1_iil: ; @_ZN9rocsolver6v33100L18trti2_kernel_smallILi21EdPdEEv13rocblas_fill_17rocblas_diagonal_T1_iil
; %bb.0:
	s_mov_b32 s2, exec_lo
	v_cmpx_gt_u32_e32 21, v0
	s_cbranch_execz .LBB20_396
; %bb.1:
	s_load_b256 s[0:7], s[0:1], 0x0
	s_ashr_i32 s10, s15, 31
	v_lshlrev_b32_e32 v45, 3, v0
	s_waitcnt lgkmcnt(0)
	s_ashr_i32 s9, s4, 31
	s_mov_b32 s8, s4
	s_mul_i32 s4, s15, s7
	s_mul_hi_u32 s7, s15, s6
	v_add3_u32 v1, s5, s5, v0
	s_mul_i32 s11, s10, s6
	s_add_i32 s4, s7, s4
	s_mul_i32 s6, s15, s6
	s_add_i32 s7, s4, s11
	v_add_nc_u32_e32 v3, s5, v1
	s_lshl_b64 s[6:7], s[6:7], 3
	v_ashrrev_i32_e32 v2, 31, v1
	s_add_u32 s4, s2, s6
	s_addc_u32 s6, s3, s7
	s_lshl_b64 s[2:3], s[8:9], 3
	v_add_nc_u32_e32 v7, s5, v3
	s_add_u32 s2, s4, s2
	v_lshlrev_b64 v[5:6], 3, v[1:2]
	v_ashrrev_i32_e32 v4, 31, v3
	s_addc_u32 s3, s6, s3
	v_add_co_u32 v1, s4, s2, v45
	s_mov_b32 s10, s5
	s_ashr_i32 s11, s5, 31
	v_add_co_ci_u32_e64 v2, null, s3, 0, s4
	s_lshl_b64 s[6:7], s[10:11], 3
	v_ashrrev_i32_e32 v8, 31, v7
	v_lshlrev_b64 v[9:10], 3, v[3:4]
	v_add_co_u32 v3, vcc_lo, v1, s6
	v_add_nc_u32_e32 v13, s5, v7
	v_add_co_ci_u32_e32 v4, vcc_lo, s7, v2, vcc_lo
	v_add_co_u32 v5, vcc_lo, s2, v5
	v_lshlrev_b64 v[11:12], 3, v[7:8]
	v_add_co_ci_u32_e32 v6, vcc_lo, s3, v6, vcc_lo
	v_add_co_u32 v7, vcc_lo, s2, v9
	v_ashrrev_i32_e32 v14, 31, v13
	v_add_nc_u32_e32 v15, s5, v13
	v_add_co_ci_u32_e32 v8, vcc_lo, s3, v10, vcc_lo
	v_add_co_u32 v9, vcc_lo, s2, v11
	v_add_co_ci_u32_e32 v10, vcc_lo, s3, v12, vcc_lo
	v_lshlrev_b64 v[11:12], 3, v[13:14]
	v_add_nc_u32_e32 v13, s5, v15
	v_ashrrev_i32_e32 v16, 31, v15
	s_cmpk_lg_i32 s1, 0x84
	s_delay_alu instid0(VALU_DEP_2) | instskip(SKIP_1) | instid1(VALU_DEP_3)
	v_add_nc_u32_e32 v17, s5, v13
	v_ashrrev_i32_e32 v14, 31, v13
	v_lshlrev_b64 v[15:16], 3, v[15:16]
	v_add_co_u32 v11, vcc_lo, s2, v11
	s_delay_alu instid0(VALU_DEP_4) | instskip(NEXT) | instid1(VALU_DEP_4)
	v_ashrrev_i32_e32 v18, 31, v17
	v_lshlrev_b64 v[19:20], 3, v[13:14]
	v_add_nc_u32_e32 v23, s5, v17
	v_add_co_ci_u32_e32 v12, vcc_lo, s3, v12, vcc_lo
	v_add_co_u32 v13, vcc_lo, s2, v15
	v_lshlrev_b64 v[21:22], 3, v[17:18]
	v_add_co_ci_u32_e32 v14, vcc_lo, s3, v16, vcc_lo
	v_add_co_u32 v15, vcc_lo, s2, v19
	v_ashrrev_i32_e32 v24, 31, v23
	v_add_nc_u32_e32 v19, s5, v23
	v_add_co_ci_u32_e32 v16, vcc_lo, s3, v20, vcc_lo
	v_add_co_u32 v17, vcc_lo, s2, v21
	v_add_co_ci_u32_e32 v18, vcc_lo, s3, v22, vcc_lo
	v_lshlrev_b64 v[21:22], 3, v[23:24]
	v_add_nc_u32_e32 v23, s5, v19
	v_ashrrev_i32_e32 v20, 31, v19
	s_delay_alu instid0(VALU_DEP_2) | instskip(NEXT) | instid1(VALU_DEP_2)
	v_add_nc_u32_e32 v27, s5, v23
	v_lshlrev_b64 v[25:26], 3, v[19:20]
	v_add_co_u32 v19, vcc_lo, s2, v21
	v_add_co_ci_u32_e32 v20, vcc_lo, s3, v22, vcc_lo
	s_delay_alu instid0(VALU_DEP_4) | instskip(NEXT) | instid1(VALU_DEP_4)
	v_ashrrev_i32_e32 v28, 31, v27
	v_add_co_u32 v21, vcc_lo, s2, v25
	v_add_co_ci_u32_e32 v22, vcc_lo, s3, v26, vcc_lo
	s_delay_alu instid0(VALU_DEP_3) | instskip(SKIP_2) | instid1(VALU_DEP_2)
	v_lshlrev_b64 v[25:26], 3, v[27:28]
	v_add_nc_u32_e32 v27, s5, v27
	v_ashrrev_i32_e32 v24, 31, v23
	v_add_nc_u32_e32 v29, s5, v27
	s_delay_alu instid0(VALU_DEP_2) | instskip(SKIP_1) | instid1(VALU_DEP_3)
	v_lshlrev_b64 v[23:24], 3, v[23:24]
	v_ashrrev_i32_e32 v28, 31, v27
	v_add_nc_u32_e32 v31, s5, v29
	v_ashrrev_i32_e32 v30, 31, v29
	s_delay_alu instid0(VALU_DEP_4) | instskip(NEXT) | instid1(VALU_DEP_4)
	v_add_co_u32 v23, vcc_lo, s2, v23
	v_lshlrev_b64 v[27:28], 3, v[27:28]
	s_delay_alu instid0(VALU_DEP_4)
	v_ashrrev_i32_e32 v32, 31, v31
	v_add_co_ci_u32_e32 v24, vcc_lo, s3, v24, vcc_lo
	v_add_co_u32 v25, vcc_lo, s2, v25
	v_lshlrev_b64 v[29:30], 3, v[29:30]
	v_add_nc_u32_e32 v34, s5, v31
	v_add_co_ci_u32_e32 v26, vcc_lo, s3, v26, vcc_lo
	v_add_co_u32 v27, vcc_lo, s2, v27
	v_lshlrev_b64 v[32:33], 3, v[31:32]
	v_add_co_ci_u32_e32 v28, vcc_lo, s3, v28, vcc_lo
	v_add_co_u32 v29, vcc_lo, s2, v29
	v_ashrrev_i32_e32 v35, 31, v34
	v_add_nc_u32_e32 v36, s5, v34
	v_add_co_ci_u32_e32 v30, vcc_lo, s3, v30, vcc_lo
	v_add_co_u32 v31, vcc_lo, s2, v32
	v_add_co_ci_u32_e32 v32, vcc_lo, s3, v33, vcc_lo
	v_lshlrev_b64 v[33:34], 3, v[34:35]
	v_add_nc_u32_e32 v35, s5, v36
	v_ashrrev_i32_e32 v37, 31, v36
	s_delay_alu instid0(VALU_DEP_2) | instskip(NEXT) | instid1(VALU_DEP_2)
	v_add_nc_u32_e32 v39, s5, v35
	v_lshlrev_b64 v[37:38], 3, v[36:37]
	v_ashrrev_i32_e32 v36, 31, v35
	v_add_co_u32 v33, vcc_lo, s2, v33
	s_delay_alu instid0(VALU_DEP_4) | instskip(SKIP_1) | instid1(VALU_DEP_4)
	v_add_nc_u32_e32 v43, s5, v39
	v_ashrrev_i32_e32 v40, 31, v39
	v_lshlrev_b64 v[41:42], 3, v[35:36]
	v_add_co_ci_u32_e32 v34, vcc_lo, s3, v34, vcc_lo
	v_add_co_u32 v35, vcc_lo, s2, v37
	v_ashrrev_i32_e32 v44, 31, v43
	v_add_co_ci_u32_e32 v36, vcc_lo, s3, v38, vcc_lo
	v_lshlrev_b64 v[39:40], 3, v[39:40]
	v_add_co_u32 v37, vcc_lo, s2, v41
	v_add_co_ci_u32_e32 v38, vcc_lo, s3, v42, vcc_lo
	v_lshlrev_b64 v[41:42], 3, v[43:44]
	v_mov_b32_e32 v43, 0
	v_add_co_u32 v39, vcc_lo, s2, v39
	v_add_co_ci_u32_e32 v40, vcc_lo, s3, v40, vcc_lo
	s_delay_alu instid0(VALU_DEP_4)
	v_add_co_u32 v41, vcc_lo, s2, v41
	v_add_co_ci_u32_e32 v42, vcc_lo, s3, v42, vcc_lo
	v_mov_b32_e32 v44, 0xbff00000
	s_clause 0x14
	global_load_b64 v[46:47], v45, s[2:3]
	global_load_b64 v[48:49], v[3:4], off
	global_load_b64 v[50:51], v[5:6], off
	global_load_b64 v[52:53], v[7:8], off
	global_load_b64 v[54:55], v[9:10], off
	global_load_b64 v[56:57], v[11:12], off
	global_load_b64 v[58:59], v[13:14], off
	global_load_b64 v[60:61], v[15:16], off
	global_load_b64 v[62:63], v[17:18], off
	global_load_b64 v[64:65], v[19:20], off
	global_load_b64 v[66:67], v[21:22], off
	global_load_b64 v[68:69], v[23:24], off
	global_load_b64 v[70:71], v[25:26], off
	global_load_b64 v[72:73], v[27:28], off
	global_load_b64 v[74:75], v[29:30], off
	global_load_b64 v[76:77], v[31:32], off
	global_load_b64 v[78:79], v[33:34], off
	global_load_b64 v[80:81], v[35:36], off
	global_load_b64 v[82:83], v[37:38], off
	global_load_b64 v[84:85], v[39:40], off
	global_load_b64 v[86:87], v[41:42], off
	s_cselect_b32 s2, -1, 0
	s_cmpk_eq_i32 s1, 0x84
	s_waitcnt vmcnt(19)
	scratch_store_b128 off, v[46:49], off
	s_waitcnt vmcnt(17)
	scratch_store_b128 off, v[50:53], off offset:16
	s_waitcnt vmcnt(15)
	scratch_store_b128 off, v[54:57], off offset:32
	;; [unrolled: 2-line block ×9, first 2 shown]
	s_waitcnt vmcnt(0)
	scratch_store_b64 off, v[86:87], off offset:160
	s_cbranch_scc1 .LBB20_3
; %bb.2:
	scratch_load_b64 v[43:44], v45, off
	s_waitcnt vmcnt(0)
	v_div_scale_f64 v[46:47], null, v[43:44], v[43:44], 1.0
	v_div_scale_f64 v[52:53], vcc_lo, 1.0, v[43:44], 1.0
	s_delay_alu instid0(VALU_DEP_2) | instskip(SKIP_2) | instid1(VALU_DEP_1)
	v_rcp_f64_e32 v[48:49], v[46:47]
	s_waitcnt_depctr 0xfff
	v_fma_f64 v[50:51], -v[46:47], v[48:49], 1.0
	v_fma_f64 v[48:49], v[48:49], v[50:51], v[48:49]
	s_delay_alu instid0(VALU_DEP_1) | instskip(NEXT) | instid1(VALU_DEP_1)
	v_fma_f64 v[50:51], -v[46:47], v[48:49], 1.0
	v_fma_f64 v[48:49], v[48:49], v[50:51], v[48:49]
	s_delay_alu instid0(VALU_DEP_1) | instskip(NEXT) | instid1(VALU_DEP_1)
	v_mul_f64 v[50:51], v[52:53], v[48:49]
	v_fma_f64 v[46:47], -v[46:47], v[50:51], v[52:53]
	s_delay_alu instid0(VALU_DEP_1) | instskip(NEXT) | instid1(VALU_DEP_1)
	v_div_fmas_f64 v[46:47], v[46:47], v[48:49], v[50:51]
	v_div_fixup_f64 v[43:44], v[46:47], v[43:44], 1.0
	scratch_store_b64 v45, v[43:44], off
	v_xor_b32_e32 v44, 0x80000000, v44
.LBB20_3:
	v_add_nc_u32_e32 v46, 0xb0, v45
	v_add_nc_u32_e32 v47, 0, v45
	s_cmpk_eq_i32 s0, 0x79
	s_mov_b32 s0, -1
	ds_store_b64 v45, v[43:44]
	s_cbranch_scc1 .LBB20_199
; %bb.4:
	scratch_load_b64 v[43:44], off, off offset:152
	v_cmp_eq_u32_e64 s1, 20, v0
	s_movk_i32 s0, 0x50
	s_movk_i32 s3, 0x60
	s_movk_i32 s4, 0x70
	s_movk_i32 s5, 0x80
	s_movk_i32 s6, 0x90
	s_waitcnt vmcnt(0)
	ds_store_b64 v46, v[43:44]
	s_waitcnt lgkmcnt(0)
	s_waitcnt_vscnt null, 0x0
	s_barrier
	buffer_gl0_inv
	s_and_saveexec_b32 s7, s1
	s_cbranch_execz .LBB20_10
; %bb.5:
	s_and_b32 vcc_lo, exec_lo, s2
	s_cbranch_vccz .LBB20_7
; %bb.6:
	scratch_load_b64 v[43:44], v47, off
	ds_load_b64 v[48:49], v46
	s_waitcnt vmcnt(0) lgkmcnt(0)
	v_mul_f64 v[43:44], v[43:44], v[48:49]
	s_cbranch_execz .LBB20_8
	s_branch .LBB20_9
.LBB20_7:
                                        ; implicit-def: $vgpr43_vgpr44
.LBB20_8:
	ds_load_b64 v[43:44], v46
.LBB20_9:
	v_mov_b32_e32 v48, 0
	ds_load_b64 v[48:49], v48 offset:152
	s_waitcnt lgkmcnt(0)
	v_mul_f64 v[43:44], v[43:44], v[48:49]
	scratch_store_b64 off, v[43:44], off offset:152
.LBB20_10:
	s_or_b32 exec_lo, exec_lo, s7
	scratch_load_b64 v[43:44], off, off offset:144
	v_add_nc_u32_e64 v48, 0, 16
	v_add_nc_u32_e64 v49, 0, 32
	;; [unrolled: 1-line block ×9, first 2 shown]
	v_cmp_lt_u32_e64 s0, 18, v0
	s_waitcnt vmcnt(0)
	ds_store_b64 v46, v[43:44]
	s_waitcnt lgkmcnt(0)
	s_waitcnt_vscnt null, 0x0
	s_barrier
	buffer_gl0_inv
	s_and_saveexec_b32 s3, s0
	s_cbranch_execz .LBB20_18
; %bb.11:
	s_and_not1_b32 vcc_lo, exec_lo, s2
	s_cbranch_vccnz .LBB20_13
; %bb.12:
	scratch_load_b64 v[43:44], v47, off
	ds_load_b64 v[57:58], v46
	s_waitcnt vmcnt(0) lgkmcnt(0)
	v_mul_f64 v[43:44], v[43:44], v[57:58]
	s_cbranch_execz .LBB20_14
	s_branch .LBB20_15
.LBB20_13:
                                        ; implicit-def: $vgpr43_vgpr44
.LBB20_14:
	ds_load_b64 v[43:44], v46
.LBB20_15:
	s_and_saveexec_b32 s4, s1
	s_cbranch_execz .LBB20_17
; %bb.16:
	scratch_load_b64 v[57:58], off, off offset:152
	v_mov_b32_e32 v59, 0
	ds_load_b64 v[59:60], v59 offset:328
	s_waitcnt vmcnt(0) lgkmcnt(0)
	v_fma_f64 v[43:44], v[57:58], v[59:60], v[43:44]
.LBB20_17:
	s_or_b32 exec_lo, exec_lo, s4
	v_mov_b32_e32 v57, 0
	ds_load_b64 v[57:58], v57 offset:144
	s_waitcnt lgkmcnt(0)
	v_mul_f64 v[43:44], v[43:44], v[57:58]
	scratch_store_b64 off, v[43:44], off offset:144
.LBB20_18:
	s_or_b32 exec_lo, exec_lo, s3
	scratch_load_b64 v[43:44], off, off offset:136
	v_cmp_lt_u32_e64 s1, 17, v0
	s_waitcnt vmcnt(0)
	ds_store_b64 v46, v[43:44]
	s_waitcnt lgkmcnt(0)
	s_waitcnt_vscnt null, 0x0
	s_barrier
	buffer_gl0_inv
	s_and_saveexec_b32 s3, s1
	s_cbranch_execz .LBB20_28
; %bb.19:
	s_and_not1_b32 vcc_lo, exec_lo, s2
	s_cbranch_vccnz .LBB20_21
; %bb.20:
	scratch_load_b64 v[43:44], v47, off
	ds_load_b64 v[57:58], v46
	s_waitcnt vmcnt(0) lgkmcnt(0)
	v_mul_f64 v[43:44], v[43:44], v[57:58]
	s_cbranch_execz .LBB20_22
	s_branch .LBB20_23
.LBB20_21:
                                        ; implicit-def: $vgpr43_vgpr44
.LBB20_22:
	ds_load_b64 v[43:44], v46
.LBB20_23:
	s_and_saveexec_b32 s4, s0
	s_cbranch_execz .LBB20_27
; %bb.24:
	v_subrev_nc_u32_e32 v57, 18, v0
	s_movk_i32 s5, 0x140
	s_mov_b32 s0, 0
.LBB20_25:                              ; =>This Inner Loop Header: Depth=1
	scratch_load_b64 v[58:59], v56, off
	v_dual_mov_b32 v60, s5 :: v_dual_add_nc_u32 v57, -1, v57
	v_add_nc_u32_e32 v56, 8, v56
	s_add_i32 s5, s5, 8
	ds_load_b64 v[60:61], v60
	v_cmp_eq_u32_e32 vcc_lo, 0, v57
	s_or_b32 s0, vcc_lo, s0
	s_waitcnt vmcnt(0) lgkmcnt(0)
	v_fma_f64 v[43:44], v[58:59], v[60:61], v[43:44]
	s_and_not1_b32 exec_lo, exec_lo, s0
	s_cbranch_execnz .LBB20_25
; %bb.26:
	s_or_b32 exec_lo, exec_lo, s0
.LBB20_27:
	s_delay_alu instid0(SALU_CYCLE_1)
	s_or_b32 exec_lo, exec_lo, s4
	v_mov_b32_e32 v56, 0
	ds_load_b64 v[56:57], v56 offset:136
	s_waitcnt lgkmcnt(0)
	v_mul_f64 v[43:44], v[43:44], v[56:57]
	scratch_store_b64 off, v[43:44], off offset:136
.LBB20_28:
	s_or_b32 exec_lo, exec_lo, s3
	scratch_load_b64 v[43:44], off, off offset:128
	v_cmp_lt_u32_e64 s0, 16, v0
	s_waitcnt vmcnt(0)
	ds_store_b64 v46, v[43:44]
	s_waitcnt lgkmcnt(0)
	s_waitcnt_vscnt null, 0x0
	s_barrier
	buffer_gl0_inv
	s_and_saveexec_b32 s3, s0
	s_cbranch_execz .LBB20_38
; %bb.29:
	s_and_not1_b32 vcc_lo, exec_lo, s2
	s_cbranch_vccnz .LBB20_31
; %bb.30:
	scratch_load_b64 v[43:44], v47, off
	ds_load_b64 v[56:57], v46
	s_waitcnt vmcnt(0) lgkmcnt(0)
	v_mul_f64 v[43:44], v[43:44], v[56:57]
	s_cbranch_execz .LBB20_32
	s_branch .LBB20_33
.LBB20_31:
                                        ; implicit-def: $vgpr43_vgpr44
.LBB20_32:
	ds_load_b64 v[43:44], v46
.LBB20_33:
	s_and_saveexec_b32 s4, s1
	s_cbranch_execz .LBB20_37
; %bb.34:
	v_mov_b32_e32 v56, 0
	v_subrev_nc_u32_e32 v57, 17, v0
	s_movk_i32 s5, 0x138
	s_mov_b32 s1, 0
	s_delay_alu instid0(VALU_DEP_2)
	v_add_nc_u32_e32 v56, 0x88, v56
.LBB20_35:                              ; =>This Inner Loop Header: Depth=1
	scratch_load_b64 v[58:59], v56, off
	v_dual_mov_b32 v60, s5 :: v_dual_add_nc_u32 v57, -1, v57
	v_add_nc_u32_e32 v56, 8, v56
	s_add_i32 s5, s5, 8
	ds_load_b64 v[60:61], v60
	v_cmp_eq_u32_e32 vcc_lo, 0, v57
	s_or_b32 s1, vcc_lo, s1
	s_waitcnt vmcnt(0) lgkmcnt(0)
	v_fma_f64 v[43:44], v[58:59], v[60:61], v[43:44]
	s_and_not1_b32 exec_lo, exec_lo, s1
	s_cbranch_execnz .LBB20_35
; %bb.36:
	s_or_b32 exec_lo, exec_lo, s1
.LBB20_37:
	s_delay_alu instid0(SALU_CYCLE_1)
	s_or_b32 exec_lo, exec_lo, s4
	v_mov_b32_e32 v56, 0
	ds_load_b64 v[56:57], v56 offset:128
	s_waitcnt lgkmcnt(0)
	v_mul_f64 v[43:44], v[43:44], v[56:57]
	scratch_store_b64 off, v[43:44], off offset:128
.LBB20_38:
	s_or_b32 exec_lo, exec_lo, s3
	scratch_load_b64 v[43:44], off, off offset:120
	v_cmp_lt_u32_e64 s1, 15, v0
	s_waitcnt vmcnt(0)
	ds_store_b64 v46, v[43:44]
	s_waitcnt lgkmcnt(0)
	s_waitcnt_vscnt null, 0x0
	s_barrier
	buffer_gl0_inv
	s_and_saveexec_b32 s3, s1
	s_cbranch_execz .LBB20_48
; %bb.39:
	s_and_not1_b32 vcc_lo, exec_lo, s2
	s_cbranch_vccnz .LBB20_41
; %bb.40:
	scratch_load_b64 v[43:44], v47, off
	ds_load_b64 v[56:57], v46
	s_waitcnt vmcnt(0) lgkmcnt(0)
	v_mul_f64 v[43:44], v[43:44], v[56:57]
	s_cbranch_execz .LBB20_42
	s_branch .LBB20_43
.LBB20_41:
                                        ; implicit-def: $vgpr43_vgpr44
.LBB20_42:
	ds_load_b64 v[43:44], v46
.LBB20_43:
	s_and_saveexec_b32 s4, s0
	s_cbranch_execz .LBB20_47
; %bb.44:
	v_add_nc_u32_e32 v56, -16, v0
	s_movk_i32 s5, 0x130
	s_mov_b32 s0, 0
.LBB20_45:                              ; =>This Inner Loop Header: Depth=1
	scratch_load_b64 v[57:58], v55, off
	v_dual_mov_b32 v59, s5 :: v_dual_add_nc_u32 v56, -1, v56
	v_add_nc_u32_e32 v55, 8, v55
	s_add_i32 s5, s5, 8
	ds_load_b64 v[59:60], v59
	v_cmp_eq_u32_e32 vcc_lo, 0, v56
	s_or_b32 s0, vcc_lo, s0
	s_waitcnt vmcnt(0) lgkmcnt(0)
	v_fma_f64 v[43:44], v[57:58], v[59:60], v[43:44]
	s_and_not1_b32 exec_lo, exec_lo, s0
	s_cbranch_execnz .LBB20_45
; %bb.46:
	s_or_b32 exec_lo, exec_lo, s0
.LBB20_47:
	s_delay_alu instid0(SALU_CYCLE_1)
	s_or_b32 exec_lo, exec_lo, s4
	v_mov_b32_e32 v55, 0
	ds_load_b64 v[55:56], v55 offset:120
	s_waitcnt lgkmcnt(0)
	v_mul_f64 v[43:44], v[43:44], v[55:56]
	scratch_store_b64 off, v[43:44], off offset:120
.LBB20_48:
	s_or_b32 exec_lo, exec_lo, s3
	scratch_load_b64 v[43:44], off, off offset:112
	v_cmp_lt_u32_e64 s0, 14, v0
	s_waitcnt vmcnt(0)
	ds_store_b64 v46, v[43:44]
	s_waitcnt lgkmcnt(0)
	s_waitcnt_vscnt null, 0x0
	s_barrier
	buffer_gl0_inv
	s_and_saveexec_b32 s3, s0
	s_cbranch_execz .LBB20_58
; %bb.49:
	s_and_not1_b32 vcc_lo, exec_lo, s2
	s_cbranch_vccnz .LBB20_51
; %bb.50:
	scratch_load_b64 v[43:44], v47, off
	ds_load_b64 v[55:56], v46
	s_waitcnt vmcnt(0) lgkmcnt(0)
	v_mul_f64 v[43:44], v[43:44], v[55:56]
	s_cbranch_execz .LBB20_52
	s_branch .LBB20_53
.LBB20_51:
                                        ; implicit-def: $vgpr43_vgpr44
.LBB20_52:
	ds_load_b64 v[43:44], v46
.LBB20_53:
	s_and_saveexec_b32 s4, s1
	s_cbranch_execz .LBB20_57
; %bb.54:
	v_dual_mov_b32 v55, 0 :: v_dual_add_nc_u32 v56, -15, v0
	s_movk_i32 s5, 0x128
	s_mov_b32 s1, 0
	s_delay_alu instid0(VALU_DEP_1)
	v_add_nc_u32_e32 v55, 0x78, v55
.LBB20_55:                              ; =>This Inner Loop Header: Depth=1
	scratch_load_b64 v[57:58], v55, off
	v_dual_mov_b32 v59, s5 :: v_dual_add_nc_u32 v56, -1, v56
	v_add_nc_u32_e32 v55, 8, v55
	s_add_i32 s5, s5, 8
	ds_load_b64 v[59:60], v59
	v_cmp_eq_u32_e32 vcc_lo, 0, v56
	s_or_b32 s1, vcc_lo, s1
	s_waitcnt vmcnt(0) lgkmcnt(0)
	v_fma_f64 v[43:44], v[57:58], v[59:60], v[43:44]
	s_and_not1_b32 exec_lo, exec_lo, s1
	s_cbranch_execnz .LBB20_55
; %bb.56:
	s_or_b32 exec_lo, exec_lo, s1
.LBB20_57:
	s_delay_alu instid0(SALU_CYCLE_1)
	s_or_b32 exec_lo, exec_lo, s4
	v_mov_b32_e32 v55, 0
	ds_load_b64 v[55:56], v55 offset:112
	s_waitcnt lgkmcnt(0)
	v_mul_f64 v[43:44], v[43:44], v[55:56]
	scratch_store_b64 off, v[43:44], off offset:112
.LBB20_58:
	s_or_b32 exec_lo, exec_lo, s3
	scratch_load_b64 v[43:44], off, off offset:104
	v_cmp_lt_u32_e64 s1, 13, v0
	s_waitcnt vmcnt(0)
	ds_store_b64 v46, v[43:44]
	s_waitcnt lgkmcnt(0)
	s_waitcnt_vscnt null, 0x0
	s_barrier
	buffer_gl0_inv
	s_and_saveexec_b32 s3, s1
	s_cbranch_execz .LBB20_68
; %bb.59:
	s_and_not1_b32 vcc_lo, exec_lo, s2
	s_cbranch_vccnz .LBB20_61
; %bb.60:
	scratch_load_b64 v[43:44], v47, off
	ds_load_b64 v[55:56], v46
	s_waitcnt vmcnt(0) lgkmcnt(0)
	v_mul_f64 v[43:44], v[43:44], v[55:56]
	s_cbranch_execz .LBB20_62
	s_branch .LBB20_63
.LBB20_61:
                                        ; implicit-def: $vgpr43_vgpr44
.LBB20_62:
	ds_load_b64 v[43:44], v46
.LBB20_63:
	s_and_saveexec_b32 s4, s0
	s_cbranch_execz .LBB20_67
; %bb.64:
	v_add_nc_u32_e32 v55, -14, v0
	s_movk_i32 s5, 0x120
	s_mov_b32 s0, 0
.LBB20_65:                              ; =>This Inner Loop Header: Depth=1
	scratch_load_b64 v[56:57], v54, off
	v_dual_mov_b32 v58, s5 :: v_dual_add_nc_u32 v55, -1, v55
	v_add_nc_u32_e32 v54, 8, v54
	s_add_i32 s5, s5, 8
	ds_load_b64 v[58:59], v58
	v_cmp_eq_u32_e32 vcc_lo, 0, v55
	s_or_b32 s0, vcc_lo, s0
	s_waitcnt vmcnt(0) lgkmcnt(0)
	v_fma_f64 v[43:44], v[56:57], v[58:59], v[43:44]
	s_and_not1_b32 exec_lo, exec_lo, s0
	s_cbranch_execnz .LBB20_65
; %bb.66:
	s_or_b32 exec_lo, exec_lo, s0
.LBB20_67:
	s_delay_alu instid0(SALU_CYCLE_1)
	s_or_b32 exec_lo, exec_lo, s4
	v_mov_b32_e32 v54, 0
	ds_load_b64 v[54:55], v54 offset:104
	s_waitcnt lgkmcnt(0)
	v_mul_f64 v[43:44], v[43:44], v[54:55]
	scratch_store_b64 off, v[43:44], off offset:104
.LBB20_68:
	s_or_b32 exec_lo, exec_lo, s3
	scratch_load_b64 v[43:44], off, off offset:96
	v_cmp_lt_u32_e64 s0, 12, v0
	s_waitcnt vmcnt(0)
	ds_store_b64 v46, v[43:44]
	s_waitcnt lgkmcnt(0)
	s_waitcnt_vscnt null, 0x0
	s_barrier
	buffer_gl0_inv
	s_and_saveexec_b32 s3, s0
	s_cbranch_execz .LBB20_78
; %bb.69:
	s_and_not1_b32 vcc_lo, exec_lo, s2
	s_cbranch_vccnz .LBB20_71
; %bb.70:
	scratch_load_b64 v[43:44], v47, off
	ds_load_b64 v[54:55], v46
	s_waitcnt vmcnt(0) lgkmcnt(0)
	v_mul_f64 v[43:44], v[43:44], v[54:55]
	s_cbranch_execz .LBB20_72
	s_branch .LBB20_73
.LBB20_71:
                                        ; implicit-def: $vgpr43_vgpr44
.LBB20_72:
	ds_load_b64 v[43:44], v46
.LBB20_73:
	s_and_saveexec_b32 s4, s1
	s_cbranch_execz .LBB20_77
; %bb.74:
	v_dual_mov_b32 v54, 0 :: v_dual_add_nc_u32 v55, -13, v0
	s_movk_i32 s5, 0x118
	s_mov_b32 s1, 0
	s_delay_alu instid0(VALU_DEP_1)
	v_add_nc_u32_e32 v54, 0x68, v54
.LBB20_75:                              ; =>This Inner Loop Header: Depth=1
	scratch_load_b64 v[56:57], v54, off
	v_dual_mov_b32 v58, s5 :: v_dual_add_nc_u32 v55, -1, v55
	v_add_nc_u32_e32 v54, 8, v54
	s_add_i32 s5, s5, 8
	ds_load_b64 v[58:59], v58
	v_cmp_eq_u32_e32 vcc_lo, 0, v55
	s_or_b32 s1, vcc_lo, s1
	s_waitcnt vmcnt(0) lgkmcnt(0)
	v_fma_f64 v[43:44], v[56:57], v[58:59], v[43:44]
	s_and_not1_b32 exec_lo, exec_lo, s1
	s_cbranch_execnz .LBB20_75
; %bb.76:
	s_or_b32 exec_lo, exec_lo, s1
.LBB20_77:
	s_delay_alu instid0(SALU_CYCLE_1)
	s_or_b32 exec_lo, exec_lo, s4
	v_mov_b32_e32 v54, 0
	ds_load_b64 v[54:55], v54 offset:96
	s_waitcnt lgkmcnt(0)
	v_mul_f64 v[43:44], v[43:44], v[54:55]
	scratch_store_b64 off, v[43:44], off offset:96
.LBB20_78:
	s_or_b32 exec_lo, exec_lo, s3
	scratch_load_b64 v[43:44], off, off offset:88
	v_cmp_lt_u32_e64 s1, 11, v0
	s_waitcnt vmcnt(0)
	ds_store_b64 v46, v[43:44]
	s_waitcnt lgkmcnt(0)
	s_waitcnt_vscnt null, 0x0
	s_barrier
	buffer_gl0_inv
	s_and_saveexec_b32 s3, s1
	s_cbranch_execz .LBB20_88
; %bb.79:
	s_and_not1_b32 vcc_lo, exec_lo, s2
	s_cbranch_vccnz .LBB20_81
; %bb.80:
	scratch_load_b64 v[43:44], v47, off
	ds_load_b64 v[54:55], v46
	s_waitcnt vmcnt(0) lgkmcnt(0)
	v_mul_f64 v[43:44], v[43:44], v[54:55]
	s_cbranch_execz .LBB20_82
	s_branch .LBB20_83
.LBB20_81:
                                        ; implicit-def: $vgpr43_vgpr44
.LBB20_82:
	ds_load_b64 v[43:44], v46
.LBB20_83:
	s_and_saveexec_b32 s4, s0
	s_cbranch_execz .LBB20_87
; %bb.84:
	v_add_nc_u32_e32 v54, -12, v0
	s_movk_i32 s5, 0x110
	s_mov_b32 s0, 0
.LBB20_85:                              ; =>This Inner Loop Header: Depth=1
	scratch_load_b64 v[55:56], v53, off
	v_dual_mov_b32 v57, s5 :: v_dual_add_nc_u32 v54, -1, v54
	v_add_nc_u32_e32 v53, 8, v53
	s_add_i32 s5, s5, 8
	ds_load_b64 v[57:58], v57
	v_cmp_eq_u32_e32 vcc_lo, 0, v54
	s_or_b32 s0, vcc_lo, s0
	s_waitcnt vmcnt(0) lgkmcnt(0)
	v_fma_f64 v[43:44], v[55:56], v[57:58], v[43:44]
	s_and_not1_b32 exec_lo, exec_lo, s0
	s_cbranch_execnz .LBB20_85
; %bb.86:
	s_or_b32 exec_lo, exec_lo, s0
.LBB20_87:
	s_delay_alu instid0(SALU_CYCLE_1)
	s_or_b32 exec_lo, exec_lo, s4
	v_mov_b32_e32 v53, 0
	ds_load_b64 v[53:54], v53 offset:88
	s_waitcnt lgkmcnt(0)
	v_mul_f64 v[43:44], v[43:44], v[53:54]
	scratch_store_b64 off, v[43:44], off offset:88
.LBB20_88:
	s_or_b32 exec_lo, exec_lo, s3
	scratch_load_b64 v[43:44], off, off offset:80
	v_cmp_lt_u32_e64 s0, 10, v0
	s_waitcnt vmcnt(0)
	ds_store_b64 v46, v[43:44]
	s_waitcnt lgkmcnt(0)
	s_waitcnt_vscnt null, 0x0
	s_barrier
	buffer_gl0_inv
	s_and_saveexec_b32 s3, s0
	s_cbranch_execz .LBB20_98
; %bb.89:
	s_and_not1_b32 vcc_lo, exec_lo, s2
	s_cbranch_vccnz .LBB20_91
; %bb.90:
	scratch_load_b64 v[43:44], v47, off
	ds_load_b64 v[53:54], v46
	s_waitcnt vmcnt(0) lgkmcnt(0)
	v_mul_f64 v[43:44], v[43:44], v[53:54]
	s_cbranch_execz .LBB20_92
	s_branch .LBB20_93
.LBB20_91:
                                        ; implicit-def: $vgpr43_vgpr44
.LBB20_92:
	ds_load_b64 v[43:44], v46
.LBB20_93:
	s_and_saveexec_b32 s4, s1
	s_cbranch_execz .LBB20_97
; %bb.94:
	v_dual_mov_b32 v53, 0 :: v_dual_add_nc_u32 v54, -11, v0
	s_movk_i32 s5, 0x108
	s_mov_b32 s1, 0
	s_delay_alu instid0(VALU_DEP_1)
	v_add_nc_u32_e32 v53, 0x58, v53
.LBB20_95:                              ; =>This Inner Loop Header: Depth=1
	scratch_load_b64 v[55:56], v53, off
	v_dual_mov_b32 v57, s5 :: v_dual_add_nc_u32 v54, -1, v54
	v_add_nc_u32_e32 v53, 8, v53
	s_add_i32 s5, s5, 8
	ds_load_b64 v[57:58], v57
	v_cmp_eq_u32_e32 vcc_lo, 0, v54
	s_or_b32 s1, vcc_lo, s1
	s_waitcnt vmcnt(0) lgkmcnt(0)
	v_fma_f64 v[43:44], v[55:56], v[57:58], v[43:44]
	s_and_not1_b32 exec_lo, exec_lo, s1
	s_cbranch_execnz .LBB20_95
; %bb.96:
	s_or_b32 exec_lo, exec_lo, s1
.LBB20_97:
	s_delay_alu instid0(SALU_CYCLE_1)
	s_or_b32 exec_lo, exec_lo, s4
	v_mov_b32_e32 v53, 0
	ds_load_b64 v[53:54], v53 offset:80
	s_waitcnt lgkmcnt(0)
	v_mul_f64 v[43:44], v[43:44], v[53:54]
	scratch_store_b64 off, v[43:44], off offset:80
.LBB20_98:
	s_or_b32 exec_lo, exec_lo, s3
	scratch_load_b64 v[43:44], off, off offset:72
	v_cmp_lt_u32_e64 s1, 9, v0
	s_waitcnt vmcnt(0)
	ds_store_b64 v46, v[43:44]
	s_waitcnt lgkmcnt(0)
	s_waitcnt_vscnt null, 0x0
	s_barrier
	buffer_gl0_inv
	s_and_saveexec_b32 s3, s1
	s_cbranch_execz .LBB20_108
; %bb.99:
	s_and_not1_b32 vcc_lo, exec_lo, s2
	s_cbranch_vccnz .LBB20_101
; %bb.100:
	scratch_load_b64 v[43:44], v47, off
	ds_load_b64 v[53:54], v46
	s_waitcnt vmcnt(0) lgkmcnt(0)
	v_mul_f64 v[43:44], v[43:44], v[53:54]
	s_cbranch_execz .LBB20_102
	s_branch .LBB20_103
.LBB20_101:
                                        ; implicit-def: $vgpr43_vgpr44
.LBB20_102:
	ds_load_b64 v[43:44], v46
.LBB20_103:
	s_and_saveexec_b32 s4, s0
	s_cbranch_execz .LBB20_107
; %bb.104:
	v_add_nc_u32_e32 v53, -10, v0
	s_movk_i32 s5, 0x100
	s_mov_b32 s0, 0
.LBB20_105:                             ; =>This Inner Loop Header: Depth=1
	scratch_load_b64 v[54:55], v52, off
	v_dual_mov_b32 v56, s5 :: v_dual_add_nc_u32 v53, -1, v53
	v_add_nc_u32_e32 v52, 8, v52
	s_add_i32 s5, s5, 8
	ds_load_b64 v[56:57], v56
	v_cmp_eq_u32_e32 vcc_lo, 0, v53
	s_or_b32 s0, vcc_lo, s0
	s_waitcnt vmcnt(0) lgkmcnt(0)
	v_fma_f64 v[43:44], v[54:55], v[56:57], v[43:44]
	s_and_not1_b32 exec_lo, exec_lo, s0
	s_cbranch_execnz .LBB20_105
; %bb.106:
	s_or_b32 exec_lo, exec_lo, s0
.LBB20_107:
	s_delay_alu instid0(SALU_CYCLE_1)
	s_or_b32 exec_lo, exec_lo, s4
	v_mov_b32_e32 v52, 0
	ds_load_b64 v[52:53], v52 offset:72
	s_waitcnt lgkmcnt(0)
	v_mul_f64 v[43:44], v[43:44], v[52:53]
	scratch_store_b64 off, v[43:44], off offset:72
.LBB20_108:
	s_or_b32 exec_lo, exec_lo, s3
	scratch_load_b64 v[43:44], off, off offset:64
	v_cmp_lt_u32_e64 s0, 8, v0
	s_waitcnt vmcnt(0)
	ds_store_b64 v46, v[43:44]
	s_waitcnt lgkmcnt(0)
	s_waitcnt_vscnt null, 0x0
	s_barrier
	buffer_gl0_inv
	s_and_saveexec_b32 s3, s0
	s_cbranch_execz .LBB20_118
; %bb.109:
	s_and_not1_b32 vcc_lo, exec_lo, s2
	s_cbranch_vccnz .LBB20_111
; %bb.110:
	scratch_load_b64 v[43:44], v47, off
	ds_load_b64 v[52:53], v46
	s_waitcnt vmcnt(0) lgkmcnt(0)
	v_mul_f64 v[43:44], v[43:44], v[52:53]
	s_cbranch_execz .LBB20_112
	s_branch .LBB20_113
.LBB20_111:
                                        ; implicit-def: $vgpr43_vgpr44
.LBB20_112:
	ds_load_b64 v[43:44], v46
.LBB20_113:
	s_and_saveexec_b32 s4, s1
	s_cbranch_execz .LBB20_117
; %bb.114:
	v_dual_mov_b32 v52, 0 :: v_dual_add_nc_u32 v53, -9, v0
	s_movk_i32 s5, 0xf8
	s_mov_b32 s1, 0
	s_delay_alu instid0(VALU_DEP_1)
	v_add_nc_u32_e32 v52, 0x48, v52
.LBB20_115:                             ; =>This Inner Loop Header: Depth=1
	scratch_load_b64 v[54:55], v52, off
	v_dual_mov_b32 v56, s5 :: v_dual_add_nc_u32 v53, -1, v53
	v_add_nc_u32_e32 v52, 8, v52
	s_add_i32 s5, s5, 8
	ds_load_b64 v[56:57], v56
	v_cmp_eq_u32_e32 vcc_lo, 0, v53
	s_or_b32 s1, vcc_lo, s1
	s_waitcnt vmcnt(0) lgkmcnt(0)
	v_fma_f64 v[43:44], v[54:55], v[56:57], v[43:44]
	s_and_not1_b32 exec_lo, exec_lo, s1
	s_cbranch_execnz .LBB20_115
; %bb.116:
	s_or_b32 exec_lo, exec_lo, s1
.LBB20_117:
	s_delay_alu instid0(SALU_CYCLE_1)
	s_or_b32 exec_lo, exec_lo, s4
	v_mov_b32_e32 v52, 0
	ds_load_b64 v[52:53], v52 offset:64
	s_waitcnt lgkmcnt(0)
	v_mul_f64 v[43:44], v[43:44], v[52:53]
	scratch_store_b64 off, v[43:44], off offset:64
.LBB20_118:
	s_or_b32 exec_lo, exec_lo, s3
	scratch_load_b64 v[43:44], off, off offset:56
	v_cmp_lt_u32_e64 s1, 7, v0
	s_waitcnt vmcnt(0)
	ds_store_b64 v46, v[43:44]
	s_waitcnt lgkmcnt(0)
	s_waitcnt_vscnt null, 0x0
	s_barrier
	buffer_gl0_inv
	s_and_saveexec_b32 s3, s1
	s_cbranch_execz .LBB20_128
; %bb.119:
	s_and_not1_b32 vcc_lo, exec_lo, s2
	s_cbranch_vccnz .LBB20_121
; %bb.120:
	scratch_load_b64 v[43:44], v47, off
	ds_load_b64 v[52:53], v46
	s_waitcnt vmcnt(0) lgkmcnt(0)
	v_mul_f64 v[43:44], v[43:44], v[52:53]
	s_cbranch_execz .LBB20_122
	s_branch .LBB20_123
.LBB20_121:
                                        ; implicit-def: $vgpr43_vgpr44
.LBB20_122:
	ds_load_b64 v[43:44], v46
.LBB20_123:
	s_and_saveexec_b32 s4, s0
	s_cbranch_execz .LBB20_127
; %bb.124:
	v_add_nc_u32_e32 v52, -8, v0
	s_movk_i32 s5, 0xf0
	s_mov_b32 s0, 0
.LBB20_125:                             ; =>This Inner Loop Header: Depth=1
	scratch_load_b64 v[53:54], v51, off
	v_dual_mov_b32 v55, s5 :: v_dual_add_nc_u32 v52, -1, v52
	v_add_nc_u32_e32 v51, 8, v51
	s_add_i32 s5, s5, 8
	ds_load_b64 v[55:56], v55
	v_cmp_eq_u32_e32 vcc_lo, 0, v52
	s_or_b32 s0, vcc_lo, s0
	s_waitcnt vmcnt(0) lgkmcnt(0)
	v_fma_f64 v[43:44], v[53:54], v[55:56], v[43:44]
	s_and_not1_b32 exec_lo, exec_lo, s0
	s_cbranch_execnz .LBB20_125
; %bb.126:
	s_or_b32 exec_lo, exec_lo, s0
.LBB20_127:
	s_delay_alu instid0(SALU_CYCLE_1)
	s_or_b32 exec_lo, exec_lo, s4
	v_mov_b32_e32 v51, 0
	ds_load_b64 v[51:52], v51 offset:56
	s_waitcnt lgkmcnt(0)
	v_mul_f64 v[43:44], v[43:44], v[51:52]
	scratch_store_b64 off, v[43:44], off offset:56
.LBB20_128:
	s_or_b32 exec_lo, exec_lo, s3
	scratch_load_b64 v[43:44], off, off offset:48
	v_cmp_lt_u32_e64 s0, 6, v0
	s_waitcnt vmcnt(0)
	ds_store_b64 v46, v[43:44]
	s_waitcnt lgkmcnt(0)
	s_waitcnt_vscnt null, 0x0
	s_barrier
	buffer_gl0_inv
	s_and_saveexec_b32 s3, s0
	s_cbranch_execz .LBB20_138
; %bb.129:
	s_and_not1_b32 vcc_lo, exec_lo, s2
	s_cbranch_vccnz .LBB20_131
; %bb.130:
	scratch_load_b64 v[43:44], v47, off
	ds_load_b64 v[51:52], v46
	s_waitcnt vmcnt(0) lgkmcnt(0)
	v_mul_f64 v[43:44], v[43:44], v[51:52]
	s_cbranch_execz .LBB20_132
	s_branch .LBB20_133
.LBB20_131:
                                        ; implicit-def: $vgpr43_vgpr44
.LBB20_132:
	ds_load_b64 v[43:44], v46
.LBB20_133:
	s_and_saveexec_b32 s4, s1
	s_cbranch_execz .LBB20_137
; %bb.134:
	v_add_nc_u32_e64 v51, 0, 56
	v_add_nc_u32_e32 v52, -7, v0
	s_movk_i32 s5, 0xe8
	s_mov_b32 s1, 0
.LBB20_135:                             ; =>This Inner Loop Header: Depth=1
	scratch_load_b64 v[53:54], v51, off
	v_dual_mov_b32 v55, s5 :: v_dual_add_nc_u32 v52, -1, v52
	v_add_nc_u32_e32 v51, 8, v51
	s_add_i32 s5, s5, 8
	ds_load_b64 v[55:56], v55
	v_cmp_eq_u32_e32 vcc_lo, 0, v52
	s_or_b32 s1, vcc_lo, s1
	s_waitcnt vmcnt(0) lgkmcnt(0)
	v_fma_f64 v[43:44], v[53:54], v[55:56], v[43:44]
	s_and_not1_b32 exec_lo, exec_lo, s1
	s_cbranch_execnz .LBB20_135
; %bb.136:
	s_or_b32 exec_lo, exec_lo, s1
.LBB20_137:
	s_delay_alu instid0(SALU_CYCLE_1)
	s_or_b32 exec_lo, exec_lo, s4
	v_mov_b32_e32 v51, 0
	ds_load_b64 v[51:52], v51 offset:48
	s_waitcnt lgkmcnt(0)
	v_mul_f64 v[43:44], v[43:44], v[51:52]
	scratch_store_b64 off, v[43:44], off offset:48
.LBB20_138:
	s_or_b32 exec_lo, exec_lo, s3
	scratch_load_b64 v[43:44], off, off offset:40
	v_cmp_lt_u32_e64 s1, 5, v0
	s_waitcnt vmcnt(0)
	ds_store_b64 v46, v[43:44]
	s_waitcnt lgkmcnt(0)
	s_waitcnt_vscnt null, 0x0
	s_barrier
	buffer_gl0_inv
	s_and_saveexec_b32 s3, s1
	s_cbranch_execz .LBB20_148
; %bb.139:
	s_and_not1_b32 vcc_lo, exec_lo, s2
	s_cbranch_vccnz .LBB20_141
; %bb.140:
	scratch_load_b64 v[43:44], v47, off
	ds_load_b64 v[51:52], v46
	s_waitcnt vmcnt(0) lgkmcnt(0)
	v_mul_f64 v[43:44], v[43:44], v[51:52]
	s_cbranch_execz .LBB20_142
	s_branch .LBB20_143
.LBB20_141:
                                        ; implicit-def: $vgpr43_vgpr44
.LBB20_142:
	ds_load_b64 v[43:44], v46
.LBB20_143:
	s_and_saveexec_b32 s4, s0
	s_cbranch_execz .LBB20_147
; %bb.144:
	v_add_nc_u32_e32 v51, -6, v0
	s_movk_i32 s5, 0xe0
	s_mov_b32 s0, 0
.LBB20_145:                             ; =>This Inner Loop Header: Depth=1
	scratch_load_b64 v[52:53], v50, off
	v_dual_mov_b32 v54, s5 :: v_dual_add_nc_u32 v51, -1, v51
	v_add_nc_u32_e32 v50, 8, v50
	s_add_i32 s5, s5, 8
	ds_load_b64 v[54:55], v54
	v_cmp_eq_u32_e32 vcc_lo, 0, v51
	s_or_b32 s0, vcc_lo, s0
	s_waitcnt vmcnt(0) lgkmcnt(0)
	v_fma_f64 v[43:44], v[52:53], v[54:55], v[43:44]
	s_and_not1_b32 exec_lo, exec_lo, s0
	s_cbranch_execnz .LBB20_145
; %bb.146:
	s_or_b32 exec_lo, exec_lo, s0
.LBB20_147:
	s_delay_alu instid0(SALU_CYCLE_1)
	s_or_b32 exec_lo, exec_lo, s4
	v_mov_b32_e32 v50, 0
	ds_load_b64 v[50:51], v50 offset:40
	s_waitcnt lgkmcnt(0)
	v_mul_f64 v[43:44], v[43:44], v[50:51]
	scratch_store_b64 off, v[43:44], off offset:40
.LBB20_148:
	s_or_b32 exec_lo, exec_lo, s3
	scratch_load_b64 v[43:44], off, off offset:32
	v_cmp_lt_u32_e64 s0, 4, v0
	s_waitcnt vmcnt(0)
	ds_store_b64 v46, v[43:44]
	s_waitcnt lgkmcnt(0)
	s_waitcnt_vscnt null, 0x0
	s_barrier
	buffer_gl0_inv
	s_and_saveexec_b32 s3, s0
	s_cbranch_execz .LBB20_158
; %bb.149:
	s_and_not1_b32 vcc_lo, exec_lo, s2
	s_cbranch_vccnz .LBB20_151
; %bb.150:
	scratch_load_b64 v[43:44], v47, off
	ds_load_b64 v[50:51], v46
	s_waitcnt vmcnt(0) lgkmcnt(0)
	v_mul_f64 v[43:44], v[43:44], v[50:51]
	s_cbranch_execz .LBB20_152
	s_branch .LBB20_153
.LBB20_151:
                                        ; implicit-def: $vgpr43_vgpr44
.LBB20_152:
	ds_load_b64 v[43:44], v46
.LBB20_153:
	s_and_saveexec_b32 s4, s1
	s_cbranch_execz .LBB20_157
; %bb.154:
	v_add_nc_u32_e64 v50, 0, 40
	v_add_nc_u32_e32 v51, -5, v0
	s_movk_i32 s5, 0xd8
	s_mov_b32 s1, 0
.LBB20_155:                             ; =>This Inner Loop Header: Depth=1
	scratch_load_b64 v[52:53], v50, off
	v_dual_mov_b32 v54, s5 :: v_dual_add_nc_u32 v51, -1, v51
	v_add_nc_u32_e32 v50, 8, v50
	s_add_i32 s5, s5, 8
	ds_load_b64 v[54:55], v54
	v_cmp_eq_u32_e32 vcc_lo, 0, v51
	s_or_b32 s1, vcc_lo, s1
	s_waitcnt vmcnt(0) lgkmcnt(0)
	v_fma_f64 v[43:44], v[52:53], v[54:55], v[43:44]
	s_and_not1_b32 exec_lo, exec_lo, s1
	s_cbranch_execnz .LBB20_155
; %bb.156:
	s_or_b32 exec_lo, exec_lo, s1
.LBB20_157:
	s_delay_alu instid0(SALU_CYCLE_1)
	s_or_b32 exec_lo, exec_lo, s4
	v_mov_b32_e32 v50, 0
	ds_load_b64 v[50:51], v50 offset:32
	s_waitcnt lgkmcnt(0)
	v_mul_f64 v[43:44], v[43:44], v[50:51]
	scratch_store_b64 off, v[43:44], off offset:32
.LBB20_158:
	s_or_b32 exec_lo, exec_lo, s3
	scratch_load_b64 v[43:44], off, off offset:24
	v_cmp_lt_u32_e64 s1, 3, v0
	s_waitcnt vmcnt(0)
	ds_store_b64 v46, v[43:44]
	s_waitcnt lgkmcnt(0)
	s_waitcnt_vscnt null, 0x0
	s_barrier
	buffer_gl0_inv
	s_and_saveexec_b32 s3, s1
	s_cbranch_execz .LBB20_168
; %bb.159:
	s_and_not1_b32 vcc_lo, exec_lo, s2
	s_cbranch_vccnz .LBB20_161
; %bb.160:
	scratch_load_b64 v[43:44], v47, off
	ds_load_b64 v[50:51], v46
	s_waitcnt vmcnt(0) lgkmcnt(0)
	v_mul_f64 v[43:44], v[43:44], v[50:51]
	s_cbranch_execz .LBB20_162
	s_branch .LBB20_163
.LBB20_161:
                                        ; implicit-def: $vgpr43_vgpr44
.LBB20_162:
	ds_load_b64 v[43:44], v46
.LBB20_163:
	s_and_saveexec_b32 s4, s0
	s_cbranch_execz .LBB20_167
; %bb.164:
	v_add_nc_u32_e32 v50, -4, v0
	s_movk_i32 s5, 0xd0
	s_mov_b32 s0, 0
.LBB20_165:                             ; =>This Inner Loop Header: Depth=1
	scratch_load_b64 v[51:52], v49, off
	v_dual_mov_b32 v53, s5 :: v_dual_add_nc_u32 v50, -1, v50
	v_add_nc_u32_e32 v49, 8, v49
	s_add_i32 s5, s5, 8
	ds_load_b64 v[53:54], v53
	v_cmp_eq_u32_e32 vcc_lo, 0, v50
	s_or_b32 s0, vcc_lo, s0
	s_waitcnt vmcnt(0) lgkmcnt(0)
	v_fma_f64 v[43:44], v[51:52], v[53:54], v[43:44]
	s_and_not1_b32 exec_lo, exec_lo, s0
	s_cbranch_execnz .LBB20_165
; %bb.166:
	s_or_b32 exec_lo, exec_lo, s0
.LBB20_167:
	s_delay_alu instid0(SALU_CYCLE_1)
	s_or_b32 exec_lo, exec_lo, s4
	v_mov_b32_e32 v49, 0
	ds_load_b64 v[49:50], v49 offset:24
	s_waitcnt lgkmcnt(0)
	v_mul_f64 v[43:44], v[43:44], v[49:50]
	scratch_store_b64 off, v[43:44], off offset:24
.LBB20_168:
	s_or_b32 exec_lo, exec_lo, s3
	scratch_load_b64 v[43:44], off, off offset:16
	v_cmp_lt_u32_e64 s0, 2, v0
	s_waitcnt vmcnt(0)
	ds_store_b64 v46, v[43:44]
	s_waitcnt lgkmcnt(0)
	s_waitcnt_vscnt null, 0x0
	s_barrier
	buffer_gl0_inv
	s_and_saveexec_b32 s3, s0
	s_cbranch_execz .LBB20_178
; %bb.169:
	s_and_not1_b32 vcc_lo, exec_lo, s2
	s_cbranch_vccnz .LBB20_171
; %bb.170:
	scratch_load_b64 v[43:44], v47, off
	ds_load_b64 v[49:50], v46
	s_waitcnt vmcnt(0) lgkmcnt(0)
	v_mul_f64 v[43:44], v[43:44], v[49:50]
	s_cbranch_execz .LBB20_172
	s_branch .LBB20_173
.LBB20_171:
                                        ; implicit-def: $vgpr43_vgpr44
.LBB20_172:
	ds_load_b64 v[43:44], v46
.LBB20_173:
	s_and_saveexec_b32 s4, s1
	s_cbranch_execz .LBB20_177
; %bb.174:
	v_add_nc_u32_e64 v49, 0, 24
	v_add_nc_u32_e32 v50, -3, v0
	s_movk_i32 s5, 0xc8
	s_mov_b32 s1, 0
.LBB20_175:                             ; =>This Inner Loop Header: Depth=1
	scratch_load_b64 v[51:52], v49, off
	v_dual_mov_b32 v53, s5 :: v_dual_add_nc_u32 v50, -1, v50
	v_add_nc_u32_e32 v49, 8, v49
	s_add_i32 s5, s5, 8
	ds_load_b64 v[53:54], v53
	v_cmp_eq_u32_e32 vcc_lo, 0, v50
	s_or_b32 s1, vcc_lo, s1
	s_waitcnt vmcnt(0) lgkmcnt(0)
	v_fma_f64 v[43:44], v[51:52], v[53:54], v[43:44]
	s_and_not1_b32 exec_lo, exec_lo, s1
	s_cbranch_execnz .LBB20_175
; %bb.176:
	s_or_b32 exec_lo, exec_lo, s1
.LBB20_177:
	s_delay_alu instid0(SALU_CYCLE_1)
	s_or_b32 exec_lo, exec_lo, s4
	v_mov_b32_e32 v49, 0
	ds_load_b64 v[49:50], v49 offset:16
	s_waitcnt lgkmcnt(0)
	v_mul_f64 v[43:44], v[43:44], v[49:50]
	scratch_store_b64 off, v[43:44], off offset:16
.LBB20_178:
	s_or_b32 exec_lo, exec_lo, s3
	scratch_load_b64 v[43:44], off, off offset:8
	v_cmp_lt_u32_e64 s1, 1, v0
	s_waitcnt vmcnt(0)
	ds_store_b64 v46, v[43:44]
	s_waitcnt lgkmcnt(0)
	s_waitcnt_vscnt null, 0x0
	s_barrier
	buffer_gl0_inv
	s_and_saveexec_b32 s3, s1
	s_cbranch_execz .LBB20_188
; %bb.179:
	s_and_not1_b32 vcc_lo, exec_lo, s2
	s_cbranch_vccnz .LBB20_181
; %bb.180:
	scratch_load_b64 v[43:44], v47, off
	ds_load_b64 v[49:50], v46
	s_waitcnt vmcnt(0) lgkmcnt(0)
	v_mul_f64 v[43:44], v[43:44], v[49:50]
	s_cbranch_execz .LBB20_182
	s_branch .LBB20_183
.LBB20_181:
                                        ; implicit-def: $vgpr43_vgpr44
.LBB20_182:
	ds_load_b64 v[43:44], v46
.LBB20_183:
	s_and_saveexec_b32 s4, s0
	s_cbranch_execz .LBB20_187
; %bb.184:
	v_add_nc_u32_e32 v49, -2, v0
	s_movk_i32 s5, 0xc0
	s_mov_b32 s0, 0
.LBB20_185:                             ; =>This Inner Loop Header: Depth=1
	scratch_load_b64 v[50:51], v48, off
	v_dual_mov_b32 v52, s5 :: v_dual_add_nc_u32 v49, -1, v49
	v_add_nc_u32_e32 v48, 8, v48
	s_add_i32 s5, s5, 8
	ds_load_b64 v[52:53], v52
	v_cmp_eq_u32_e32 vcc_lo, 0, v49
	s_or_b32 s0, vcc_lo, s0
	s_waitcnt vmcnt(0) lgkmcnt(0)
	v_fma_f64 v[43:44], v[50:51], v[52:53], v[43:44]
	s_and_not1_b32 exec_lo, exec_lo, s0
	s_cbranch_execnz .LBB20_185
; %bb.186:
	s_or_b32 exec_lo, exec_lo, s0
.LBB20_187:
	s_delay_alu instid0(SALU_CYCLE_1)
	s_or_b32 exec_lo, exec_lo, s4
	v_mov_b32_e32 v48, 0
	ds_load_b64 v[48:49], v48 offset:8
	s_waitcnt lgkmcnt(0)
	v_mul_f64 v[43:44], v[43:44], v[48:49]
	scratch_store_b64 off, v[43:44], off offset:8
.LBB20_188:
	s_or_b32 exec_lo, exec_lo, s3
	scratch_load_b64 v[43:44], off, off
	s_mov_b32 s0, 0
	s_mov_b32 s3, exec_lo
	s_waitcnt vmcnt(0)
	ds_store_b64 v46, v[43:44]
	s_waitcnt lgkmcnt(0)
	s_waitcnt_vscnt null, 0x0
	s_barrier
	buffer_gl0_inv
	v_cmpx_ne_u32_e32 0, v0
	s_cbranch_execz .LBB20_198
; %bb.189:
	s_and_not1_b32 vcc_lo, exec_lo, s2
	s_cbranch_vccnz .LBB20_191
; %bb.190:
	scratch_load_b64 v[43:44], v47, off
	ds_load_b64 v[48:49], v46
	s_waitcnt vmcnt(0) lgkmcnt(0)
	v_mul_f64 v[43:44], v[43:44], v[48:49]
	s_cbranch_execz .LBB20_192
	s_branch .LBB20_193
.LBB20_191:
                                        ; implicit-def: $vgpr43_vgpr44
.LBB20_192:
	ds_load_b64 v[43:44], v46
.LBB20_193:
	s_and_saveexec_b32 s4, s1
	s_cbranch_execz .LBB20_197
; %bb.194:
	v_or_b32_e64 v48, 0, 8
	v_add_nc_u32_e32 v49, -1, v0
	s_movk_i32 s5, 0xb8
	s_mov_b32 s1, 0
.LBB20_195:                             ; =>This Inner Loop Header: Depth=1
	scratch_load_b64 v[50:51], v48, off
	v_dual_mov_b32 v52, s5 :: v_dual_add_nc_u32 v49, -1, v49
	v_add_nc_u32_e32 v48, 8, v48
	s_add_i32 s5, s5, 8
	ds_load_b64 v[52:53], v52
	v_cmp_eq_u32_e32 vcc_lo, 0, v49
	s_or_b32 s1, vcc_lo, s1
	s_waitcnt vmcnt(0) lgkmcnt(0)
	v_fma_f64 v[43:44], v[50:51], v[52:53], v[43:44]
	s_and_not1_b32 exec_lo, exec_lo, s1
	s_cbranch_execnz .LBB20_195
; %bb.196:
	s_or_b32 exec_lo, exec_lo, s1
.LBB20_197:
	s_delay_alu instid0(SALU_CYCLE_1)
	s_or_b32 exec_lo, exec_lo, s4
	v_mov_b32_e32 v48, 0
	ds_load_b64 v[48:49], v48
	s_waitcnt lgkmcnt(0)
	v_mul_f64 v[43:44], v[43:44], v[48:49]
	scratch_store_b64 off, v[43:44], off
.LBB20_198:
	s_or_b32 exec_lo, exec_lo, s3
.LBB20_199:
	s_delay_alu instid0(SALU_CYCLE_1)
	s_and_b32 vcc_lo, exec_lo, s0
	s_cbranch_vccz .LBB20_395
; %bb.200:
	scratch_load_b64 v[43:44], off, off offset:8
	v_cmp_eq_u32_e64 s0, 0, v0
	s_waitcnt vmcnt(0)
	ds_store_b64 v46, v[43:44]
	s_waitcnt lgkmcnt(0)
	s_waitcnt_vscnt null, 0x0
	s_barrier
	buffer_gl0_inv
	s_and_saveexec_b32 s1, s0
	s_cbranch_execz .LBB20_206
; %bb.201:
	s_and_b32 vcc_lo, exec_lo, s2
	s_cbranch_vccz .LBB20_203
; %bb.202:
	scratch_load_b64 v[43:44], v47, off
	ds_load_b64 v[48:49], v46
	s_waitcnt vmcnt(0) lgkmcnt(0)
	v_mul_f64 v[43:44], v[43:44], v[48:49]
	s_cbranch_execz .LBB20_204
	s_branch .LBB20_205
.LBB20_203:
                                        ; implicit-def: $vgpr43_vgpr44
.LBB20_204:
	ds_load_b64 v[43:44], v46
.LBB20_205:
	v_mov_b32_e32 v48, 0
	ds_load_b64 v[48:49], v48 offset:8
	s_waitcnt lgkmcnt(0)
	v_mul_f64 v[43:44], v[43:44], v[48:49]
	scratch_store_b64 off, v[43:44], off offset:8
.LBB20_206:
	s_or_b32 exec_lo, exec_lo, s1
	scratch_load_b64 v[43:44], off, off offset:16
	v_cndmask_b32_e64 v48, 0, 1, s2
	s_mov_b32 s1, exec_lo
	s_waitcnt vmcnt(0)
	ds_store_b64 v46, v[43:44]
	s_waitcnt lgkmcnt(0)
	s_waitcnt_vscnt null, 0x0
	s_barrier
	buffer_gl0_inv
	v_cmpx_gt_u32_e32 2, v0
	s_cbranch_execz .LBB20_214
; %bb.207:
	s_and_not1_b32 vcc_lo, exec_lo, s2
	s_cbranch_vccnz .LBB20_209
; %bb.208:
	scratch_load_b64 v[43:44], v47, off
	ds_load_b64 v[49:50], v46
	s_waitcnt vmcnt(0) lgkmcnt(0)
	v_mul_f64 v[43:44], v[43:44], v[49:50]
	s_cbranch_execz .LBB20_210
	s_branch .LBB20_211
.LBB20_209:
                                        ; implicit-def: $vgpr43_vgpr44
.LBB20_210:
	ds_load_b64 v[43:44], v46
.LBB20_211:
	s_and_saveexec_b32 s2, s0
	s_cbranch_execz .LBB20_213
; %bb.212:
	scratch_load_b64 v[49:50], v47, off offset:8
	ds_load_b64 v[51:52], v46 offset:8
	s_waitcnt vmcnt(0) lgkmcnt(0)
	v_fma_f64 v[43:44], v[49:50], v[51:52], v[43:44]
.LBB20_213:
	s_or_b32 exec_lo, exec_lo, s2
	v_mov_b32_e32 v49, 0
	ds_load_b64 v[49:50], v49 offset:16
	s_waitcnt lgkmcnt(0)
	v_mul_f64 v[43:44], v[43:44], v[49:50]
	scratch_store_b64 off, v[43:44], off offset:16
.LBB20_214:
	s_or_b32 exec_lo, exec_lo, s1
	scratch_load_b64 v[43:44], off, off offset:24
	s_mov_b32 s1, exec_lo
	s_waitcnt vmcnt(0)
	ds_store_b64 v46, v[43:44]
	s_waitcnt lgkmcnt(0)
	s_waitcnt_vscnt null, 0x0
	s_barrier
	buffer_gl0_inv
	v_cmpx_gt_u32_e32 3, v0
	s_cbranch_execz .LBB20_224
; %bb.215:
	v_cmp_ne_u32_e32 vcc_lo, 1, v48
	s_cbranch_vccnz .LBB20_217
; %bb.216:
	scratch_load_b64 v[43:44], v47, off
	ds_load_b64 v[49:50], v46
	s_waitcnt vmcnt(0) lgkmcnt(0)
	v_mul_f64 v[43:44], v[43:44], v[49:50]
	s_cbranch_execz .LBB20_218
	s_branch .LBB20_219
.LBB20_217:
                                        ; implicit-def: $vgpr43_vgpr44
.LBB20_218:
	ds_load_b64 v[43:44], v46
.LBB20_219:
	s_mov_b32 s2, exec_lo
	v_cmpx_ne_u32_e32 2, v0
	s_cbranch_execz .LBB20_223
; %bb.220:
	scratch_load_b64 v[49:50], v47, off offset:8
	ds_load_b64 v[51:52], v46 offset:8
	s_waitcnt vmcnt(0) lgkmcnt(0)
	v_fma_f64 v[43:44], v[49:50], v[51:52], v[43:44]
	s_and_saveexec_b32 s3, s0
	s_cbranch_execz .LBB20_222
; %bb.221:
	scratch_load_b64 v[49:50], off, off offset:16
	v_mov_b32_e32 v51, 0
	ds_load_b64 v[51:52], v51 offset:192
	s_waitcnt vmcnt(0) lgkmcnt(0)
	v_fma_f64 v[43:44], v[49:50], v[51:52], v[43:44]
.LBB20_222:
	s_or_b32 exec_lo, exec_lo, s3
.LBB20_223:
	s_delay_alu instid0(SALU_CYCLE_1)
	s_or_b32 exec_lo, exec_lo, s2
	v_mov_b32_e32 v49, 0
	ds_load_b64 v[49:50], v49 offset:24
	s_waitcnt lgkmcnt(0)
	v_mul_f64 v[43:44], v[43:44], v[49:50]
	scratch_store_b64 off, v[43:44], off offset:24
.LBB20_224:
	s_or_b32 exec_lo, exec_lo, s1
	scratch_load_b64 v[43:44], off, off offset:32
	s_mov_b32 s0, exec_lo
	s_waitcnt vmcnt(0)
	ds_store_b64 v46, v[43:44]
	s_waitcnt lgkmcnt(0)
	s_waitcnt_vscnt null, 0x0
	s_barrier
	buffer_gl0_inv
	v_cmpx_gt_u32_e32 4, v0
	s_cbranch_execz .LBB20_234
; %bb.225:
	v_cmp_ne_u32_e32 vcc_lo, 1, v48
	s_cbranch_vccnz .LBB20_227
; %bb.226:
	scratch_load_b64 v[43:44], v47, off
	ds_load_b64 v[49:50], v46
	s_waitcnt vmcnt(0) lgkmcnt(0)
	v_mul_f64 v[43:44], v[43:44], v[49:50]
	s_cbranch_execz .LBB20_228
	s_branch .LBB20_229
.LBB20_227:
                                        ; implicit-def: $vgpr43_vgpr44
.LBB20_228:
	ds_load_b64 v[43:44], v46
.LBB20_229:
	s_mov_b32 s1, exec_lo
	v_cmpx_ne_u32_e32 3, v0
	s_cbranch_execz .LBB20_233
; %bb.230:
	v_add_nc_u32_e32 v49, 0xb8, v45
	v_add3_u32 v50, 0, v45, 8
	v_mov_b32_e32 v51, v0
	s_mov_b32 s2, 0
.LBB20_231:                             ; =>This Inner Loop Header: Depth=1
	scratch_load_b64 v[52:53], v50, off
	ds_load_b64 v[54:55], v49
	v_add_nc_u32_e32 v51, 1, v51
	v_add_nc_u32_e32 v49, 8, v49
	v_add_nc_u32_e32 v50, 8, v50
	s_delay_alu instid0(VALU_DEP_3)
	v_cmp_lt_u32_e32 vcc_lo, 2, v51
	s_or_b32 s2, vcc_lo, s2
	s_waitcnt vmcnt(0) lgkmcnt(0)
	v_fma_f64 v[43:44], v[52:53], v[54:55], v[43:44]
	s_and_not1_b32 exec_lo, exec_lo, s2
	s_cbranch_execnz .LBB20_231
; %bb.232:
	s_or_b32 exec_lo, exec_lo, s2
.LBB20_233:
	s_delay_alu instid0(SALU_CYCLE_1)
	s_or_b32 exec_lo, exec_lo, s1
	v_mov_b32_e32 v49, 0
	ds_load_b64 v[49:50], v49 offset:32
	s_waitcnt lgkmcnt(0)
	v_mul_f64 v[43:44], v[43:44], v[49:50]
	scratch_store_b64 off, v[43:44], off offset:32
.LBB20_234:
	s_or_b32 exec_lo, exec_lo, s0
	scratch_load_b64 v[43:44], off, off offset:40
	s_mov_b32 s0, exec_lo
	s_waitcnt vmcnt(0)
	ds_store_b64 v46, v[43:44]
	s_waitcnt lgkmcnt(0)
	s_waitcnt_vscnt null, 0x0
	s_barrier
	buffer_gl0_inv
	v_cmpx_gt_u32_e32 5, v0
	s_cbranch_execz .LBB20_244
; %bb.235:
	v_cmp_ne_u32_e32 vcc_lo, 1, v48
	s_cbranch_vccnz .LBB20_237
; %bb.236:
	scratch_load_b64 v[43:44], v47, off
	ds_load_b64 v[49:50], v46
	s_waitcnt vmcnt(0) lgkmcnt(0)
	v_mul_f64 v[43:44], v[43:44], v[49:50]
	s_cbranch_execz .LBB20_238
	s_branch .LBB20_239
.LBB20_237:
                                        ; implicit-def: $vgpr43_vgpr44
.LBB20_238:
	ds_load_b64 v[43:44], v46
.LBB20_239:
	s_mov_b32 s1, exec_lo
	v_cmpx_ne_u32_e32 4, v0
	s_cbranch_execz .LBB20_243
; %bb.240:
	v_add_nc_u32_e32 v49, 0xb8, v45
	v_add3_u32 v50, 0, v45, 8
	v_mov_b32_e32 v51, v0
	s_mov_b32 s2, 0
.LBB20_241:                             ; =>This Inner Loop Header: Depth=1
	scratch_load_b64 v[52:53], v50, off
	ds_load_b64 v[54:55], v49
	v_add_nc_u32_e32 v51, 1, v51
	v_add_nc_u32_e32 v49, 8, v49
	v_add_nc_u32_e32 v50, 8, v50
	s_delay_alu instid0(VALU_DEP_3)
	v_cmp_lt_u32_e32 vcc_lo, 3, v51
	s_or_b32 s2, vcc_lo, s2
	s_waitcnt vmcnt(0) lgkmcnt(0)
	v_fma_f64 v[43:44], v[52:53], v[54:55], v[43:44]
	s_and_not1_b32 exec_lo, exec_lo, s2
	s_cbranch_execnz .LBB20_241
; %bb.242:
	s_or_b32 exec_lo, exec_lo, s2
.LBB20_243:
	s_delay_alu instid0(SALU_CYCLE_1)
	s_or_b32 exec_lo, exec_lo, s1
	v_mov_b32_e32 v49, 0
	ds_load_b64 v[49:50], v49 offset:40
	s_waitcnt lgkmcnt(0)
	v_mul_f64 v[43:44], v[43:44], v[49:50]
	scratch_store_b64 off, v[43:44], off offset:40
.LBB20_244:
	;; [unrolled: 58-line block ×15, first 2 shown]
	s_or_b32 exec_lo, exec_lo, s0
	scratch_load_b64 v[43:44], off, off offset:152
	v_cmp_gt_u32_e64 s0, 19, v0
	s_waitcnt vmcnt(0)
	ds_store_b64 v46, v[43:44]
	s_waitcnt lgkmcnt(0)
	s_waitcnt_vscnt null, 0x0
	s_barrier
	buffer_gl0_inv
	s_and_saveexec_b32 s1, s0
	s_cbranch_execz .LBB20_384
; %bb.375:
	v_cmp_ne_u32_e32 vcc_lo, 1, v48
	s_cbranch_vccnz .LBB20_377
; %bb.376:
	scratch_load_b64 v[43:44], v47, off
	ds_load_b64 v[49:50], v46
	s_waitcnt vmcnt(0) lgkmcnt(0)
	v_mul_f64 v[43:44], v[43:44], v[49:50]
	s_cbranch_execz .LBB20_378
	s_branch .LBB20_379
.LBB20_377:
                                        ; implicit-def: $vgpr43_vgpr44
.LBB20_378:
	ds_load_b64 v[43:44], v46
.LBB20_379:
	s_mov_b32 s2, exec_lo
	v_cmpx_ne_u32_e32 18, v0
	s_cbranch_execz .LBB20_383
; %bb.380:
	v_add_nc_u32_e32 v49, 0xb8, v45
	v_add3_u32 v50, 0, v45, 8
	v_mov_b32_e32 v51, v0
	s_mov_b32 s3, 0
.LBB20_381:                             ; =>This Inner Loop Header: Depth=1
	scratch_load_b64 v[52:53], v50, off
	ds_load_b64 v[54:55], v49
	v_add_nc_u32_e32 v51, 1, v51
	v_add_nc_u32_e32 v49, 8, v49
	;; [unrolled: 1-line block ×3, first 2 shown]
	s_delay_alu instid0(VALU_DEP_3)
	v_cmp_lt_u32_e32 vcc_lo, 17, v51
	s_or_b32 s3, vcc_lo, s3
	s_waitcnt vmcnt(0) lgkmcnt(0)
	v_fma_f64 v[43:44], v[52:53], v[54:55], v[43:44]
	s_and_not1_b32 exec_lo, exec_lo, s3
	s_cbranch_execnz .LBB20_381
; %bb.382:
	s_or_b32 exec_lo, exec_lo, s3
.LBB20_383:
	s_delay_alu instid0(SALU_CYCLE_1)
	s_or_b32 exec_lo, exec_lo, s2
	v_mov_b32_e32 v49, 0
	ds_load_b64 v[49:50], v49 offset:152
	s_waitcnt lgkmcnt(0)
	v_mul_f64 v[43:44], v[43:44], v[49:50]
	scratch_store_b64 off, v[43:44], off offset:152
.LBB20_384:
	s_or_b32 exec_lo, exec_lo, s1
	scratch_load_b64 v[43:44], off, off offset:160
	s_mov_b32 s1, exec_lo
	s_waitcnt vmcnt(0)
	ds_store_b64 v46, v[43:44]
	s_waitcnt lgkmcnt(0)
	s_waitcnt_vscnt null, 0x0
	s_barrier
	buffer_gl0_inv
	v_cmpx_ne_u32_e32 20, v0
	s_cbranch_execz .LBB20_394
; %bb.385:
	v_cmp_ne_u32_e32 vcc_lo, 1, v48
	s_cbranch_vccnz .LBB20_387
; %bb.386:
	scratch_load_b64 v[43:44], v47, off
	ds_load_b64 v[47:48], v46
	s_waitcnt vmcnt(0) lgkmcnt(0)
	v_mul_f64 v[43:44], v[43:44], v[47:48]
	s_cbranch_execz .LBB20_388
	s_branch .LBB20_389
.LBB20_387:
                                        ; implicit-def: $vgpr43_vgpr44
.LBB20_388:
	ds_load_b64 v[43:44], v46
.LBB20_389:
	s_and_saveexec_b32 s2, s0
	s_cbranch_execz .LBB20_393
; %bb.390:
	v_add_nc_u32_e32 v46, 0xb8, v45
	v_add3_u32 v45, 0, v45, 8
	s_mov_b32 s0, 0
.LBB20_391:                             ; =>This Inner Loop Header: Depth=1
	scratch_load_b64 v[47:48], v45, off
	ds_load_b64 v[49:50], v46
	v_add_nc_u32_e32 v0, 1, v0
	v_add_nc_u32_e32 v46, 8, v46
	;; [unrolled: 1-line block ×3, first 2 shown]
	s_delay_alu instid0(VALU_DEP_3)
	v_cmp_lt_u32_e32 vcc_lo, 18, v0
	s_or_b32 s0, vcc_lo, s0
	s_waitcnt vmcnt(0) lgkmcnt(0)
	v_fma_f64 v[43:44], v[47:48], v[49:50], v[43:44]
	s_and_not1_b32 exec_lo, exec_lo, s0
	s_cbranch_execnz .LBB20_391
; %bb.392:
	s_or_b32 exec_lo, exec_lo, s0
.LBB20_393:
	s_delay_alu instid0(SALU_CYCLE_1)
	s_or_b32 exec_lo, exec_lo, s2
	v_mov_b32_e32 v0, 0
	ds_load_b64 v[45:46], v0 offset:160
	s_waitcnt lgkmcnt(0)
	v_mul_f64 v[43:44], v[43:44], v[45:46]
	scratch_store_b64 off, v[43:44], off offset:160
.LBB20_394:
	s_or_b32 exec_lo, exec_lo, s1
.LBB20_395:
	s_clause 0xa
	scratch_load_b128 v[43:46], off, off
	scratch_load_b128 v[47:50], off, off offset:16
	scratch_load_b128 v[51:54], off, off offset:32
	;; [unrolled: 1-line block ×9, first 2 shown]
	scratch_load_b64 v[83:84], off, off offset:160
	s_waitcnt vmcnt(10)
	s_clause 0x1
	global_store_b64 v[1:2], v[43:44], off
	global_store_b64 v[3:4], v[45:46], off
	s_waitcnt vmcnt(9)
	s_clause 0x1
	global_store_b64 v[5:6], v[47:48], off
	global_store_b64 v[7:8], v[49:50], off
	;; [unrolled: 4-line block ×10, first 2 shown]
	s_waitcnt vmcnt(0)
	global_store_b64 v[41:42], v[83:84], off
.LBB20_396:
	s_endpgm
	.section	.rodata,"a",@progbits
	.p2align	6, 0x0
	.amdhsa_kernel _ZN9rocsolver6v33100L18trti2_kernel_smallILi21EdPdEEv13rocblas_fill_17rocblas_diagonal_T1_iil
		.amdhsa_group_segment_fixed_size 344
		.amdhsa_private_segment_fixed_size 176
		.amdhsa_kernarg_size 32
		.amdhsa_user_sgpr_count 15
		.amdhsa_user_sgpr_dispatch_ptr 0
		.amdhsa_user_sgpr_queue_ptr 0
		.amdhsa_user_sgpr_kernarg_segment_ptr 1
		.amdhsa_user_sgpr_dispatch_id 0
		.amdhsa_user_sgpr_private_segment_size 0
		.amdhsa_wavefront_size32 1
		.amdhsa_uses_dynamic_stack 0
		.amdhsa_enable_private_segment 1
		.amdhsa_system_sgpr_workgroup_id_x 1
		.amdhsa_system_sgpr_workgroup_id_y 0
		.amdhsa_system_sgpr_workgroup_id_z 0
		.amdhsa_system_sgpr_workgroup_info 0
		.amdhsa_system_vgpr_workitem_id 0
		.amdhsa_next_free_vgpr 88
		.amdhsa_next_free_sgpr 16
		.amdhsa_reserve_vcc 1
		.amdhsa_float_round_mode_32 0
		.amdhsa_float_round_mode_16_64 0
		.amdhsa_float_denorm_mode_32 3
		.amdhsa_float_denorm_mode_16_64 3
		.amdhsa_dx10_clamp 1
		.amdhsa_ieee_mode 1
		.amdhsa_fp16_overflow 0
		.amdhsa_workgroup_processor_mode 1
		.amdhsa_memory_ordered 1
		.amdhsa_forward_progress 0
		.amdhsa_shared_vgpr_count 0
		.amdhsa_exception_fp_ieee_invalid_op 0
		.amdhsa_exception_fp_denorm_src 0
		.amdhsa_exception_fp_ieee_div_zero 0
		.amdhsa_exception_fp_ieee_overflow 0
		.amdhsa_exception_fp_ieee_underflow 0
		.amdhsa_exception_fp_ieee_inexact 0
		.amdhsa_exception_int_div_zero 0
	.end_amdhsa_kernel
	.section	.text._ZN9rocsolver6v33100L18trti2_kernel_smallILi21EdPdEEv13rocblas_fill_17rocblas_diagonal_T1_iil,"axG",@progbits,_ZN9rocsolver6v33100L18trti2_kernel_smallILi21EdPdEEv13rocblas_fill_17rocblas_diagonal_T1_iil,comdat
.Lfunc_end20:
	.size	_ZN9rocsolver6v33100L18trti2_kernel_smallILi21EdPdEEv13rocblas_fill_17rocblas_diagonal_T1_iil, .Lfunc_end20-_ZN9rocsolver6v33100L18trti2_kernel_smallILi21EdPdEEv13rocblas_fill_17rocblas_diagonal_T1_iil
                                        ; -- End function
	.section	.AMDGPU.csdata,"",@progbits
; Kernel info:
; codeLenInByte = 11124
; NumSgprs: 18
; NumVgprs: 88
; ScratchSize: 176
; MemoryBound: 0
; FloatMode: 240
; IeeeMode: 1
; LDSByteSize: 344 bytes/workgroup (compile time only)
; SGPRBlocks: 2
; VGPRBlocks: 10
; NumSGPRsForWavesPerEU: 18
; NumVGPRsForWavesPerEU: 88
; Occupancy: 16
; WaveLimiterHint : 0
; COMPUTE_PGM_RSRC2:SCRATCH_EN: 1
; COMPUTE_PGM_RSRC2:USER_SGPR: 15
; COMPUTE_PGM_RSRC2:TRAP_HANDLER: 0
; COMPUTE_PGM_RSRC2:TGID_X_EN: 1
; COMPUTE_PGM_RSRC2:TGID_Y_EN: 0
; COMPUTE_PGM_RSRC2:TGID_Z_EN: 0
; COMPUTE_PGM_RSRC2:TIDIG_COMP_CNT: 0
	.section	.text._ZN9rocsolver6v33100L18trti2_kernel_smallILi22EdPdEEv13rocblas_fill_17rocblas_diagonal_T1_iil,"axG",@progbits,_ZN9rocsolver6v33100L18trti2_kernel_smallILi22EdPdEEv13rocblas_fill_17rocblas_diagonal_T1_iil,comdat
	.globl	_ZN9rocsolver6v33100L18trti2_kernel_smallILi22EdPdEEv13rocblas_fill_17rocblas_diagonal_T1_iil ; -- Begin function _ZN9rocsolver6v33100L18trti2_kernel_smallILi22EdPdEEv13rocblas_fill_17rocblas_diagonal_T1_iil
	.p2align	8
	.type	_ZN9rocsolver6v33100L18trti2_kernel_smallILi22EdPdEEv13rocblas_fill_17rocblas_diagonal_T1_iil,@function
_ZN9rocsolver6v33100L18trti2_kernel_smallILi22EdPdEEv13rocblas_fill_17rocblas_diagonal_T1_iil: ; @_ZN9rocsolver6v33100L18trti2_kernel_smallILi22EdPdEEv13rocblas_fill_17rocblas_diagonal_T1_iil
; %bb.0:
	s_mov_b32 s2, exec_lo
	v_cmpx_gt_u32_e32 22, v0
	s_cbranch_execz .LBB21_416
; %bb.1:
	s_load_b256 s[0:7], s[0:1], 0x0
	s_ashr_i32 s10, s15, 31
	v_lshlrev_b32_e32 v47, 3, v0
	s_waitcnt lgkmcnt(0)
	s_ashr_i32 s9, s4, 31
	s_mov_b32 s8, s4
	s_mul_i32 s4, s15, s7
	s_mul_hi_u32 s7, s15, s6
	v_add3_u32 v1, s5, s5, v0
	s_mul_i32 s11, s10, s6
	s_add_i32 s4, s7, s4
	s_mul_i32 s6, s15, s6
	s_add_i32 s7, s4, s11
	v_add_nc_u32_e32 v3, s5, v1
	s_lshl_b64 s[6:7], s[6:7], 3
	v_ashrrev_i32_e32 v2, 31, v1
	s_add_u32 s4, s2, s6
	s_addc_u32 s6, s3, s7
	s_lshl_b64 s[2:3], s[8:9], 3
	v_add_nc_u32_e32 v7, s5, v3
	s_add_u32 s2, s4, s2
	v_lshlrev_b64 v[5:6], 3, v[1:2]
	v_ashrrev_i32_e32 v4, 31, v3
	s_addc_u32 s3, s6, s3
	v_add_co_u32 v1, s4, s2, v47
	s_mov_b32 s10, s5
	s_ashr_i32 s11, s5, 31
	v_add_co_ci_u32_e64 v2, null, s3, 0, s4
	s_lshl_b64 s[6:7], s[10:11], 3
	v_ashrrev_i32_e32 v8, 31, v7
	v_lshlrev_b64 v[9:10], 3, v[3:4]
	v_add_co_u32 v3, vcc_lo, v1, s6
	v_add_nc_u32_e32 v13, s5, v7
	v_add_co_ci_u32_e32 v4, vcc_lo, s7, v2, vcc_lo
	v_add_co_u32 v5, vcc_lo, s2, v5
	v_lshlrev_b64 v[11:12], 3, v[7:8]
	v_add_co_ci_u32_e32 v6, vcc_lo, s3, v6, vcc_lo
	v_add_co_u32 v7, vcc_lo, s2, v9
	v_ashrrev_i32_e32 v14, 31, v13
	v_add_nc_u32_e32 v15, s5, v13
	v_add_co_ci_u32_e32 v8, vcc_lo, s3, v10, vcc_lo
	v_add_co_u32 v9, vcc_lo, s2, v11
	v_add_co_ci_u32_e32 v10, vcc_lo, s3, v12, vcc_lo
	v_lshlrev_b64 v[11:12], 3, v[13:14]
	v_add_nc_u32_e32 v13, s5, v15
	v_ashrrev_i32_e32 v16, 31, v15
	s_cmpk_lg_i32 s1, 0x84
	s_delay_alu instid0(VALU_DEP_2) | instskip(SKIP_1) | instid1(VALU_DEP_3)
	v_add_nc_u32_e32 v17, s5, v13
	v_ashrrev_i32_e32 v14, 31, v13
	v_lshlrev_b64 v[15:16], 3, v[15:16]
	v_add_co_u32 v11, vcc_lo, s2, v11
	s_delay_alu instid0(VALU_DEP_4) | instskip(NEXT) | instid1(VALU_DEP_4)
	v_ashrrev_i32_e32 v18, 31, v17
	v_lshlrev_b64 v[19:20], 3, v[13:14]
	v_add_nc_u32_e32 v23, s5, v17
	v_add_co_ci_u32_e32 v12, vcc_lo, s3, v12, vcc_lo
	v_add_co_u32 v13, vcc_lo, s2, v15
	v_lshlrev_b64 v[21:22], 3, v[17:18]
	v_add_co_ci_u32_e32 v14, vcc_lo, s3, v16, vcc_lo
	v_add_co_u32 v15, vcc_lo, s2, v19
	v_ashrrev_i32_e32 v24, 31, v23
	v_add_nc_u32_e32 v19, s5, v23
	v_add_co_ci_u32_e32 v16, vcc_lo, s3, v20, vcc_lo
	v_add_co_u32 v17, vcc_lo, s2, v21
	v_add_co_ci_u32_e32 v18, vcc_lo, s3, v22, vcc_lo
	v_lshlrev_b64 v[21:22], 3, v[23:24]
	v_add_nc_u32_e32 v23, s5, v19
	v_ashrrev_i32_e32 v20, 31, v19
	s_delay_alu instid0(VALU_DEP_2) | instskip(NEXT) | instid1(VALU_DEP_2)
	v_add_nc_u32_e32 v27, s5, v23
	v_lshlrev_b64 v[25:26], 3, v[19:20]
	v_add_co_u32 v19, vcc_lo, s2, v21
	v_add_co_ci_u32_e32 v20, vcc_lo, s3, v22, vcc_lo
	s_delay_alu instid0(VALU_DEP_4) | instskip(NEXT) | instid1(VALU_DEP_4)
	v_ashrrev_i32_e32 v28, 31, v27
	v_add_co_u32 v21, vcc_lo, s2, v25
	v_add_co_ci_u32_e32 v22, vcc_lo, s3, v26, vcc_lo
	s_delay_alu instid0(VALU_DEP_3) | instskip(SKIP_2) | instid1(VALU_DEP_2)
	v_lshlrev_b64 v[25:26], 3, v[27:28]
	v_add_nc_u32_e32 v27, s5, v27
	v_ashrrev_i32_e32 v24, 31, v23
	v_add_nc_u32_e32 v29, s5, v27
	s_delay_alu instid0(VALU_DEP_2) | instskip(SKIP_1) | instid1(VALU_DEP_3)
	v_lshlrev_b64 v[23:24], 3, v[23:24]
	v_ashrrev_i32_e32 v28, 31, v27
	v_add_nc_u32_e32 v31, s5, v29
	v_ashrrev_i32_e32 v30, 31, v29
	s_delay_alu instid0(VALU_DEP_4) | instskip(NEXT) | instid1(VALU_DEP_4)
	v_add_co_u32 v23, vcc_lo, s2, v23
	v_lshlrev_b64 v[27:28], 3, v[27:28]
	s_delay_alu instid0(VALU_DEP_4)
	v_add_nc_u32_e32 v33, s5, v31
	v_ashrrev_i32_e32 v32, 31, v31
	v_add_co_ci_u32_e32 v24, vcc_lo, s3, v24, vcc_lo
	v_add_co_u32 v25, vcc_lo, s2, v25
	v_lshlrev_b64 v[29:30], 3, v[29:30]
	v_ashrrev_i32_e32 v34, 31, v33
	v_add_co_ci_u32_e32 v26, vcc_lo, s3, v26, vcc_lo
	v_add_co_u32 v27, vcc_lo, s2, v27
	v_lshlrev_b64 v[31:32], 3, v[31:32]
	v_add_nc_u32_e32 v36, s5, v33
	v_add_co_ci_u32_e32 v28, vcc_lo, s3, v28, vcc_lo
	v_add_co_u32 v29, vcc_lo, s2, v29
	v_lshlrev_b64 v[34:35], 3, v[33:34]
	v_add_co_ci_u32_e32 v30, vcc_lo, s3, v30, vcc_lo
	v_add_co_u32 v31, vcc_lo, s2, v31
	v_ashrrev_i32_e32 v37, 31, v36
	v_add_nc_u32_e32 v38, s5, v36
	v_add_co_ci_u32_e32 v32, vcc_lo, s3, v32, vcc_lo
	v_add_co_u32 v33, vcc_lo, s2, v34
	v_add_co_ci_u32_e32 v34, vcc_lo, s3, v35, vcc_lo
	v_lshlrev_b64 v[35:36], 3, v[36:37]
	v_add_nc_u32_e32 v37, s5, v38
	v_ashrrev_i32_e32 v39, 31, v38
	s_delay_alu instid0(VALU_DEP_2) | instskip(NEXT) | instid1(VALU_DEP_2)
	v_add_nc_u32_e32 v41, s5, v37
	v_lshlrev_b64 v[39:40], 3, v[38:39]
	v_ashrrev_i32_e32 v38, 31, v37
	v_add_co_u32 v35, vcc_lo, s2, v35
	s_delay_alu instid0(VALU_DEP_4) | instskip(SKIP_1) | instid1(VALU_DEP_4)
	v_add_nc_u32_e32 v45, s5, v41
	v_ashrrev_i32_e32 v42, 31, v41
	v_lshlrev_b64 v[37:38], 3, v[37:38]
	v_add_co_ci_u32_e32 v36, vcc_lo, s3, v36, vcc_lo
	s_delay_alu instid0(VALU_DEP_4)
	v_ashrrev_i32_e32 v46, 31, v45
	v_add_co_u32 v39, vcc_lo, s2, v39
	v_lshlrev_b64 v[41:42], 3, v[41:42]
	v_add_co_ci_u32_e32 v40, vcc_lo, s3, v40, vcc_lo
	v_add_co_u32 v43, vcc_lo, s2, v37
	v_lshlrev_b64 v[45:46], 3, v[45:46]
	v_add_co_ci_u32_e32 v44, vcc_lo, s3, v38, vcc_lo
	v_add_co_u32 v37, vcc_lo, s2, v41
	v_add_co_ci_u32_e32 v38, vcc_lo, s3, v42, vcc_lo
	s_delay_alu instid0(VALU_DEP_4)
	v_add_co_u32 v41, vcc_lo, s2, v45
	v_add_co_ci_u32_e32 v42, vcc_lo, s3, v46, vcc_lo
	v_mov_b32_e32 v45, 0
	v_mov_b32_e32 v46, 0xbff00000
	s_clause 0x15
	global_load_b64 v[48:49], v47, s[2:3]
	global_load_b64 v[50:51], v[3:4], off
	global_load_b64 v[52:53], v[5:6], off
	;; [unrolled: 1-line block ×21, first 2 shown]
	s_cselect_b32 s2, -1, 0
	s_cmpk_eq_i32 s1, 0x84
	s_waitcnt vmcnt(20)
	scratch_store_b128 off, v[48:51], off
	s_waitcnt vmcnt(18)
	scratch_store_b128 off, v[52:55], off offset:16
	s_waitcnt vmcnt(16)
	scratch_store_b128 off, v[56:59], off offset:32
	;; [unrolled: 2-line block ×10, first 2 shown]
	s_cbranch_scc1 .LBB21_3
; %bb.2:
	scratch_load_b64 v[45:46], v47, off
	s_waitcnt vmcnt(0)
	v_div_scale_f64 v[48:49], null, v[45:46], v[45:46], 1.0
	v_div_scale_f64 v[54:55], vcc_lo, 1.0, v[45:46], 1.0
	s_delay_alu instid0(VALU_DEP_2) | instskip(SKIP_2) | instid1(VALU_DEP_1)
	v_rcp_f64_e32 v[50:51], v[48:49]
	s_waitcnt_depctr 0xfff
	v_fma_f64 v[52:53], -v[48:49], v[50:51], 1.0
	v_fma_f64 v[50:51], v[50:51], v[52:53], v[50:51]
	s_delay_alu instid0(VALU_DEP_1) | instskip(NEXT) | instid1(VALU_DEP_1)
	v_fma_f64 v[52:53], -v[48:49], v[50:51], 1.0
	v_fma_f64 v[50:51], v[50:51], v[52:53], v[50:51]
	s_delay_alu instid0(VALU_DEP_1) | instskip(NEXT) | instid1(VALU_DEP_1)
	v_mul_f64 v[52:53], v[54:55], v[50:51]
	v_fma_f64 v[48:49], -v[48:49], v[52:53], v[54:55]
	s_delay_alu instid0(VALU_DEP_1) | instskip(NEXT) | instid1(VALU_DEP_1)
	v_div_fmas_f64 v[48:49], v[48:49], v[50:51], v[52:53]
	v_div_fixup_f64 v[45:46], v[48:49], v[45:46], 1.0
	scratch_store_b64 v47, v[45:46], off
	v_xor_b32_e32 v46, 0x80000000, v46
.LBB21_3:
	v_add_nc_u32_e32 v48, 0xb0, v47
	v_add_nc_u32_e32 v49, 0, v47
	s_cmpk_eq_i32 s0, 0x79
	s_mov_b32 s0, -1
	ds_store_b64 v47, v[45:46]
	s_cbranch_scc1 .LBB21_209
; %bb.4:
	scratch_load_b64 v[45:46], off, off offset:160
	v_cmp_eq_u32_e64 s0, 21, v0
	s_movk_i32 s1, 0x50
	s_movk_i32 s3, 0x60
	;; [unrolled: 1-line block ×5, first 2 shown]
	s_waitcnt vmcnt(0)
	ds_store_b64 v48, v[45:46]
	s_waitcnt lgkmcnt(0)
	s_waitcnt_vscnt null, 0x0
	s_barrier
	buffer_gl0_inv
	s_and_saveexec_b32 s7, s0
	s_cbranch_execz .LBB21_10
; %bb.5:
	s_and_b32 vcc_lo, exec_lo, s2
	s_cbranch_vccz .LBB21_7
; %bb.6:
	scratch_load_b64 v[45:46], v49, off
	ds_load_b64 v[50:51], v48
	s_waitcnt vmcnt(0) lgkmcnt(0)
	v_mul_f64 v[45:46], v[45:46], v[50:51]
	s_cbranch_execz .LBB21_8
	s_branch .LBB21_9
.LBB21_7:
                                        ; implicit-def: $vgpr45_vgpr46
.LBB21_8:
	ds_load_b64 v[45:46], v48
.LBB21_9:
	v_mov_b32_e32 v50, 0
	ds_load_b64 v[50:51], v50 offset:160
	s_waitcnt lgkmcnt(0)
	v_mul_f64 v[45:46], v[45:46], v[50:51]
	scratch_store_b64 off, v[45:46], off offset:160
.LBB21_10:
	s_or_b32 exec_lo, exec_lo, s7
	scratch_load_b64 v[45:46], off, off offset:152
	v_add_nc_u32_e64 v50, 0, 16
	v_add_nc_u32_e64 v51, 0, 32
	;; [unrolled: 1-line block ×9, first 2 shown]
	v_cmp_lt_u32_e64 s1, 19, v0
	s_waitcnt vmcnt(0)
	ds_store_b64 v48, v[45:46]
	s_waitcnt lgkmcnt(0)
	s_waitcnt_vscnt null, 0x0
	s_barrier
	buffer_gl0_inv
	s_and_saveexec_b32 s3, s1
	s_cbranch_execz .LBB21_18
; %bb.11:
	s_and_not1_b32 vcc_lo, exec_lo, s2
	s_cbranch_vccnz .LBB21_13
; %bb.12:
	scratch_load_b64 v[45:46], v49, off
	ds_load_b64 v[59:60], v48
	s_waitcnt vmcnt(0) lgkmcnt(0)
	v_mul_f64 v[45:46], v[45:46], v[59:60]
	s_cbranch_execz .LBB21_14
	s_branch .LBB21_15
.LBB21_13:
                                        ; implicit-def: $vgpr45_vgpr46
.LBB21_14:
	ds_load_b64 v[45:46], v48
.LBB21_15:
	s_and_saveexec_b32 s4, s0
	s_cbranch_execz .LBB21_17
; %bb.16:
	scratch_load_b64 v[59:60], off, off offset:160
	v_mov_b32_e32 v61, 0
	ds_load_b64 v[61:62], v61 offset:336
	s_waitcnt vmcnt(0) lgkmcnt(0)
	v_fma_f64 v[45:46], v[59:60], v[61:62], v[45:46]
.LBB21_17:
	s_or_b32 exec_lo, exec_lo, s4
	v_mov_b32_e32 v59, 0
	ds_load_b64 v[59:60], v59 offset:152
	s_waitcnt lgkmcnt(0)
	v_mul_f64 v[45:46], v[45:46], v[59:60]
	scratch_store_b64 off, v[45:46], off offset:152
.LBB21_18:
	s_or_b32 exec_lo, exec_lo, s3
	scratch_load_b64 v[45:46], off, off offset:144
	v_cmp_lt_u32_e64 s0, 18, v0
	s_waitcnt vmcnt(0)
	ds_store_b64 v48, v[45:46]
	s_waitcnt lgkmcnt(0)
	s_waitcnt_vscnt null, 0x0
	s_barrier
	buffer_gl0_inv
	s_and_saveexec_b32 s3, s0
	s_cbranch_execz .LBB21_28
; %bb.19:
	s_and_not1_b32 vcc_lo, exec_lo, s2
	s_cbranch_vccnz .LBB21_21
; %bb.20:
	scratch_load_b64 v[45:46], v49, off
	ds_load_b64 v[59:60], v48
	s_waitcnt vmcnt(0) lgkmcnt(0)
	v_mul_f64 v[45:46], v[45:46], v[59:60]
	s_cbranch_execz .LBB21_22
	s_branch .LBB21_23
.LBB21_21:
                                        ; implicit-def: $vgpr45_vgpr46
.LBB21_22:
	ds_load_b64 v[45:46], v48
.LBB21_23:
	s_and_saveexec_b32 s4, s1
	s_cbranch_execz .LBB21_27
; %bb.24:
	v_mov_b32_e32 v59, 0
	v_subrev_nc_u32_e32 v60, 19, v0
	s_movk_i32 s5, 0x148
	s_mov_b32 s1, 0
	s_delay_alu instid0(VALU_DEP_2)
	v_add_nc_u32_e32 v59, 0x98, v59
.LBB21_25:                              ; =>This Inner Loop Header: Depth=1
	scratch_load_b64 v[61:62], v59, off
	v_dual_mov_b32 v63, s5 :: v_dual_add_nc_u32 v60, -1, v60
	v_add_nc_u32_e32 v59, 8, v59
	s_add_i32 s5, s5, 8
	ds_load_b64 v[63:64], v63
	v_cmp_eq_u32_e32 vcc_lo, 0, v60
	s_or_b32 s1, vcc_lo, s1
	s_waitcnt vmcnt(0) lgkmcnt(0)
	v_fma_f64 v[45:46], v[61:62], v[63:64], v[45:46]
	s_and_not1_b32 exec_lo, exec_lo, s1
	s_cbranch_execnz .LBB21_25
; %bb.26:
	s_or_b32 exec_lo, exec_lo, s1
.LBB21_27:
	s_delay_alu instid0(SALU_CYCLE_1)
	s_or_b32 exec_lo, exec_lo, s4
	v_mov_b32_e32 v59, 0
	ds_load_b64 v[59:60], v59 offset:144
	s_waitcnt lgkmcnt(0)
	v_mul_f64 v[45:46], v[45:46], v[59:60]
	scratch_store_b64 off, v[45:46], off offset:144
.LBB21_28:
	s_or_b32 exec_lo, exec_lo, s3
	scratch_load_b64 v[45:46], off, off offset:136
	v_cmp_lt_u32_e64 s1, 17, v0
	s_waitcnt vmcnt(0)
	ds_store_b64 v48, v[45:46]
	s_waitcnt lgkmcnt(0)
	s_waitcnt_vscnt null, 0x0
	s_barrier
	buffer_gl0_inv
	s_and_saveexec_b32 s3, s1
	s_cbranch_execz .LBB21_38
; %bb.29:
	s_and_not1_b32 vcc_lo, exec_lo, s2
	s_cbranch_vccnz .LBB21_31
; %bb.30:
	scratch_load_b64 v[45:46], v49, off
	ds_load_b64 v[59:60], v48
	s_waitcnt vmcnt(0) lgkmcnt(0)
	v_mul_f64 v[45:46], v[45:46], v[59:60]
	s_cbranch_execz .LBB21_32
	s_branch .LBB21_33
.LBB21_31:
                                        ; implicit-def: $vgpr45_vgpr46
.LBB21_32:
	ds_load_b64 v[45:46], v48
.LBB21_33:
	s_and_saveexec_b32 s4, s0
	s_cbranch_execz .LBB21_37
; %bb.34:
	v_subrev_nc_u32_e32 v59, 18, v0
	s_movk_i32 s5, 0x140
	s_mov_b32 s0, 0
.LBB21_35:                              ; =>This Inner Loop Header: Depth=1
	scratch_load_b64 v[60:61], v58, off
	v_dual_mov_b32 v62, s5 :: v_dual_add_nc_u32 v59, -1, v59
	v_add_nc_u32_e32 v58, 8, v58
	s_add_i32 s5, s5, 8
	ds_load_b64 v[62:63], v62
	v_cmp_eq_u32_e32 vcc_lo, 0, v59
	s_or_b32 s0, vcc_lo, s0
	s_waitcnt vmcnt(0) lgkmcnt(0)
	v_fma_f64 v[45:46], v[60:61], v[62:63], v[45:46]
	s_and_not1_b32 exec_lo, exec_lo, s0
	s_cbranch_execnz .LBB21_35
; %bb.36:
	s_or_b32 exec_lo, exec_lo, s0
.LBB21_37:
	s_delay_alu instid0(SALU_CYCLE_1)
	s_or_b32 exec_lo, exec_lo, s4
	v_mov_b32_e32 v58, 0
	ds_load_b64 v[58:59], v58 offset:136
	s_waitcnt lgkmcnt(0)
	v_mul_f64 v[45:46], v[45:46], v[58:59]
	scratch_store_b64 off, v[45:46], off offset:136
.LBB21_38:
	s_or_b32 exec_lo, exec_lo, s3
	scratch_load_b64 v[45:46], off, off offset:128
	v_cmp_lt_u32_e64 s0, 16, v0
	s_waitcnt vmcnt(0)
	ds_store_b64 v48, v[45:46]
	s_waitcnt lgkmcnt(0)
	s_waitcnt_vscnt null, 0x0
	s_barrier
	buffer_gl0_inv
	s_and_saveexec_b32 s3, s0
	s_cbranch_execz .LBB21_48
; %bb.39:
	s_and_not1_b32 vcc_lo, exec_lo, s2
	s_cbranch_vccnz .LBB21_41
; %bb.40:
	scratch_load_b64 v[45:46], v49, off
	ds_load_b64 v[58:59], v48
	s_waitcnt vmcnt(0) lgkmcnt(0)
	v_mul_f64 v[45:46], v[45:46], v[58:59]
	s_cbranch_execz .LBB21_42
	s_branch .LBB21_43
.LBB21_41:
                                        ; implicit-def: $vgpr45_vgpr46
.LBB21_42:
	ds_load_b64 v[45:46], v48
.LBB21_43:
	s_and_saveexec_b32 s4, s1
	s_cbranch_execz .LBB21_47
; %bb.44:
	v_mov_b32_e32 v58, 0
	v_subrev_nc_u32_e32 v59, 17, v0
	s_movk_i32 s5, 0x138
	s_mov_b32 s1, 0
	s_delay_alu instid0(VALU_DEP_2)
	v_add_nc_u32_e32 v58, 0x88, v58
.LBB21_45:                              ; =>This Inner Loop Header: Depth=1
	scratch_load_b64 v[60:61], v58, off
	v_dual_mov_b32 v62, s5 :: v_dual_add_nc_u32 v59, -1, v59
	v_add_nc_u32_e32 v58, 8, v58
	s_add_i32 s5, s5, 8
	ds_load_b64 v[62:63], v62
	v_cmp_eq_u32_e32 vcc_lo, 0, v59
	s_or_b32 s1, vcc_lo, s1
	s_waitcnt vmcnt(0) lgkmcnt(0)
	v_fma_f64 v[45:46], v[60:61], v[62:63], v[45:46]
	s_and_not1_b32 exec_lo, exec_lo, s1
	s_cbranch_execnz .LBB21_45
; %bb.46:
	s_or_b32 exec_lo, exec_lo, s1
.LBB21_47:
	s_delay_alu instid0(SALU_CYCLE_1)
	s_or_b32 exec_lo, exec_lo, s4
	v_mov_b32_e32 v58, 0
	ds_load_b64 v[58:59], v58 offset:128
	s_waitcnt lgkmcnt(0)
	v_mul_f64 v[45:46], v[45:46], v[58:59]
	scratch_store_b64 off, v[45:46], off offset:128
.LBB21_48:
	s_or_b32 exec_lo, exec_lo, s3
	scratch_load_b64 v[45:46], off, off offset:120
	v_cmp_lt_u32_e64 s1, 15, v0
	s_waitcnt vmcnt(0)
	ds_store_b64 v48, v[45:46]
	s_waitcnt lgkmcnt(0)
	s_waitcnt_vscnt null, 0x0
	s_barrier
	buffer_gl0_inv
	s_and_saveexec_b32 s3, s1
	s_cbranch_execz .LBB21_58
; %bb.49:
	s_and_not1_b32 vcc_lo, exec_lo, s2
	s_cbranch_vccnz .LBB21_51
; %bb.50:
	scratch_load_b64 v[45:46], v49, off
	ds_load_b64 v[58:59], v48
	s_waitcnt vmcnt(0) lgkmcnt(0)
	v_mul_f64 v[45:46], v[45:46], v[58:59]
	s_cbranch_execz .LBB21_52
	s_branch .LBB21_53
.LBB21_51:
                                        ; implicit-def: $vgpr45_vgpr46
.LBB21_52:
	ds_load_b64 v[45:46], v48
.LBB21_53:
	s_and_saveexec_b32 s4, s0
	s_cbranch_execz .LBB21_57
; %bb.54:
	v_add_nc_u32_e32 v58, -16, v0
	s_movk_i32 s5, 0x130
	s_mov_b32 s0, 0
.LBB21_55:                              ; =>This Inner Loop Header: Depth=1
	scratch_load_b64 v[59:60], v57, off
	v_dual_mov_b32 v61, s5 :: v_dual_add_nc_u32 v58, -1, v58
	v_add_nc_u32_e32 v57, 8, v57
	s_add_i32 s5, s5, 8
	ds_load_b64 v[61:62], v61
	v_cmp_eq_u32_e32 vcc_lo, 0, v58
	s_or_b32 s0, vcc_lo, s0
	s_waitcnt vmcnt(0) lgkmcnt(0)
	v_fma_f64 v[45:46], v[59:60], v[61:62], v[45:46]
	s_and_not1_b32 exec_lo, exec_lo, s0
	s_cbranch_execnz .LBB21_55
; %bb.56:
	s_or_b32 exec_lo, exec_lo, s0
.LBB21_57:
	s_delay_alu instid0(SALU_CYCLE_1)
	s_or_b32 exec_lo, exec_lo, s4
	v_mov_b32_e32 v57, 0
	ds_load_b64 v[57:58], v57 offset:120
	s_waitcnt lgkmcnt(0)
	v_mul_f64 v[45:46], v[45:46], v[57:58]
	scratch_store_b64 off, v[45:46], off offset:120
.LBB21_58:
	s_or_b32 exec_lo, exec_lo, s3
	scratch_load_b64 v[45:46], off, off offset:112
	v_cmp_lt_u32_e64 s0, 14, v0
	s_waitcnt vmcnt(0)
	ds_store_b64 v48, v[45:46]
	s_waitcnt lgkmcnt(0)
	s_waitcnt_vscnt null, 0x0
	s_barrier
	buffer_gl0_inv
	s_and_saveexec_b32 s3, s0
	s_cbranch_execz .LBB21_68
; %bb.59:
	s_and_not1_b32 vcc_lo, exec_lo, s2
	s_cbranch_vccnz .LBB21_61
; %bb.60:
	scratch_load_b64 v[45:46], v49, off
	ds_load_b64 v[57:58], v48
	s_waitcnt vmcnt(0) lgkmcnt(0)
	v_mul_f64 v[45:46], v[45:46], v[57:58]
	s_cbranch_execz .LBB21_62
	s_branch .LBB21_63
.LBB21_61:
                                        ; implicit-def: $vgpr45_vgpr46
.LBB21_62:
	ds_load_b64 v[45:46], v48
.LBB21_63:
	s_and_saveexec_b32 s4, s1
	s_cbranch_execz .LBB21_67
; %bb.64:
	v_dual_mov_b32 v57, 0 :: v_dual_add_nc_u32 v58, -15, v0
	s_movk_i32 s5, 0x128
	s_mov_b32 s1, 0
	s_delay_alu instid0(VALU_DEP_1)
	v_add_nc_u32_e32 v57, 0x78, v57
.LBB21_65:                              ; =>This Inner Loop Header: Depth=1
	scratch_load_b64 v[59:60], v57, off
	v_dual_mov_b32 v61, s5 :: v_dual_add_nc_u32 v58, -1, v58
	v_add_nc_u32_e32 v57, 8, v57
	s_add_i32 s5, s5, 8
	ds_load_b64 v[61:62], v61
	v_cmp_eq_u32_e32 vcc_lo, 0, v58
	s_or_b32 s1, vcc_lo, s1
	s_waitcnt vmcnt(0) lgkmcnt(0)
	v_fma_f64 v[45:46], v[59:60], v[61:62], v[45:46]
	s_and_not1_b32 exec_lo, exec_lo, s1
	s_cbranch_execnz .LBB21_65
; %bb.66:
	s_or_b32 exec_lo, exec_lo, s1
.LBB21_67:
	s_delay_alu instid0(SALU_CYCLE_1)
	s_or_b32 exec_lo, exec_lo, s4
	v_mov_b32_e32 v57, 0
	ds_load_b64 v[57:58], v57 offset:112
	s_waitcnt lgkmcnt(0)
	v_mul_f64 v[45:46], v[45:46], v[57:58]
	scratch_store_b64 off, v[45:46], off offset:112
.LBB21_68:
	s_or_b32 exec_lo, exec_lo, s3
	scratch_load_b64 v[45:46], off, off offset:104
	v_cmp_lt_u32_e64 s1, 13, v0
	s_waitcnt vmcnt(0)
	ds_store_b64 v48, v[45:46]
	s_waitcnt lgkmcnt(0)
	s_waitcnt_vscnt null, 0x0
	s_barrier
	buffer_gl0_inv
	s_and_saveexec_b32 s3, s1
	s_cbranch_execz .LBB21_78
; %bb.69:
	s_and_not1_b32 vcc_lo, exec_lo, s2
	s_cbranch_vccnz .LBB21_71
; %bb.70:
	scratch_load_b64 v[45:46], v49, off
	ds_load_b64 v[57:58], v48
	s_waitcnt vmcnt(0) lgkmcnt(0)
	v_mul_f64 v[45:46], v[45:46], v[57:58]
	s_cbranch_execz .LBB21_72
	s_branch .LBB21_73
.LBB21_71:
                                        ; implicit-def: $vgpr45_vgpr46
.LBB21_72:
	ds_load_b64 v[45:46], v48
.LBB21_73:
	s_and_saveexec_b32 s4, s0
	s_cbranch_execz .LBB21_77
; %bb.74:
	v_add_nc_u32_e32 v57, -14, v0
	s_movk_i32 s5, 0x120
	s_mov_b32 s0, 0
.LBB21_75:                              ; =>This Inner Loop Header: Depth=1
	scratch_load_b64 v[58:59], v56, off
	v_dual_mov_b32 v60, s5 :: v_dual_add_nc_u32 v57, -1, v57
	v_add_nc_u32_e32 v56, 8, v56
	s_add_i32 s5, s5, 8
	ds_load_b64 v[60:61], v60
	v_cmp_eq_u32_e32 vcc_lo, 0, v57
	s_or_b32 s0, vcc_lo, s0
	s_waitcnt vmcnt(0) lgkmcnt(0)
	v_fma_f64 v[45:46], v[58:59], v[60:61], v[45:46]
	s_and_not1_b32 exec_lo, exec_lo, s0
	s_cbranch_execnz .LBB21_75
; %bb.76:
	s_or_b32 exec_lo, exec_lo, s0
.LBB21_77:
	s_delay_alu instid0(SALU_CYCLE_1)
	s_or_b32 exec_lo, exec_lo, s4
	v_mov_b32_e32 v56, 0
	ds_load_b64 v[56:57], v56 offset:104
	s_waitcnt lgkmcnt(0)
	v_mul_f64 v[45:46], v[45:46], v[56:57]
	scratch_store_b64 off, v[45:46], off offset:104
.LBB21_78:
	s_or_b32 exec_lo, exec_lo, s3
	scratch_load_b64 v[45:46], off, off offset:96
	v_cmp_lt_u32_e64 s0, 12, v0
	s_waitcnt vmcnt(0)
	ds_store_b64 v48, v[45:46]
	s_waitcnt lgkmcnt(0)
	s_waitcnt_vscnt null, 0x0
	s_barrier
	buffer_gl0_inv
	s_and_saveexec_b32 s3, s0
	s_cbranch_execz .LBB21_88
; %bb.79:
	s_and_not1_b32 vcc_lo, exec_lo, s2
	s_cbranch_vccnz .LBB21_81
; %bb.80:
	scratch_load_b64 v[45:46], v49, off
	ds_load_b64 v[56:57], v48
	s_waitcnt vmcnt(0) lgkmcnt(0)
	v_mul_f64 v[45:46], v[45:46], v[56:57]
	s_cbranch_execz .LBB21_82
	s_branch .LBB21_83
.LBB21_81:
                                        ; implicit-def: $vgpr45_vgpr46
.LBB21_82:
	ds_load_b64 v[45:46], v48
.LBB21_83:
	s_and_saveexec_b32 s4, s1
	s_cbranch_execz .LBB21_87
; %bb.84:
	v_dual_mov_b32 v56, 0 :: v_dual_add_nc_u32 v57, -13, v0
	s_movk_i32 s5, 0x118
	s_mov_b32 s1, 0
	s_delay_alu instid0(VALU_DEP_1)
	v_add_nc_u32_e32 v56, 0x68, v56
.LBB21_85:                              ; =>This Inner Loop Header: Depth=1
	scratch_load_b64 v[58:59], v56, off
	v_dual_mov_b32 v60, s5 :: v_dual_add_nc_u32 v57, -1, v57
	v_add_nc_u32_e32 v56, 8, v56
	s_add_i32 s5, s5, 8
	ds_load_b64 v[60:61], v60
	v_cmp_eq_u32_e32 vcc_lo, 0, v57
	s_or_b32 s1, vcc_lo, s1
	s_waitcnt vmcnt(0) lgkmcnt(0)
	v_fma_f64 v[45:46], v[58:59], v[60:61], v[45:46]
	s_and_not1_b32 exec_lo, exec_lo, s1
	s_cbranch_execnz .LBB21_85
; %bb.86:
	s_or_b32 exec_lo, exec_lo, s1
.LBB21_87:
	s_delay_alu instid0(SALU_CYCLE_1)
	s_or_b32 exec_lo, exec_lo, s4
	v_mov_b32_e32 v56, 0
	ds_load_b64 v[56:57], v56 offset:96
	s_waitcnt lgkmcnt(0)
	v_mul_f64 v[45:46], v[45:46], v[56:57]
	scratch_store_b64 off, v[45:46], off offset:96
.LBB21_88:
	s_or_b32 exec_lo, exec_lo, s3
	scratch_load_b64 v[45:46], off, off offset:88
	v_cmp_lt_u32_e64 s1, 11, v0
	s_waitcnt vmcnt(0)
	ds_store_b64 v48, v[45:46]
	s_waitcnt lgkmcnt(0)
	s_waitcnt_vscnt null, 0x0
	s_barrier
	buffer_gl0_inv
	s_and_saveexec_b32 s3, s1
	s_cbranch_execz .LBB21_98
; %bb.89:
	s_and_not1_b32 vcc_lo, exec_lo, s2
	s_cbranch_vccnz .LBB21_91
; %bb.90:
	scratch_load_b64 v[45:46], v49, off
	ds_load_b64 v[56:57], v48
	s_waitcnt vmcnt(0) lgkmcnt(0)
	v_mul_f64 v[45:46], v[45:46], v[56:57]
	s_cbranch_execz .LBB21_92
	s_branch .LBB21_93
.LBB21_91:
                                        ; implicit-def: $vgpr45_vgpr46
.LBB21_92:
	ds_load_b64 v[45:46], v48
.LBB21_93:
	s_and_saveexec_b32 s4, s0
	s_cbranch_execz .LBB21_97
; %bb.94:
	v_add_nc_u32_e32 v56, -12, v0
	s_movk_i32 s5, 0x110
	s_mov_b32 s0, 0
.LBB21_95:                              ; =>This Inner Loop Header: Depth=1
	scratch_load_b64 v[57:58], v55, off
	v_dual_mov_b32 v59, s5 :: v_dual_add_nc_u32 v56, -1, v56
	v_add_nc_u32_e32 v55, 8, v55
	s_add_i32 s5, s5, 8
	ds_load_b64 v[59:60], v59
	v_cmp_eq_u32_e32 vcc_lo, 0, v56
	s_or_b32 s0, vcc_lo, s0
	s_waitcnt vmcnt(0) lgkmcnt(0)
	v_fma_f64 v[45:46], v[57:58], v[59:60], v[45:46]
	s_and_not1_b32 exec_lo, exec_lo, s0
	s_cbranch_execnz .LBB21_95
; %bb.96:
	s_or_b32 exec_lo, exec_lo, s0
.LBB21_97:
	s_delay_alu instid0(SALU_CYCLE_1)
	s_or_b32 exec_lo, exec_lo, s4
	v_mov_b32_e32 v55, 0
	ds_load_b64 v[55:56], v55 offset:88
	s_waitcnt lgkmcnt(0)
	v_mul_f64 v[45:46], v[45:46], v[55:56]
	scratch_store_b64 off, v[45:46], off offset:88
.LBB21_98:
	s_or_b32 exec_lo, exec_lo, s3
	scratch_load_b64 v[45:46], off, off offset:80
	v_cmp_lt_u32_e64 s0, 10, v0
	s_waitcnt vmcnt(0)
	ds_store_b64 v48, v[45:46]
	s_waitcnt lgkmcnt(0)
	s_waitcnt_vscnt null, 0x0
	s_barrier
	buffer_gl0_inv
	s_and_saveexec_b32 s3, s0
	s_cbranch_execz .LBB21_108
; %bb.99:
	s_and_not1_b32 vcc_lo, exec_lo, s2
	s_cbranch_vccnz .LBB21_101
; %bb.100:
	scratch_load_b64 v[45:46], v49, off
	ds_load_b64 v[55:56], v48
	s_waitcnt vmcnt(0) lgkmcnt(0)
	v_mul_f64 v[45:46], v[45:46], v[55:56]
	s_cbranch_execz .LBB21_102
	s_branch .LBB21_103
.LBB21_101:
                                        ; implicit-def: $vgpr45_vgpr46
.LBB21_102:
	ds_load_b64 v[45:46], v48
.LBB21_103:
	s_and_saveexec_b32 s4, s1
	s_cbranch_execz .LBB21_107
; %bb.104:
	v_dual_mov_b32 v55, 0 :: v_dual_add_nc_u32 v56, -11, v0
	s_movk_i32 s5, 0x108
	s_mov_b32 s1, 0
	s_delay_alu instid0(VALU_DEP_1)
	v_add_nc_u32_e32 v55, 0x58, v55
.LBB21_105:                             ; =>This Inner Loop Header: Depth=1
	scratch_load_b64 v[57:58], v55, off
	v_dual_mov_b32 v59, s5 :: v_dual_add_nc_u32 v56, -1, v56
	v_add_nc_u32_e32 v55, 8, v55
	s_add_i32 s5, s5, 8
	ds_load_b64 v[59:60], v59
	v_cmp_eq_u32_e32 vcc_lo, 0, v56
	s_or_b32 s1, vcc_lo, s1
	s_waitcnt vmcnt(0) lgkmcnt(0)
	v_fma_f64 v[45:46], v[57:58], v[59:60], v[45:46]
	s_and_not1_b32 exec_lo, exec_lo, s1
	s_cbranch_execnz .LBB21_105
; %bb.106:
	s_or_b32 exec_lo, exec_lo, s1
.LBB21_107:
	s_delay_alu instid0(SALU_CYCLE_1)
	s_or_b32 exec_lo, exec_lo, s4
	v_mov_b32_e32 v55, 0
	ds_load_b64 v[55:56], v55 offset:80
	s_waitcnt lgkmcnt(0)
	v_mul_f64 v[45:46], v[45:46], v[55:56]
	scratch_store_b64 off, v[45:46], off offset:80
.LBB21_108:
	s_or_b32 exec_lo, exec_lo, s3
	scratch_load_b64 v[45:46], off, off offset:72
	v_cmp_lt_u32_e64 s1, 9, v0
	s_waitcnt vmcnt(0)
	ds_store_b64 v48, v[45:46]
	s_waitcnt lgkmcnt(0)
	s_waitcnt_vscnt null, 0x0
	s_barrier
	buffer_gl0_inv
	s_and_saveexec_b32 s3, s1
	s_cbranch_execz .LBB21_118
; %bb.109:
	s_and_not1_b32 vcc_lo, exec_lo, s2
	s_cbranch_vccnz .LBB21_111
; %bb.110:
	scratch_load_b64 v[45:46], v49, off
	ds_load_b64 v[55:56], v48
	s_waitcnt vmcnt(0) lgkmcnt(0)
	v_mul_f64 v[45:46], v[45:46], v[55:56]
	s_cbranch_execz .LBB21_112
	s_branch .LBB21_113
.LBB21_111:
                                        ; implicit-def: $vgpr45_vgpr46
.LBB21_112:
	ds_load_b64 v[45:46], v48
.LBB21_113:
	s_and_saveexec_b32 s4, s0
	s_cbranch_execz .LBB21_117
; %bb.114:
	v_add_nc_u32_e32 v55, -10, v0
	s_movk_i32 s5, 0x100
	s_mov_b32 s0, 0
.LBB21_115:                             ; =>This Inner Loop Header: Depth=1
	scratch_load_b64 v[56:57], v54, off
	v_dual_mov_b32 v58, s5 :: v_dual_add_nc_u32 v55, -1, v55
	v_add_nc_u32_e32 v54, 8, v54
	s_add_i32 s5, s5, 8
	ds_load_b64 v[58:59], v58
	v_cmp_eq_u32_e32 vcc_lo, 0, v55
	s_or_b32 s0, vcc_lo, s0
	s_waitcnt vmcnt(0) lgkmcnt(0)
	v_fma_f64 v[45:46], v[56:57], v[58:59], v[45:46]
	s_and_not1_b32 exec_lo, exec_lo, s0
	s_cbranch_execnz .LBB21_115
; %bb.116:
	s_or_b32 exec_lo, exec_lo, s0
.LBB21_117:
	s_delay_alu instid0(SALU_CYCLE_1)
	s_or_b32 exec_lo, exec_lo, s4
	v_mov_b32_e32 v54, 0
	ds_load_b64 v[54:55], v54 offset:72
	s_waitcnt lgkmcnt(0)
	v_mul_f64 v[45:46], v[45:46], v[54:55]
	scratch_store_b64 off, v[45:46], off offset:72
.LBB21_118:
	s_or_b32 exec_lo, exec_lo, s3
	scratch_load_b64 v[45:46], off, off offset:64
	v_cmp_lt_u32_e64 s0, 8, v0
	s_waitcnt vmcnt(0)
	ds_store_b64 v48, v[45:46]
	s_waitcnt lgkmcnt(0)
	s_waitcnt_vscnt null, 0x0
	s_barrier
	buffer_gl0_inv
	s_and_saveexec_b32 s3, s0
	s_cbranch_execz .LBB21_128
; %bb.119:
	s_and_not1_b32 vcc_lo, exec_lo, s2
	s_cbranch_vccnz .LBB21_121
; %bb.120:
	scratch_load_b64 v[45:46], v49, off
	ds_load_b64 v[54:55], v48
	s_waitcnt vmcnt(0) lgkmcnt(0)
	v_mul_f64 v[45:46], v[45:46], v[54:55]
	s_cbranch_execz .LBB21_122
	s_branch .LBB21_123
.LBB21_121:
                                        ; implicit-def: $vgpr45_vgpr46
.LBB21_122:
	ds_load_b64 v[45:46], v48
.LBB21_123:
	s_and_saveexec_b32 s4, s1
	s_cbranch_execz .LBB21_127
; %bb.124:
	v_dual_mov_b32 v54, 0 :: v_dual_add_nc_u32 v55, -9, v0
	s_movk_i32 s5, 0xf8
	s_mov_b32 s1, 0
	s_delay_alu instid0(VALU_DEP_1)
	v_add_nc_u32_e32 v54, 0x48, v54
.LBB21_125:                             ; =>This Inner Loop Header: Depth=1
	scratch_load_b64 v[56:57], v54, off
	v_dual_mov_b32 v58, s5 :: v_dual_add_nc_u32 v55, -1, v55
	v_add_nc_u32_e32 v54, 8, v54
	s_add_i32 s5, s5, 8
	ds_load_b64 v[58:59], v58
	v_cmp_eq_u32_e32 vcc_lo, 0, v55
	s_or_b32 s1, vcc_lo, s1
	s_waitcnt vmcnt(0) lgkmcnt(0)
	v_fma_f64 v[45:46], v[56:57], v[58:59], v[45:46]
	s_and_not1_b32 exec_lo, exec_lo, s1
	s_cbranch_execnz .LBB21_125
; %bb.126:
	s_or_b32 exec_lo, exec_lo, s1
.LBB21_127:
	s_delay_alu instid0(SALU_CYCLE_1)
	s_or_b32 exec_lo, exec_lo, s4
	v_mov_b32_e32 v54, 0
	ds_load_b64 v[54:55], v54 offset:64
	s_waitcnt lgkmcnt(0)
	v_mul_f64 v[45:46], v[45:46], v[54:55]
	scratch_store_b64 off, v[45:46], off offset:64
.LBB21_128:
	s_or_b32 exec_lo, exec_lo, s3
	scratch_load_b64 v[45:46], off, off offset:56
	v_cmp_lt_u32_e64 s1, 7, v0
	s_waitcnt vmcnt(0)
	ds_store_b64 v48, v[45:46]
	s_waitcnt lgkmcnt(0)
	s_waitcnt_vscnt null, 0x0
	s_barrier
	buffer_gl0_inv
	s_and_saveexec_b32 s3, s1
	s_cbranch_execz .LBB21_138
; %bb.129:
	s_and_not1_b32 vcc_lo, exec_lo, s2
	s_cbranch_vccnz .LBB21_131
; %bb.130:
	scratch_load_b64 v[45:46], v49, off
	ds_load_b64 v[54:55], v48
	s_waitcnt vmcnt(0) lgkmcnt(0)
	v_mul_f64 v[45:46], v[45:46], v[54:55]
	s_cbranch_execz .LBB21_132
	s_branch .LBB21_133
.LBB21_131:
                                        ; implicit-def: $vgpr45_vgpr46
.LBB21_132:
	ds_load_b64 v[45:46], v48
.LBB21_133:
	s_and_saveexec_b32 s4, s0
	s_cbranch_execz .LBB21_137
; %bb.134:
	v_add_nc_u32_e32 v54, -8, v0
	s_movk_i32 s5, 0xf0
	s_mov_b32 s0, 0
.LBB21_135:                             ; =>This Inner Loop Header: Depth=1
	scratch_load_b64 v[55:56], v53, off
	v_dual_mov_b32 v57, s5 :: v_dual_add_nc_u32 v54, -1, v54
	v_add_nc_u32_e32 v53, 8, v53
	s_add_i32 s5, s5, 8
	ds_load_b64 v[57:58], v57
	v_cmp_eq_u32_e32 vcc_lo, 0, v54
	s_or_b32 s0, vcc_lo, s0
	s_waitcnt vmcnt(0) lgkmcnt(0)
	v_fma_f64 v[45:46], v[55:56], v[57:58], v[45:46]
	s_and_not1_b32 exec_lo, exec_lo, s0
	s_cbranch_execnz .LBB21_135
; %bb.136:
	s_or_b32 exec_lo, exec_lo, s0
.LBB21_137:
	s_delay_alu instid0(SALU_CYCLE_1)
	s_or_b32 exec_lo, exec_lo, s4
	v_mov_b32_e32 v53, 0
	ds_load_b64 v[53:54], v53 offset:56
	s_waitcnt lgkmcnt(0)
	v_mul_f64 v[45:46], v[45:46], v[53:54]
	scratch_store_b64 off, v[45:46], off offset:56
.LBB21_138:
	s_or_b32 exec_lo, exec_lo, s3
	scratch_load_b64 v[45:46], off, off offset:48
	v_cmp_lt_u32_e64 s0, 6, v0
	s_waitcnt vmcnt(0)
	ds_store_b64 v48, v[45:46]
	s_waitcnt lgkmcnt(0)
	s_waitcnt_vscnt null, 0x0
	s_barrier
	buffer_gl0_inv
	s_and_saveexec_b32 s3, s0
	s_cbranch_execz .LBB21_148
; %bb.139:
	s_and_not1_b32 vcc_lo, exec_lo, s2
	s_cbranch_vccnz .LBB21_141
; %bb.140:
	scratch_load_b64 v[45:46], v49, off
	ds_load_b64 v[53:54], v48
	s_waitcnt vmcnt(0) lgkmcnt(0)
	v_mul_f64 v[45:46], v[45:46], v[53:54]
	s_cbranch_execz .LBB21_142
	s_branch .LBB21_143
.LBB21_141:
                                        ; implicit-def: $vgpr45_vgpr46
.LBB21_142:
	ds_load_b64 v[45:46], v48
.LBB21_143:
	s_and_saveexec_b32 s4, s1
	s_cbranch_execz .LBB21_147
; %bb.144:
	v_add_nc_u32_e64 v53, 0, 56
	v_add_nc_u32_e32 v54, -7, v0
	s_movk_i32 s5, 0xe8
	s_mov_b32 s1, 0
.LBB21_145:                             ; =>This Inner Loop Header: Depth=1
	scratch_load_b64 v[55:56], v53, off
	v_dual_mov_b32 v57, s5 :: v_dual_add_nc_u32 v54, -1, v54
	v_add_nc_u32_e32 v53, 8, v53
	s_add_i32 s5, s5, 8
	ds_load_b64 v[57:58], v57
	v_cmp_eq_u32_e32 vcc_lo, 0, v54
	s_or_b32 s1, vcc_lo, s1
	s_waitcnt vmcnt(0) lgkmcnt(0)
	v_fma_f64 v[45:46], v[55:56], v[57:58], v[45:46]
	s_and_not1_b32 exec_lo, exec_lo, s1
	s_cbranch_execnz .LBB21_145
; %bb.146:
	s_or_b32 exec_lo, exec_lo, s1
.LBB21_147:
	s_delay_alu instid0(SALU_CYCLE_1)
	s_or_b32 exec_lo, exec_lo, s4
	v_mov_b32_e32 v53, 0
	ds_load_b64 v[53:54], v53 offset:48
	s_waitcnt lgkmcnt(0)
	v_mul_f64 v[45:46], v[45:46], v[53:54]
	scratch_store_b64 off, v[45:46], off offset:48
.LBB21_148:
	s_or_b32 exec_lo, exec_lo, s3
	scratch_load_b64 v[45:46], off, off offset:40
	v_cmp_lt_u32_e64 s1, 5, v0
	s_waitcnt vmcnt(0)
	ds_store_b64 v48, v[45:46]
	s_waitcnt lgkmcnt(0)
	s_waitcnt_vscnt null, 0x0
	s_barrier
	buffer_gl0_inv
	s_and_saveexec_b32 s3, s1
	s_cbranch_execz .LBB21_158
; %bb.149:
	s_and_not1_b32 vcc_lo, exec_lo, s2
	s_cbranch_vccnz .LBB21_151
; %bb.150:
	scratch_load_b64 v[45:46], v49, off
	ds_load_b64 v[53:54], v48
	s_waitcnt vmcnt(0) lgkmcnt(0)
	v_mul_f64 v[45:46], v[45:46], v[53:54]
	s_cbranch_execz .LBB21_152
	s_branch .LBB21_153
.LBB21_151:
                                        ; implicit-def: $vgpr45_vgpr46
.LBB21_152:
	ds_load_b64 v[45:46], v48
.LBB21_153:
	s_and_saveexec_b32 s4, s0
	s_cbranch_execz .LBB21_157
; %bb.154:
	v_add_nc_u32_e32 v53, -6, v0
	s_movk_i32 s5, 0xe0
	s_mov_b32 s0, 0
.LBB21_155:                             ; =>This Inner Loop Header: Depth=1
	scratch_load_b64 v[54:55], v52, off
	v_dual_mov_b32 v56, s5 :: v_dual_add_nc_u32 v53, -1, v53
	v_add_nc_u32_e32 v52, 8, v52
	s_add_i32 s5, s5, 8
	ds_load_b64 v[56:57], v56
	v_cmp_eq_u32_e32 vcc_lo, 0, v53
	s_or_b32 s0, vcc_lo, s0
	s_waitcnt vmcnt(0) lgkmcnt(0)
	v_fma_f64 v[45:46], v[54:55], v[56:57], v[45:46]
	s_and_not1_b32 exec_lo, exec_lo, s0
	s_cbranch_execnz .LBB21_155
; %bb.156:
	s_or_b32 exec_lo, exec_lo, s0
.LBB21_157:
	s_delay_alu instid0(SALU_CYCLE_1)
	s_or_b32 exec_lo, exec_lo, s4
	v_mov_b32_e32 v52, 0
	ds_load_b64 v[52:53], v52 offset:40
	s_waitcnt lgkmcnt(0)
	v_mul_f64 v[45:46], v[45:46], v[52:53]
	scratch_store_b64 off, v[45:46], off offset:40
.LBB21_158:
	s_or_b32 exec_lo, exec_lo, s3
	scratch_load_b64 v[45:46], off, off offset:32
	v_cmp_lt_u32_e64 s0, 4, v0
	s_waitcnt vmcnt(0)
	ds_store_b64 v48, v[45:46]
	s_waitcnt lgkmcnt(0)
	s_waitcnt_vscnt null, 0x0
	s_barrier
	buffer_gl0_inv
	s_and_saveexec_b32 s3, s0
	s_cbranch_execz .LBB21_168
; %bb.159:
	s_and_not1_b32 vcc_lo, exec_lo, s2
	s_cbranch_vccnz .LBB21_161
; %bb.160:
	scratch_load_b64 v[45:46], v49, off
	ds_load_b64 v[52:53], v48
	s_waitcnt vmcnt(0) lgkmcnt(0)
	v_mul_f64 v[45:46], v[45:46], v[52:53]
	s_cbranch_execz .LBB21_162
	s_branch .LBB21_163
.LBB21_161:
                                        ; implicit-def: $vgpr45_vgpr46
.LBB21_162:
	ds_load_b64 v[45:46], v48
.LBB21_163:
	s_and_saveexec_b32 s4, s1
	s_cbranch_execz .LBB21_167
; %bb.164:
	v_add_nc_u32_e64 v52, 0, 40
	v_add_nc_u32_e32 v53, -5, v0
	s_movk_i32 s5, 0xd8
	s_mov_b32 s1, 0
.LBB21_165:                             ; =>This Inner Loop Header: Depth=1
	scratch_load_b64 v[54:55], v52, off
	v_dual_mov_b32 v56, s5 :: v_dual_add_nc_u32 v53, -1, v53
	v_add_nc_u32_e32 v52, 8, v52
	s_add_i32 s5, s5, 8
	ds_load_b64 v[56:57], v56
	v_cmp_eq_u32_e32 vcc_lo, 0, v53
	s_or_b32 s1, vcc_lo, s1
	s_waitcnt vmcnt(0) lgkmcnt(0)
	v_fma_f64 v[45:46], v[54:55], v[56:57], v[45:46]
	s_and_not1_b32 exec_lo, exec_lo, s1
	s_cbranch_execnz .LBB21_165
; %bb.166:
	s_or_b32 exec_lo, exec_lo, s1
.LBB21_167:
	s_delay_alu instid0(SALU_CYCLE_1)
	s_or_b32 exec_lo, exec_lo, s4
	v_mov_b32_e32 v52, 0
	ds_load_b64 v[52:53], v52 offset:32
	s_waitcnt lgkmcnt(0)
	v_mul_f64 v[45:46], v[45:46], v[52:53]
	scratch_store_b64 off, v[45:46], off offset:32
.LBB21_168:
	s_or_b32 exec_lo, exec_lo, s3
	scratch_load_b64 v[45:46], off, off offset:24
	v_cmp_lt_u32_e64 s1, 3, v0
	s_waitcnt vmcnt(0)
	ds_store_b64 v48, v[45:46]
	s_waitcnt lgkmcnt(0)
	s_waitcnt_vscnt null, 0x0
	s_barrier
	buffer_gl0_inv
	s_and_saveexec_b32 s3, s1
	s_cbranch_execz .LBB21_178
; %bb.169:
	s_and_not1_b32 vcc_lo, exec_lo, s2
	s_cbranch_vccnz .LBB21_171
; %bb.170:
	scratch_load_b64 v[45:46], v49, off
	ds_load_b64 v[52:53], v48
	s_waitcnt vmcnt(0) lgkmcnt(0)
	v_mul_f64 v[45:46], v[45:46], v[52:53]
	s_cbranch_execz .LBB21_172
	s_branch .LBB21_173
.LBB21_171:
                                        ; implicit-def: $vgpr45_vgpr46
.LBB21_172:
	ds_load_b64 v[45:46], v48
.LBB21_173:
	s_and_saveexec_b32 s4, s0
	s_cbranch_execz .LBB21_177
; %bb.174:
	v_add_nc_u32_e32 v52, -4, v0
	s_movk_i32 s5, 0xd0
	s_mov_b32 s0, 0
.LBB21_175:                             ; =>This Inner Loop Header: Depth=1
	scratch_load_b64 v[53:54], v51, off
	v_dual_mov_b32 v55, s5 :: v_dual_add_nc_u32 v52, -1, v52
	v_add_nc_u32_e32 v51, 8, v51
	s_add_i32 s5, s5, 8
	ds_load_b64 v[55:56], v55
	v_cmp_eq_u32_e32 vcc_lo, 0, v52
	s_or_b32 s0, vcc_lo, s0
	s_waitcnt vmcnt(0) lgkmcnt(0)
	v_fma_f64 v[45:46], v[53:54], v[55:56], v[45:46]
	s_and_not1_b32 exec_lo, exec_lo, s0
	s_cbranch_execnz .LBB21_175
; %bb.176:
	s_or_b32 exec_lo, exec_lo, s0
.LBB21_177:
	s_delay_alu instid0(SALU_CYCLE_1)
	s_or_b32 exec_lo, exec_lo, s4
	v_mov_b32_e32 v51, 0
	ds_load_b64 v[51:52], v51 offset:24
	s_waitcnt lgkmcnt(0)
	v_mul_f64 v[45:46], v[45:46], v[51:52]
	scratch_store_b64 off, v[45:46], off offset:24
.LBB21_178:
	s_or_b32 exec_lo, exec_lo, s3
	scratch_load_b64 v[45:46], off, off offset:16
	v_cmp_lt_u32_e64 s0, 2, v0
	s_waitcnt vmcnt(0)
	ds_store_b64 v48, v[45:46]
	s_waitcnt lgkmcnt(0)
	s_waitcnt_vscnt null, 0x0
	s_barrier
	buffer_gl0_inv
	s_and_saveexec_b32 s3, s0
	s_cbranch_execz .LBB21_188
; %bb.179:
	s_and_not1_b32 vcc_lo, exec_lo, s2
	s_cbranch_vccnz .LBB21_181
; %bb.180:
	scratch_load_b64 v[45:46], v49, off
	ds_load_b64 v[51:52], v48
	s_waitcnt vmcnt(0) lgkmcnt(0)
	v_mul_f64 v[45:46], v[45:46], v[51:52]
	s_cbranch_execz .LBB21_182
	s_branch .LBB21_183
.LBB21_181:
                                        ; implicit-def: $vgpr45_vgpr46
.LBB21_182:
	ds_load_b64 v[45:46], v48
.LBB21_183:
	s_and_saveexec_b32 s4, s1
	s_cbranch_execz .LBB21_187
; %bb.184:
	v_add_nc_u32_e64 v51, 0, 24
	v_add_nc_u32_e32 v52, -3, v0
	s_movk_i32 s5, 0xc8
	s_mov_b32 s1, 0
.LBB21_185:                             ; =>This Inner Loop Header: Depth=1
	scratch_load_b64 v[53:54], v51, off
	v_dual_mov_b32 v55, s5 :: v_dual_add_nc_u32 v52, -1, v52
	v_add_nc_u32_e32 v51, 8, v51
	s_add_i32 s5, s5, 8
	ds_load_b64 v[55:56], v55
	v_cmp_eq_u32_e32 vcc_lo, 0, v52
	s_or_b32 s1, vcc_lo, s1
	s_waitcnt vmcnt(0) lgkmcnt(0)
	v_fma_f64 v[45:46], v[53:54], v[55:56], v[45:46]
	s_and_not1_b32 exec_lo, exec_lo, s1
	s_cbranch_execnz .LBB21_185
; %bb.186:
	s_or_b32 exec_lo, exec_lo, s1
.LBB21_187:
	s_delay_alu instid0(SALU_CYCLE_1)
	s_or_b32 exec_lo, exec_lo, s4
	v_mov_b32_e32 v51, 0
	ds_load_b64 v[51:52], v51 offset:16
	s_waitcnt lgkmcnt(0)
	v_mul_f64 v[45:46], v[45:46], v[51:52]
	scratch_store_b64 off, v[45:46], off offset:16
.LBB21_188:
	s_or_b32 exec_lo, exec_lo, s3
	scratch_load_b64 v[45:46], off, off offset:8
	v_cmp_lt_u32_e64 s1, 1, v0
	s_waitcnt vmcnt(0)
	ds_store_b64 v48, v[45:46]
	s_waitcnt lgkmcnt(0)
	s_waitcnt_vscnt null, 0x0
	s_barrier
	buffer_gl0_inv
	s_and_saveexec_b32 s3, s1
	s_cbranch_execz .LBB21_198
; %bb.189:
	s_and_not1_b32 vcc_lo, exec_lo, s2
	s_cbranch_vccnz .LBB21_191
; %bb.190:
	scratch_load_b64 v[45:46], v49, off
	ds_load_b64 v[51:52], v48
	s_waitcnt vmcnt(0) lgkmcnt(0)
	v_mul_f64 v[45:46], v[45:46], v[51:52]
	s_cbranch_execz .LBB21_192
	s_branch .LBB21_193
.LBB21_191:
                                        ; implicit-def: $vgpr45_vgpr46
.LBB21_192:
	ds_load_b64 v[45:46], v48
.LBB21_193:
	s_and_saveexec_b32 s4, s0
	s_cbranch_execz .LBB21_197
; %bb.194:
	v_add_nc_u32_e32 v51, -2, v0
	s_movk_i32 s5, 0xc0
	s_mov_b32 s0, 0
.LBB21_195:                             ; =>This Inner Loop Header: Depth=1
	scratch_load_b64 v[52:53], v50, off
	v_dual_mov_b32 v54, s5 :: v_dual_add_nc_u32 v51, -1, v51
	v_add_nc_u32_e32 v50, 8, v50
	s_add_i32 s5, s5, 8
	ds_load_b64 v[54:55], v54
	v_cmp_eq_u32_e32 vcc_lo, 0, v51
	s_or_b32 s0, vcc_lo, s0
	s_waitcnt vmcnt(0) lgkmcnt(0)
	v_fma_f64 v[45:46], v[52:53], v[54:55], v[45:46]
	s_and_not1_b32 exec_lo, exec_lo, s0
	s_cbranch_execnz .LBB21_195
; %bb.196:
	s_or_b32 exec_lo, exec_lo, s0
.LBB21_197:
	s_delay_alu instid0(SALU_CYCLE_1)
	s_or_b32 exec_lo, exec_lo, s4
	v_mov_b32_e32 v50, 0
	ds_load_b64 v[50:51], v50 offset:8
	s_waitcnt lgkmcnt(0)
	v_mul_f64 v[45:46], v[45:46], v[50:51]
	scratch_store_b64 off, v[45:46], off offset:8
.LBB21_198:
	s_or_b32 exec_lo, exec_lo, s3
	scratch_load_b64 v[45:46], off, off
	s_mov_b32 s0, 0
	s_mov_b32 s3, exec_lo
	s_waitcnt vmcnt(0)
	ds_store_b64 v48, v[45:46]
	s_waitcnt lgkmcnt(0)
	s_waitcnt_vscnt null, 0x0
	s_barrier
	buffer_gl0_inv
	v_cmpx_ne_u32_e32 0, v0
	s_cbranch_execz .LBB21_208
; %bb.199:
	s_and_not1_b32 vcc_lo, exec_lo, s2
	s_cbranch_vccnz .LBB21_201
; %bb.200:
	scratch_load_b64 v[45:46], v49, off
	ds_load_b64 v[50:51], v48
	s_waitcnt vmcnt(0) lgkmcnt(0)
	v_mul_f64 v[45:46], v[45:46], v[50:51]
	s_cbranch_execz .LBB21_202
	s_branch .LBB21_203
.LBB21_201:
                                        ; implicit-def: $vgpr45_vgpr46
.LBB21_202:
	ds_load_b64 v[45:46], v48
.LBB21_203:
	s_and_saveexec_b32 s4, s1
	s_cbranch_execz .LBB21_207
; %bb.204:
	v_or_b32_e64 v50, 0, 8
	v_add_nc_u32_e32 v51, -1, v0
	s_movk_i32 s5, 0xb8
	s_mov_b32 s1, 0
.LBB21_205:                             ; =>This Inner Loop Header: Depth=1
	scratch_load_b64 v[52:53], v50, off
	v_dual_mov_b32 v54, s5 :: v_dual_add_nc_u32 v51, -1, v51
	v_add_nc_u32_e32 v50, 8, v50
	s_add_i32 s5, s5, 8
	ds_load_b64 v[54:55], v54
	v_cmp_eq_u32_e32 vcc_lo, 0, v51
	s_or_b32 s1, vcc_lo, s1
	s_waitcnt vmcnt(0) lgkmcnt(0)
	v_fma_f64 v[45:46], v[52:53], v[54:55], v[45:46]
	s_and_not1_b32 exec_lo, exec_lo, s1
	s_cbranch_execnz .LBB21_205
; %bb.206:
	s_or_b32 exec_lo, exec_lo, s1
.LBB21_207:
	s_delay_alu instid0(SALU_CYCLE_1)
	s_or_b32 exec_lo, exec_lo, s4
	v_mov_b32_e32 v50, 0
	ds_load_b64 v[50:51], v50
	s_waitcnt lgkmcnt(0)
	v_mul_f64 v[45:46], v[45:46], v[50:51]
	scratch_store_b64 off, v[45:46], off
.LBB21_208:
	s_or_b32 exec_lo, exec_lo, s3
.LBB21_209:
	s_delay_alu instid0(SALU_CYCLE_1)
	s_and_b32 vcc_lo, exec_lo, s0
	s_cbranch_vccz .LBB21_415
; %bb.210:
	scratch_load_b64 v[45:46], off, off offset:8
	v_cmp_eq_u32_e64 s0, 0, v0
	s_waitcnt vmcnt(0)
	ds_store_b64 v48, v[45:46]
	s_waitcnt lgkmcnt(0)
	s_waitcnt_vscnt null, 0x0
	s_barrier
	buffer_gl0_inv
	s_and_saveexec_b32 s1, s0
	s_cbranch_execz .LBB21_216
; %bb.211:
	s_and_b32 vcc_lo, exec_lo, s2
	s_cbranch_vccz .LBB21_213
; %bb.212:
	scratch_load_b64 v[45:46], v49, off
	ds_load_b64 v[50:51], v48
	s_waitcnt vmcnt(0) lgkmcnt(0)
	v_mul_f64 v[45:46], v[45:46], v[50:51]
	s_cbranch_execz .LBB21_214
	s_branch .LBB21_215
.LBB21_213:
                                        ; implicit-def: $vgpr45_vgpr46
.LBB21_214:
	ds_load_b64 v[45:46], v48
.LBB21_215:
	v_mov_b32_e32 v50, 0
	ds_load_b64 v[50:51], v50 offset:8
	s_waitcnt lgkmcnt(0)
	v_mul_f64 v[45:46], v[45:46], v[50:51]
	scratch_store_b64 off, v[45:46], off offset:8
.LBB21_216:
	s_or_b32 exec_lo, exec_lo, s1
	scratch_load_b64 v[45:46], off, off offset:16
	v_cndmask_b32_e64 v50, 0, 1, s2
	s_mov_b32 s1, exec_lo
	s_waitcnt vmcnt(0)
	ds_store_b64 v48, v[45:46]
	s_waitcnt lgkmcnt(0)
	s_waitcnt_vscnt null, 0x0
	s_barrier
	buffer_gl0_inv
	v_cmpx_gt_u32_e32 2, v0
	s_cbranch_execz .LBB21_224
; %bb.217:
	s_and_not1_b32 vcc_lo, exec_lo, s2
	s_cbranch_vccnz .LBB21_219
; %bb.218:
	scratch_load_b64 v[45:46], v49, off
	ds_load_b64 v[51:52], v48
	s_waitcnt vmcnt(0) lgkmcnt(0)
	v_mul_f64 v[45:46], v[45:46], v[51:52]
	s_cbranch_execz .LBB21_220
	s_branch .LBB21_221
.LBB21_219:
                                        ; implicit-def: $vgpr45_vgpr46
.LBB21_220:
	ds_load_b64 v[45:46], v48
.LBB21_221:
	s_and_saveexec_b32 s2, s0
	s_cbranch_execz .LBB21_223
; %bb.222:
	scratch_load_b64 v[51:52], v49, off offset:8
	ds_load_b64 v[53:54], v48 offset:8
	s_waitcnt vmcnt(0) lgkmcnt(0)
	v_fma_f64 v[45:46], v[51:52], v[53:54], v[45:46]
.LBB21_223:
	s_or_b32 exec_lo, exec_lo, s2
	v_mov_b32_e32 v51, 0
	ds_load_b64 v[51:52], v51 offset:16
	s_waitcnt lgkmcnt(0)
	v_mul_f64 v[45:46], v[45:46], v[51:52]
	scratch_store_b64 off, v[45:46], off offset:16
.LBB21_224:
	s_or_b32 exec_lo, exec_lo, s1
	scratch_load_b64 v[45:46], off, off offset:24
	s_mov_b32 s1, exec_lo
	s_waitcnt vmcnt(0)
	ds_store_b64 v48, v[45:46]
	s_waitcnt lgkmcnt(0)
	s_waitcnt_vscnt null, 0x0
	s_barrier
	buffer_gl0_inv
	v_cmpx_gt_u32_e32 3, v0
	s_cbranch_execz .LBB21_234
; %bb.225:
	v_cmp_ne_u32_e32 vcc_lo, 1, v50
	s_cbranch_vccnz .LBB21_227
; %bb.226:
	scratch_load_b64 v[45:46], v49, off
	ds_load_b64 v[51:52], v48
	s_waitcnt vmcnt(0) lgkmcnt(0)
	v_mul_f64 v[45:46], v[45:46], v[51:52]
	s_cbranch_execz .LBB21_228
	s_branch .LBB21_229
.LBB21_227:
                                        ; implicit-def: $vgpr45_vgpr46
.LBB21_228:
	ds_load_b64 v[45:46], v48
.LBB21_229:
	s_mov_b32 s2, exec_lo
	v_cmpx_ne_u32_e32 2, v0
	s_cbranch_execz .LBB21_233
; %bb.230:
	scratch_load_b64 v[51:52], v49, off offset:8
	ds_load_b64 v[53:54], v48 offset:8
	s_waitcnt vmcnt(0) lgkmcnt(0)
	v_fma_f64 v[45:46], v[51:52], v[53:54], v[45:46]
	s_and_saveexec_b32 s3, s0
	s_cbranch_execz .LBB21_232
; %bb.231:
	scratch_load_b64 v[51:52], off, off offset:16
	v_mov_b32_e32 v53, 0
	ds_load_b64 v[53:54], v53 offset:192
	s_waitcnt vmcnt(0) lgkmcnt(0)
	v_fma_f64 v[45:46], v[51:52], v[53:54], v[45:46]
.LBB21_232:
	s_or_b32 exec_lo, exec_lo, s3
.LBB21_233:
	s_delay_alu instid0(SALU_CYCLE_1)
	s_or_b32 exec_lo, exec_lo, s2
	v_mov_b32_e32 v51, 0
	ds_load_b64 v[51:52], v51 offset:24
	s_waitcnt lgkmcnt(0)
	v_mul_f64 v[45:46], v[45:46], v[51:52]
	scratch_store_b64 off, v[45:46], off offset:24
.LBB21_234:
	s_or_b32 exec_lo, exec_lo, s1
	scratch_load_b64 v[45:46], off, off offset:32
	s_mov_b32 s0, exec_lo
	s_waitcnt vmcnt(0)
	ds_store_b64 v48, v[45:46]
	s_waitcnt lgkmcnt(0)
	s_waitcnt_vscnt null, 0x0
	s_barrier
	buffer_gl0_inv
	v_cmpx_gt_u32_e32 4, v0
	s_cbranch_execz .LBB21_244
; %bb.235:
	v_cmp_ne_u32_e32 vcc_lo, 1, v50
	s_cbranch_vccnz .LBB21_237
; %bb.236:
	scratch_load_b64 v[45:46], v49, off
	ds_load_b64 v[51:52], v48
	s_waitcnt vmcnt(0) lgkmcnt(0)
	v_mul_f64 v[45:46], v[45:46], v[51:52]
	s_cbranch_execz .LBB21_238
	s_branch .LBB21_239
.LBB21_237:
                                        ; implicit-def: $vgpr45_vgpr46
.LBB21_238:
	ds_load_b64 v[45:46], v48
.LBB21_239:
	s_mov_b32 s1, exec_lo
	v_cmpx_ne_u32_e32 3, v0
	s_cbranch_execz .LBB21_243
; %bb.240:
	v_add_nc_u32_e32 v51, 0xb8, v47
	v_add3_u32 v52, 0, v47, 8
	v_mov_b32_e32 v53, v0
	s_mov_b32 s2, 0
.LBB21_241:                             ; =>This Inner Loop Header: Depth=1
	scratch_load_b64 v[54:55], v52, off
	ds_load_b64 v[56:57], v51
	v_add_nc_u32_e32 v53, 1, v53
	v_add_nc_u32_e32 v51, 8, v51
	v_add_nc_u32_e32 v52, 8, v52
	s_delay_alu instid0(VALU_DEP_3)
	v_cmp_lt_u32_e32 vcc_lo, 2, v53
	s_or_b32 s2, vcc_lo, s2
	s_waitcnt vmcnt(0) lgkmcnt(0)
	v_fma_f64 v[45:46], v[54:55], v[56:57], v[45:46]
	s_and_not1_b32 exec_lo, exec_lo, s2
	s_cbranch_execnz .LBB21_241
; %bb.242:
	s_or_b32 exec_lo, exec_lo, s2
.LBB21_243:
	s_delay_alu instid0(SALU_CYCLE_1)
	s_or_b32 exec_lo, exec_lo, s1
	v_mov_b32_e32 v51, 0
	ds_load_b64 v[51:52], v51 offset:32
	s_waitcnt lgkmcnt(0)
	v_mul_f64 v[45:46], v[45:46], v[51:52]
	scratch_store_b64 off, v[45:46], off offset:32
.LBB21_244:
	s_or_b32 exec_lo, exec_lo, s0
	scratch_load_b64 v[45:46], off, off offset:40
	s_mov_b32 s0, exec_lo
	s_waitcnt vmcnt(0)
	ds_store_b64 v48, v[45:46]
	s_waitcnt lgkmcnt(0)
	s_waitcnt_vscnt null, 0x0
	s_barrier
	buffer_gl0_inv
	v_cmpx_gt_u32_e32 5, v0
	s_cbranch_execz .LBB21_254
; %bb.245:
	v_cmp_ne_u32_e32 vcc_lo, 1, v50
	s_cbranch_vccnz .LBB21_247
; %bb.246:
	scratch_load_b64 v[45:46], v49, off
	ds_load_b64 v[51:52], v48
	s_waitcnt vmcnt(0) lgkmcnt(0)
	v_mul_f64 v[45:46], v[45:46], v[51:52]
	s_cbranch_execz .LBB21_248
	s_branch .LBB21_249
.LBB21_247:
                                        ; implicit-def: $vgpr45_vgpr46
.LBB21_248:
	ds_load_b64 v[45:46], v48
.LBB21_249:
	s_mov_b32 s1, exec_lo
	v_cmpx_ne_u32_e32 4, v0
	s_cbranch_execz .LBB21_253
; %bb.250:
	v_add_nc_u32_e32 v51, 0xb8, v47
	v_add3_u32 v52, 0, v47, 8
	v_mov_b32_e32 v53, v0
	s_mov_b32 s2, 0
.LBB21_251:                             ; =>This Inner Loop Header: Depth=1
	scratch_load_b64 v[54:55], v52, off
	ds_load_b64 v[56:57], v51
	v_add_nc_u32_e32 v53, 1, v53
	v_add_nc_u32_e32 v51, 8, v51
	v_add_nc_u32_e32 v52, 8, v52
	s_delay_alu instid0(VALU_DEP_3)
	v_cmp_lt_u32_e32 vcc_lo, 3, v53
	s_or_b32 s2, vcc_lo, s2
	s_waitcnt vmcnt(0) lgkmcnt(0)
	v_fma_f64 v[45:46], v[54:55], v[56:57], v[45:46]
	s_and_not1_b32 exec_lo, exec_lo, s2
	s_cbranch_execnz .LBB21_251
; %bb.252:
	s_or_b32 exec_lo, exec_lo, s2
.LBB21_253:
	s_delay_alu instid0(SALU_CYCLE_1)
	s_or_b32 exec_lo, exec_lo, s1
	v_mov_b32_e32 v51, 0
	ds_load_b64 v[51:52], v51 offset:40
	s_waitcnt lgkmcnt(0)
	v_mul_f64 v[45:46], v[45:46], v[51:52]
	scratch_store_b64 off, v[45:46], off offset:40
.LBB21_254:
	;; [unrolled: 58-line block ×16, first 2 shown]
	s_or_b32 exec_lo, exec_lo, s0
	scratch_load_b64 v[45:46], off, off offset:160
	v_cmp_gt_u32_e64 s0, 20, v0
	s_waitcnt vmcnt(0)
	ds_store_b64 v48, v[45:46]
	s_waitcnt lgkmcnt(0)
	s_waitcnt_vscnt null, 0x0
	s_barrier
	buffer_gl0_inv
	s_and_saveexec_b32 s1, s0
	s_cbranch_execz .LBB21_404
; %bb.395:
	v_cmp_ne_u32_e32 vcc_lo, 1, v50
	s_cbranch_vccnz .LBB21_397
; %bb.396:
	scratch_load_b64 v[45:46], v49, off
	ds_load_b64 v[51:52], v48
	s_waitcnt vmcnt(0) lgkmcnt(0)
	v_mul_f64 v[45:46], v[45:46], v[51:52]
	s_cbranch_execz .LBB21_398
	s_branch .LBB21_399
.LBB21_397:
                                        ; implicit-def: $vgpr45_vgpr46
.LBB21_398:
	ds_load_b64 v[45:46], v48
.LBB21_399:
	s_mov_b32 s2, exec_lo
	v_cmpx_ne_u32_e32 19, v0
	s_cbranch_execz .LBB21_403
; %bb.400:
	v_add_nc_u32_e32 v51, 0xb8, v47
	v_add3_u32 v52, 0, v47, 8
	v_mov_b32_e32 v53, v0
	s_mov_b32 s3, 0
.LBB21_401:                             ; =>This Inner Loop Header: Depth=1
	scratch_load_b64 v[54:55], v52, off
	ds_load_b64 v[56:57], v51
	v_add_nc_u32_e32 v53, 1, v53
	v_add_nc_u32_e32 v51, 8, v51
	;; [unrolled: 1-line block ×3, first 2 shown]
	s_delay_alu instid0(VALU_DEP_3)
	v_cmp_lt_u32_e32 vcc_lo, 18, v53
	s_or_b32 s3, vcc_lo, s3
	s_waitcnt vmcnt(0) lgkmcnt(0)
	v_fma_f64 v[45:46], v[54:55], v[56:57], v[45:46]
	s_and_not1_b32 exec_lo, exec_lo, s3
	s_cbranch_execnz .LBB21_401
; %bb.402:
	s_or_b32 exec_lo, exec_lo, s3
.LBB21_403:
	s_delay_alu instid0(SALU_CYCLE_1)
	s_or_b32 exec_lo, exec_lo, s2
	v_mov_b32_e32 v51, 0
	ds_load_b64 v[51:52], v51 offset:160
	s_waitcnt lgkmcnt(0)
	v_mul_f64 v[45:46], v[45:46], v[51:52]
	scratch_store_b64 off, v[45:46], off offset:160
.LBB21_404:
	s_or_b32 exec_lo, exec_lo, s1
	scratch_load_b64 v[45:46], off, off offset:168
	s_mov_b32 s1, exec_lo
	s_waitcnt vmcnt(0)
	ds_store_b64 v48, v[45:46]
	s_waitcnt lgkmcnt(0)
	s_waitcnt_vscnt null, 0x0
	s_barrier
	buffer_gl0_inv
	v_cmpx_ne_u32_e32 21, v0
	s_cbranch_execz .LBB21_414
; %bb.405:
	v_cmp_ne_u32_e32 vcc_lo, 1, v50
	s_cbranch_vccnz .LBB21_407
; %bb.406:
	scratch_load_b64 v[45:46], v49, off
	ds_load_b64 v[49:50], v48
	s_waitcnt vmcnt(0) lgkmcnt(0)
	v_mul_f64 v[45:46], v[45:46], v[49:50]
	s_cbranch_execz .LBB21_408
	s_branch .LBB21_409
.LBB21_407:
                                        ; implicit-def: $vgpr45_vgpr46
.LBB21_408:
	ds_load_b64 v[45:46], v48
.LBB21_409:
	s_and_saveexec_b32 s2, s0
	s_cbranch_execz .LBB21_413
; %bb.410:
	v_add_nc_u32_e32 v48, 0xb8, v47
	v_add3_u32 v47, 0, v47, 8
	s_mov_b32 s0, 0
.LBB21_411:                             ; =>This Inner Loop Header: Depth=1
	scratch_load_b64 v[49:50], v47, off
	ds_load_b64 v[51:52], v48
	v_add_nc_u32_e32 v0, 1, v0
	v_add_nc_u32_e32 v48, 8, v48
	;; [unrolled: 1-line block ×3, first 2 shown]
	s_delay_alu instid0(VALU_DEP_3)
	v_cmp_lt_u32_e32 vcc_lo, 19, v0
	s_or_b32 s0, vcc_lo, s0
	s_waitcnt vmcnt(0) lgkmcnt(0)
	v_fma_f64 v[45:46], v[49:50], v[51:52], v[45:46]
	s_and_not1_b32 exec_lo, exec_lo, s0
	s_cbranch_execnz .LBB21_411
; %bb.412:
	s_or_b32 exec_lo, exec_lo, s0
.LBB21_413:
	s_delay_alu instid0(SALU_CYCLE_1)
	s_or_b32 exec_lo, exec_lo, s2
	v_mov_b32_e32 v0, 0
	ds_load_b64 v[47:48], v0 offset:168
	s_waitcnt lgkmcnt(0)
	v_mul_f64 v[45:46], v[45:46], v[47:48]
	scratch_store_b64 off, v[45:46], off offset:168
.LBB21_414:
	s_or_b32 exec_lo, exec_lo, s1
.LBB21_415:
	s_clause 0xa
	scratch_load_b128 v[45:48], off, off
	scratch_load_b128 v[49:52], off, off offset:16
	scratch_load_b128 v[53:56], off, off offset:32
	;; [unrolled: 1-line block ×10, first 2 shown]
	s_waitcnt vmcnt(10)
	s_clause 0x1
	global_store_b64 v[1:2], v[45:46], off
	global_store_b64 v[3:4], v[47:48], off
	s_waitcnt vmcnt(9)
	s_clause 0x1
	global_store_b64 v[5:6], v[49:50], off
	global_store_b64 v[7:8], v[51:52], off
	;; [unrolled: 4-line block ×11, first 2 shown]
.LBB21_416:
	s_endpgm
	.section	.rodata,"a",@progbits
	.p2align	6, 0x0
	.amdhsa_kernel _ZN9rocsolver6v33100L18trti2_kernel_smallILi22EdPdEEv13rocblas_fill_17rocblas_diagonal_T1_iil
		.amdhsa_group_segment_fixed_size 352
		.amdhsa_private_segment_fixed_size 192
		.amdhsa_kernarg_size 32
		.amdhsa_user_sgpr_count 15
		.amdhsa_user_sgpr_dispatch_ptr 0
		.amdhsa_user_sgpr_queue_ptr 0
		.amdhsa_user_sgpr_kernarg_segment_ptr 1
		.amdhsa_user_sgpr_dispatch_id 0
		.amdhsa_user_sgpr_private_segment_size 0
		.amdhsa_wavefront_size32 1
		.amdhsa_uses_dynamic_stack 0
		.amdhsa_enable_private_segment 1
		.amdhsa_system_sgpr_workgroup_id_x 1
		.amdhsa_system_sgpr_workgroup_id_y 0
		.amdhsa_system_sgpr_workgroup_id_z 0
		.amdhsa_system_sgpr_workgroup_info 0
		.amdhsa_system_vgpr_workitem_id 0
		.amdhsa_next_free_vgpr 92
		.amdhsa_next_free_sgpr 16
		.amdhsa_reserve_vcc 1
		.amdhsa_float_round_mode_32 0
		.amdhsa_float_round_mode_16_64 0
		.amdhsa_float_denorm_mode_32 3
		.amdhsa_float_denorm_mode_16_64 3
		.amdhsa_dx10_clamp 1
		.amdhsa_ieee_mode 1
		.amdhsa_fp16_overflow 0
		.amdhsa_workgroup_processor_mode 1
		.amdhsa_memory_ordered 1
		.amdhsa_forward_progress 0
		.amdhsa_shared_vgpr_count 0
		.amdhsa_exception_fp_ieee_invalid_op 0
		.amdhsa_exception_fp_denorm_src 0
		.amdhsa_exception_fp_ieee_div_zero 0
		.amdhsa_exception_fp_ieee_overflow 0
		.amdhsa_exception_fp_ieee_underflow 0
		.amdhsa_exception_fp_ieee_inexact 0
		.amdhsa_exception_int_div_zero 0
	.end_amdhsa_kernel
	.section	.text._ZN9rocsolver6v33100L18trti2_kernel_smallILi22EdPdEEv13rocblas_fill_17rocblas_diagonal_T1_iil,"axG",@progbits,_ZN9rocsolver6v33100L18trti2_kernel_smallILi22EdPdEEv13rocblas_fill_17rocblas_diagonal_T1_iil,comdat
.Lfunc_end21:
	.size	_ZN9rocsolver6v33100L18trti2_kernel_smallILi22EdPdEEv13rocblas_fill_17rocblas_diagonal_T1_iil, .Lfunc_end21-_ZN9rocsolver6v33100L18trti2_kernel_smallILi22EdPdEEv13rocblas_fill_17rocblas_diagonal_T1_iil
                                        ; -- End function
	.section	.AMDGPU.csdata,"",@progbits
; Kernel info:
; codeLenInByte = 11676
; NumSgprs: 18
; NumVgprs: 92
; ScratchSize: 192
; MemoryBound: 0
; FloatMode: 240
; IeeeMode: 1
; LDSByteSize: 352 bytes/workgroup (compile time only)
; SGPRBlocks: 2
; VGPRBlocks: 11
; NumSGPRsForWavesPerEU: 18
; NumVGPRsForWavesPerEU: 92
; Occupancy: 16
; WaveLimiterHint : 0
; COMPUTE_PGM_RSRC2:SCRATCH_EN: 1
; COMPUTE_PGM_RSRC2:USER_SGPR: 15
; COMPUTE_PGM_RSRC2:TRAP_HANDLER: 0
; COMPUTE_PGM_RSRC2:TGID_X_EN: 1
; COMPUTE_PGM_RSRC2:TGID_Y_EN: 0
; COMPUTE_PGM_RSRC2:TGID_Z_EN: 0
; COMPUTE_PGM_RSRC2:TIDIG_COMP_CNT: 0
	.section	.text._ZN9rocsolver6v33100L18trti2_kernel_smallILi23EdPdEEv13rocblas_fill_17rocblas_diagonal_T1_iil,"axG",@progbits,_ZN9rocsolver6v33100L18trti2_kernel_smallILi23EdPdEEv13rocblas_fill_17rocblas_diagonal_T1_iil,comdat
	.globl	_ZN9rocsolver6v33100L18trti2_kernel_smallILi23EdPdEEv13rocblas_fill_17rocblas_diagonal_T1_iil ; -- Begin function _ZN9rocsolver6v33100L18trti2_kernel_smallILi23EdPdEEv13rocblas_fill_17rocblas_diagonal_T1_iil
	.p2align	8
	.type	_ZN9rocsolver6v33100L18trti2_kernel_smallILi23EdPdEEv13rocblas_fill_17rocblas_diagonal_T1_iil,@function
_ZN9rocsolver6v33100L18trti2_kernel_smallILi23EdPdEEv13rocblas_fill_17rocblas_diagonal_T1_iil: ; @_ZN9rocsolver6v33100L18trti2_kernel_smallILi23EdPdEEv13rocblas_fill_17rocblas_diagonal_T1_iil
; %bb.0:
	s_mov_b32 s2, exec_lo
	v_cmpx_gt_u32_e32 23, v0
	s_cbranch_execz .LBB22_436
; %bb.1:
	s_load_b256 s[0:7], s[0:1], 0x0
	s_ashr_i32 s8, s15, 31
	v_lshlrev_b32_e32 v49, 3, v0
	s_waitcnt lgkmcnt(0)
	v_add3_u32 v5, s5, s5, v0
	s_mul_i32 s7, s15, s7
	s_mul_hi_u32 s9, s15, s6
	s_mul_i32 s8, s8, s6
	s_add_i32 s7, s9, s7
	v_add_nc_u32_e32 v7, s5, v5
	s_mul_i32 s6, s15, s6
	s_add_i32 s7, s7, s8
	s_ashr_i32 s9, s4, 31
	s_lshl_b64 s[6:7], s[6:7], 3
	v_add_nc_u32_e32 v9, s5, v7
	s_mov_b32 s8, s4
	s_add_u32 s4, s2, s6
	s_addc_u32 s7, s3, s7
	s_lshl_b64 s[2:3], s[8:9], 3
	v_add_nc_u32_e32 v11, s5, v9
	v_ashrrev_i32_e32 v6, 31, v5
	s_add_u32 s2, s4, s2
	s_addc_u32 s3, s7, s3
	v_add_co_u32 v1, s4, s2, v49
	v_add_nc_u32_e32 v13, s5, v11
	v_ashrrev_i32_e32 v8, 31, v7
	s_mov_b32 s6, s5
	s_ashr_i32 s7, s5, 31
	v_add_co_ci_u32_e64 v2, null, s3, 0, s4
	v_add_nc_u32_e32 v15, s5, v13
	v_lshlrev_b64 v[5:6], 3, v[5:6]
	s_lshl_b64 s[6:7], s[6:7], 3
	v_ashrrev_i32_e32 v10, 31, v9
	v_add_co_u32 v3, vcc_lo, v1, s6
	v_add_nc_u32_e32 v17, s5, v15
	v_lshlrev_b64 v[7:8], 3, v[7:8]
	v_ashrrev_i32_e32 v12, 31, v11
	v_add_co_ci_u32_e32 v4, vcc_lo, s7, v2, vcc_lo
	s_delay_alu instid0(VALU_DEP_4) | instskip(SKIP_3) | instid1(VALU_DEP_4)
	v_add_nc_u32_e32 v19, s5, v17
	v_add_co_u32 v5, vcc_lo, s2, v5
	v_lshlrev_b64 v[9:10], 3, v[9:10]
	v_ashrrev_i32_e32 v14, 31, v13
	v_add_nc_u32_e32 v21, s5, v19
	v_add_co_ci_u32_e32 v6, vcc_lo, s3, v6, vcc_lo
	v_add_co_u32 v7, vcc_lo, s2, v7
	s_delay_alu instid0(VALU_DEP_3) | instskip(SKIP_3) | instid1(VALU_DEP_4)
	v_add_nc_u32_e32 v23, s5, v21
	v_lshlrev_b64 v[11:12], 3, v[11:12]
	v_ashrrev_i32_e32 v16, 31, v15
	v_add_co_ci_u32_e32 v8, vcc_lo, s3, v8, vcc_lo
	v_add_nc_u32_e32 v25, s5, v23
	v_add_co_u32 v9, vcc_lo, s2, v9
	v_lshlrev_b64 v[13:14], 3, v[13:14]
	v_ashrrev_i32_e32 v18, 31, v17
	s_delay_alu instid0(VALU_DEP_4) | instskip(SKIP_2) | instid1(VALU_DEP_3)
	v_add_nc_u32_e32 v27, s5, v25
	v_add_co_ci_u32_e32 v10, vcc_lo, s3, v10, vcc_lo
	v_add_co_u32 v11, vcc_lo, s2, v11
	v_add_nc_u32_e32 v29, s5, v27
	v_lshlrev_b64 v[15:16], 3, v[15:16]
	v_ashrrev_i32_e32 v20, 31, v19
	v_add_co_ci_u32_e32 v12, vcc_lo, s3, v12, vcc_lo
	s_delay_alu instid0(VALU_DEP_4) | instskip(SKIP_3) | instid1(VALU_DEP_4)
	v_add_nc_u32_e32 v31, s5, v29
	v_add_co_u32 v13, vcc_lo, s2, v13
	v_lshlrev_b64 v[17:18], 3, v[17:18]
	v_ashrrev_i32_e32 v22, 31, v21
	v_add_nc_u32_e32 v33, s5, v31
	v_add_co_ci_u32_e32 v14, vcc_lo, s3, v14, vcc_lo
	v_add_co_u32 v15, vcc_lo, s2, v15
	v_lshlrev_b64 v[19:20], 3, v[19:20]
	v_ashrrev_i32_e32 v24, 31, v23
	v_add_nc_u32_e32 v35, s5, v33
	v_add_co_ci_u32_e32 v16, vcc_lo, s3, v16, vcc_lo
	v_add_co_u32 v17, vcc_lo, s2, v17
	v_lshlrev_b64 v[21:22], 3, v[21:22]
	v_ashrrev_i32_e32 v26, 31, v25
	v_add_co_ci_u32_e32 v18, vcc_lo, s3, v18, vcc_lo
	v_add_co_u32 v19, vcc_lo, s2, v19
	v_lshlrev_b64 v[23:24], 3, v[23:24]
	v_add_nc_u32_e32 v37, s5, v35
	v_ashrrev_i32_e32 v28, 31, v27
	v_add_co_ci_u32_e32 v20, vcc_lo, s3, v20, vcc_lo
	v_add_co_u32 v21, vcc_lo, s2, v21
	v_lshlrev_b64 v[25:26], 3, v[25:26]
	v_ashrrev_i32_e32 v30, 31, v29
	v_add_co_ci_u32_e32 v22, vcc_lo, s3, v22, vcc_lo
	v_add_nc_u32_e32 v39, s5, v37
	v_add_co_u32 v23, vcc_lo, s2, v23
	v_lshlrev_b64 v[27:28], 3, v[27:28]
	v_ashrrev_i32_e32 v32, 31, v31
	v_add_co_ci_u32_e32 v24, vcc_lo, s3, v24, vcc_lo
	v_add_co_u32 v25, vcc_lo, s2, v25
	v_lshlrev_b64 v[29:30], 3, v[29:30]
	v_ashrrev_i32_e32 v34, 31, v33
	v_add_nc_u32_e32 v41, s5, v39
	v_add_co_ci_u32_e32 v26, vcc_lo, s3, v26, vcc_lo
	v_add_co_u32 v27, vcc_lo, s2, v27
	v_lshlrev_b64 v[31:32], 3, v[31:32]
	v_ashrrev_i32_e32 v36, 31, v35
	v_add_co_ci_u32_e32 v28, vcc_lo, s3, v28, vcc_lo
	v_add_co_u32 v29, vcc_lo, s2, v29
	v_lshlrev_b64 v[33:34], 3, v[33:34]
	v_add_nc_u32_e32 v43, s5, v41
	v_ashrrev_i32_e32 v38, 31, v37
	v_add_co_ci_u32_e32 v30, vcc_lo, s3, v30, vcc_lo
	v_add_co_u32 v31, vcc_lo, s2, v31
	v_lshlrev_b64 v[35:36], 3, v[35:36]
	v_ashrrev_i32_e32 v40, 31, v39
	v_add_co_ci_u32_e32 v32, vcc_lo, s3, v32, vcc_lo
	v_add_nc_u32_e32 v45, s5, v43
	v_add_co_u32 v33, vcc_lo, s2, v33
	v_lshlrev_b64 v[37:38], 3, v[37:38]
	v_ashrrev_i32_e32 v42, 31, v41
	v_add_co_ci_u32_e32 v34, vcc_lo, s3, v34, vcc_lo
	v_add_co_u32 v35, vcc_lo, s2, v35
	v_lshlrev_b64 v[39:40], 3, v[39:40]
	v_ashrrev_i32_e32 v44, 31, v43
	v_ashrrev_i32_e32 v46, 31, v45
	v_add_co_ci_u32_e32 v36, vcc_lo, s3, v36, vcc_lo
	v_add_co_u32 v37, vcc_lo, s2, v37
	v_lshlrev_b64 v[41:42], 3, v[41:42]
	v_add_co_ci_u32_e32 v38, vcc_lo, s3, v38, vcc_lo
	v_add_co_u32 v39, vcc_lo, s2, v39
	v_lshlrev_b64 v[47:48], 3, v[43:44]
	v_lshlrev_b64 v[43:44], 3, v[45:46]
	v_add_co_ci_u32_e32 v40, vcc_lo, s3, v40, vcc_lo
	v_add_co_u32 v41, vcc_lo, s2, v41
	v_add_co_ci_u32_e32 v42, vcc_lo, s3, v42, vcc_lo
	s_delay_alu instid0(VALU_DEP_4)
	v_add_co_u32 v43, vcc_lo, s2, v43
	v_add_co_ci_u32_e32 v44, vcc_lo, s3, v44, vcc_lo
	v_add_co_u32 v45, vcc_lo, s2, v47
	v_add_co_ci_u32_e32 v46, vcc_lo, s3, v48, vcc_lo
	v_mov_b32_e32 v47, 0
	v_mov_b32_e32 v48, 0xbff00000
	s_clause 0x14
	global_load_b64 v[50:51], v49, s[2:3]
	global_load_b64 v[52:53], v[3:4], off
	global_load_b64 v[54:55], v[5:6], off
	;; [unrolled: 1-line block ×20, first 2 shown]
	s_cmpk_lg_i32 s1, 0x84
	s_cselect_b32 s2, -1, 0
	s_cmpk_eq_i32 s1, 0x84
	s_waitcnt vmcnt(19)
	scratch_store_b128 off, v[50:53], off
	s_clause 0x1
	global_load_b64 v[52:53], v[45:46], off
	global_load_b64 v[50:51], v[41:42], off
	s_waitcnt vmcnt(19)
	scratch_store_b128 off, v[54:57], off offset:16
	s_waitcnt vmcnt(17)
	scratch_store_b128 off, v[58:61], off offset:32
	;; [unrolled: 2-line block ×9, first 2 shown]
	s_waitcnt vmcnt(0)
	s_clause 0x1
	scratch_store_b128 off, v[50:53], off offset:160
	scratch_store_b64 off, v[90:91], off offset:176
	s_cbranch_scc1 .LBB22_3
; %bb.2:
	scratch_load_b64 v[47:48], v49, off
	s_waitcnt vmcnt(0)
	v_div_scale_f64 v[50:51], null, v[47:48], v[47:48], 1.0
	v_div_scale_f64 v[56:57], vcc_lo, 1.0, v[47:48], 1.0
	s_delay_alu instid0(VALU_DEP_2) | instskip(SKIP_2) | instid1(VALU_DEP_1)
	v_rcp_f64_e32 v[52:53], v[50:51]
	s_waitcnt_depctr 0xfff
	v_fma_f64 v[54:55], -v[50:51], v[52:53], 1.0
	v_fma_f64 v[52:53], v[52:53], v[54:55], v[52:53]
	s_delay_alu instid0(VALU_DEP_1) | instskip(NEXT) | instid1(VALU_DEP_1)
	v_fma_f64 v[54:55], -v[50:51], v[52:53], 1.0
	v_fma_f64 v[52:53], v[52:53], v[54:55], v[52:53]
	s_delay_alu instid0(VALU_DEP_1) | instskip(NEXT) | instid1(VALU_DEP_1)
	v_mul_f64 v[54:55], v[56:57], v[52:53]
	v_fma_f64 v[50:51], -v[50:51], v[54:55], v[56:57]
	s_delay_alu instid0(VALU_DEP_1) | instskip(NEXT) | instid1(VALU_DEP_1)
	v_div_fmas_f64 v[50:51], v[50:51], v[52:53], v[54:55]
	v_div_fixup_f64 v[47:48], v[50:51], v[47:48], 1.0
	scratch_store_b64 v49, v[47:48], off
	v_xor_b32_e32 v48, 0x80000000, v48
.LBB22_3:
	v_add_nc_u32_e32 v50, 0xc0, v49
	v_add_nc_u32_e32 v51, 0, v49
	s_cmpk_eq_i32 s0, 0x79
	s_mov_b32 s0, -1
	ds_store_b64 v49, v[47:48]
	s_cbranch_scc1 .LBB22_219
; %bb.4:
	scratch_load_b64 v[47:48], off, off offset:168
	v_cmp_eq_u32_e64 s1, 22, v0
	s_movk_i32 s0, 0x50
	s_movk_i32 s3, 0x60
	;; [unrolled: 1-line block ×6, first 2 shown]
	s_waitcnt vmcnt(0)
	ds_store_b64 v50, v[47:48]
	s_waitcnt lgkmcnt(0)
	s_waitcnt_vscnt null, 0x0
	s_barrier
	buffer_gl0_inv
	s_and_saveexec_b32 s8, s1
	s_cbranch_execz .LBB22_10
; %bb.5:
	s_and_b32 vcc_lo, exec_lo, s2
	s_cbranch_vccz .LBB22_7
; %bb.6:
	scratch_load_b64 v[47:48], v51, off
	ds_load_b64 v[52:53], v50
	s_waitcnt vmcnt(0) lgkmcnt(0)
	v_mul_f64 v[47:48], v[47:48], v[52:53]
	s_cbranch_execz .LBB22_8
	s_branch .LBB22_9
.LBB22_7:
                                        ; implicit-def: $vgpr47_vgpr48
.LBB22_8:
	ds_load_b64 v[47:48], v50
.LBB22_9:
	v_mov_b32_e32 v52, 0
	ds_load_b64 v[52:53], v52 offset:168
	s_waitcnt lgkmcnt(0)
	v_mul_f64 v[47:48], v[47:48], v[52:53]
	scratch_store_b64 off, v[47:48], off offset:168
.LBB22_10:
	s_or_b32 exec_lo, exec_lo, s8
	scratch_load_b64 v[47:48], off, off offset:160
	v_add_nc_u32_e64 v52, 0, 16
	v_add_nc_u32_e64 v53, 0, 32
	;; [unrolled: 1-line block ×10, first 2 shown]
	v_cmp_lt_u32_e64 s0, 20, v0
	s_waitcnt vmcnt(0)
	ds_store_b64 v50, v[47:48]
	s_waitcnt lgkmcnt(0)
	s_waitcnt_vscnt null, 0x0
	s_barrier
	buffer_gl0_inv
	s_and_saveexec_b32 s3, s0
	s_cbranch_execz .LBB22_18
; %bb.11:
	s_and_not1_b32 vcc_lo, exec_lo, s2
	s_cbranch_vccnz .LBB22_13
; %bb.12:
	scratch_load_b64 v[47:48], v51, off
	ds_load_b64 v[62:63], v50
	s_waitcnt vmcnt(0) lgkmcnt(0)
	v_mul_f64 v[47:48], v[47:48], v[62:63]
	s_cbranch_execz .LBB22_14
	s_branch .LBB22_15
.LBB22_13:
                                        ; implicit-def: $vgpr47_vgpr48
.LBB22_14:
	ds_load_b64 v[47:48], v50
.LBB22_15:
	s_and_saveexec_b32 s4, s1
	s_cbranch_execz .LBB22_17
; %bb.16:
	scratch_load_b64 v[62:63], off, off offset:168
	v_mov_b32_e32 v64, 0
	ds_load_b64 v[64:65], v64 offset:360
	s_waitcnt vmcnt(0) lgkmcnt(0)
	v_fma_f64 v[47:48], v[62:63], v[64:65], v[47:48]
.LBB22_17:
	s_or_b32 exec_lo, exec_lo, s4
	v_mov_b32_e32 v62, 0
	ds_load_b64 v[62:63], v62 offset:160
	s_waitcnt lgkmcnt(0)
	v_mul_f64 v[47:48], v[47:48], v[62:63]
	scratch_store_b64 off, v[47:48], off offset:160
.LBB22_18:
	s_or_b32 exec_lo, exec_lo, s3
	scratch_load_b64 v[47:48], off, off offset:152
	v_cmp_lt_u32_e64 s1, 19, v0
	s_waitcnt vmcnt(0)
	ds_store_b64 v50, v[47:48]
	s_waitcnt lgkmcnt(0)
	s_waitcnt_vscnt null, 0x0
	s_barrier
	buffer_gl0_inv
	s_and_saveexec_b32 s3, s1
	s_cbranch_execz .LBB22_28
; %bb.19:
	s_and_not1_b32 vcc_lo, exec_lo, s2
	s_cbranch_vccnz .LBB22_21
; %bb.20:
	scratch_load_b64 v[47:48], v51, off
	ds_load_b64 v[62:63], v50
	s_waitcnt vmcnt(0) lgkmcnt(0)
	v_mul_f64 v[47:48], v[47:48], v[62:63]
	s_cbranch_execz .LBB22_22
	s_branch .LBB22_23
.LBB22_21:
                                        ; implicit-def: $vgpr47_vgpr48
.LBB22_22:
	ds_load_b64 v[47:48], v50
.LBB22_23:
	s_and_saveexec_b32 s4, s0
	s_cbranch_execz .LBB22_27
; %bb.24:
	v_subrev_nc_u32_e32 v62, 20, v0
	s_movk_i32 s5, 0x160
	s_mov_b32 s0, 0
.LBB22_25:                              ; =>This Inner Loop Header: Depth=1
	scratch_load_b64 v[63:64], v61, off
	v_dual_mov_b32 v65, s5 :: v_dual_add_nc_u32 v62, -1, v62
	v_add_nc_u32_e32 v61, 8, v61
	s_add_i32 s5, s5, 8
	ds_load_b64 v[65:66], v65
	v_cmp_eq_u32_e32 vcc_lo, 0, v62
	s_or_b32 s0, vcc_lo, s0
	s_waitcnt vmcnt(0) lgkmcnt(0)
	v_fma_f64 v[47:48], v[63:64], v[65:66], v[47:48]
	s_and_not1_b32 exec_lo, exec_lo, s0
	s_cbranch_execnz .LBB22_25
; %bb.26:
	s_or_b32 exec_lo, exec_lo, s0
.LBB22_27:
	s_delay_alu instid0(SALU_CYCLE_1)
	s_or_b32 exec_lo, exec_lo, s4
	v_mov_b32_e32 v61, 0
	ds_load_b64 v[61:62], v61 offset:152
	s_waitcnt lgkmcnt(0)
	v_mul_f64 v[47:48], v[47:48], v[61:62]
	scratch_store_b64 off, v[47:48], off offset:152
.LBB22_28:
	s_or_b32 exec_lo, exec_lo, s3
	scratch_load_b64 v[47:48], off, off offset:144
	v_cmp_lt_u32_e64 s0, 18, v0
	s_waitcnt vmcnt(0)
	ds_store_b64 v50, v[47:48]
	s_waitcnt lgkmcnt(0)
	s_waitcnt_vscnt null, 0x0
	s_barrier
	buffer_gl0_inv
	s_and_saveexec_b32 s3, s0
	s_cbranch_execz .LBB22_38
; %bb.29:
	s_and_not1_b32 vcc_lo, exec_lo, s2
	s_cbranch_vccnz .LBB22_31
; %bb.30:
	scratch_load_b64 v[47:48], v51, off
	ds_load_b64 v[61:62], v50
	s_waitcnt vmcnt(0) lgkmcnt(0)
	v_mul_f64 v[47:48], v[47:48], v[61:62]
	s_cbranch_execz .LBB22_32
	s_branch .LBB22_33
.LBB22_31:
                                        ; implicit-def: $vgpr47_vgpr48
.LBB22_32:
	ds_load_b64 v[47:48], v50
.LBB22_33:
	s_and_saveexec_b32 s4, s1
	s_cbranch_execz .LBB22_37
; %bb.34:
	v_mov_b32_e32 v61, 0
	v_subrev_nc_u32_e32 v62, 19, v0
	s_movk_i32 s5, 0x158
	s_mov_b32 s1, 0
	s_delay_alu instid0(VALU_DEP_2)
	v_add_nc_u32_e32 v61, 0x98, v61
.LBB22_35:                              ; =>This Inner Loop Header: Depth=1
	scratch_load_b64 v[63:64], v61, off
	v_dual_mov_b32 v65, s5 :: v_dual_add_nc_u32 v62, -1, v62
	v_add_nc_u32_e32 v61, 8, v61
	s_add_i32 s5, s5, 8
	ds_load_b64 v[65:66], v65
	v_cmp_eq_u32_e32 vcc_lo, 0, v62
	s_or_b32 s1, vcc_lo, s1
	s_waitcnt vmcnt(0) lgkmcnt(0)
	v_fma_f64 v[47:48], v[63:64], v[65:66], v[47:48]
	s_and_not1_b32 exec_lo, exec_lo, s1
	s_cbranch_execnz .LBB22_35
; %bb.36:
	s_or_b32 exec_lo, exec_lo, s1
.LBB22_37:
	s_delay_alu instid0(SALU_CYCLE_1)
	s_or_b32 exec_lo, exec_lo, s4
	v_mov_b32_e32 v61, 0
	ds_load_b64 v[61:62], v61 offset:144
	s_waitcnt lgkmcnt(0)
	v_mul_f64 v[47:48], v[47:48], v[61:62]
	scratch_store_b64 off, v[47:48], off offset:144
.LBB22_38:
	s_or_b32 exec_lo, exec_lo, s3
	scratch_load_b64 v[47:48], off, off offset:136
	v_cmp_lt_u32_e64 s1, 17, v0
	s_waitcnt vmcnt(0)
	ds_store_b64 v50, v[47:48]
	s_waitcnt lgkmcnt(0)
	s_waitcnt_vscnt null, 0x0
	s_barrier
	buffer_gl0_inv
	s_and_saveexec_b32 s3, s1
	s_cbranch_execz .LBB22_48
; %bb.39:
	s_and_not1_b32 vcc_lo, exec_lo, s2
	s_cbranch_vccnz .LBB22_41
; %bb.40:
	scratch_load_b64 v[47:48], v51, off
	ds_load_b64 v[61:62], v50
	s_waitcnt vmcnt(0) lgkmcnt(0)
	v_mul_f64 v[47:48], v[47:48], v[61:62]
	s_cbranch_execz .LBB22_42
	s_branch .LBB22_43
.LBB22_41:
                                        ; implicit-def: $vgpr47_vgpr48
.LBB22_42:
	ds_load_b64 v[47:48], v50
.LBB22_43:
	s_and_saveexec_b32 s4, s0
	s_cbranch_execz .LBB22_47
; %bb.44:
	v_subrev_nc_u32_e32 v61, 18, v0
	s_movk_i32 s5, 0x150
	s_mov_b32 s0, 0
.LBB22_45:                              ; =>This Inner Loop Header: Depth=1
	scratch_load_b64 v[62:63], v60, off
	v_dual_mov_b32 v64, s5 :: v_dual_add_nc_u32 v61, -1, v61
	v_add_nc_u32_e32 v60, 8, v60
	s_add_i32 s5, s5, 8
	ds_load_b64 v[64:65], v64
	v_cmp_eq_u32_e32 vcc_lo, 0, v61
	s_or_b32 s0, vcc_lo, s0
	s_waitcnt vmcnt(0) lgkmcnt(0)
	v_fma_f64 v[47:48], v[62:63], v[64:65], v[47:48]
	s_and_not1_b32 exec_lo, exec_lo, s0
	s_cbranch_execnz .LBB22_45
; %bb.46:
	s_or_b32 exec_lo, exec_lo, s0
.LBB22_47:
	s_delay_alu instid0(SALU_CYCLE_1)
	s_or_b32 exec_lo, exec_lo, s4
	v_mov_b32_e32 v60, 0
	ds_load_b64 v[60:61], v60 offset:136
	s_waitcnt lgkmcnt(0)
	v_mul_f64 v[47:48], v[47:48], v[60:61]
	scratch_store_b64 off, v[47:48], off offset:136
.LBB22_48:
	s_or_b32 exec_lo, exec_lo, s3
	scratch_load_b64 v[47:48], off, off offset:128
	v_cmp_lt_u32_e64 s0, 16, v0
	s_waitcnt vmcnt(0)
	ds_store_b64 v50, v[47:48]
	s_waitcnt lgkmcnt(0)
	s_waitcnt_vscnt null, 0x0
	s_barrier
	buffer_gl0_inv
	s_and_saveexec_b32 s3, s0
	s_cbranch_execz .LBB22_58
; %bb.49:
	s_and_not1_b32 vcc_lo, exec_lo, s2
	s_cbranch_vccnz .LBB22_51
; %bb.50:
	scratch_load_b64 v[47:48], v51, off
	ds_load_b64 v[60:61], v50
	s_waitcnt vmcnt(0) lgkmcnt(0)
	v_mul_f64 v[47:48], v[47:48], v[60:61]
	s_cbranch_execz .LBB22_52
	s_branch .LBB22_53
.LBB22_51:
                                        ; implicit-def: $vgpr47_vgpr48
.LBB22_52:
	ds_load_b64 v[47:48], v50
.LBB22_53:
	s_and_saveexec_b32 s4, s1
	s_cbranch_execz .LBB22_57
; %bb.54:
	v_mov_b32_e32 v60, 0
	v_subrev_nc_u32_e32 v61, 17, v0
	s_movk_i32 s5, 0x148
	s_mov_b32 s1, 0
	s_delay_alu instid0(VALU_DEP_2)
	v_add_nc_u32_e32 v60, 0x88, v60
.LBB22_55:                              ; =>This Inner Loop Header: Depth=1
	scratch_load_b64 v[62:63], v60, off
	v_dual_mov_b32 v64, s5 :: v_dual_add_nc_u32 v61, -1, v61
	v_add_nc_u32_e32 v60, 8, v60
	s_add_i32 s5, s5, 8
	ds_load_b64 v[64:65], v64
	v_cmp_eq_u32_e32 vcc_lo, 0, v61
	s_or_b32 s1, vcc_lo, s1
	s_waitcnt vmcnt(0) lgkmcnt(0)
	v_fma_f64 v[47:48], v[62:63], v[64:65], v[47:48]
	s_and_not1_b32 exec_lo, exec_lo, s1
	s_cbranch_execnz .LBB22_55
; %bb.56:
	s_or_b32 exec_lo, exec_lo, s1
.LBB22_57:
	s_delay_alu instid0(SALU_CYCLE_1)
	s_or_b32 exec_lo, exec_lo, s4
	v_mov_b32_e32 v60, 0
	ds_load_b64 v[60:61], v60 offset:128
	s_waitcnt lgkmcnt(0)
	v_mul_f64 v[47:48], v[47:48], v[60:61]
	scratch_store_b64 off, v[47:48], off offset:128
.LBB22_58:
	s_or_b32 exec_lo, exec_lo, s3
	scratch_load_b64 v[47:48], off, off offset:120
	v_cmp_lt_u32_e64 s1, 15, v0
	s_waitcnt vmcnt(0)
	ds_store_b64 v50, v[47:48]
	s_waitcnt lgkmcnt(0)
	s_waitcnt_vscnt null, 0x0
	s_barrier
	buffer_gl0_inv
	s_and_saveexec_b32 s3, s1
	s_cbranch_execz .LBB22_68
; %bb.59:
	s_and_not1_b32 vcc_lo, exec_lo, s2
	s_cbranch_vccnz .LBB22_61
; %bb.60:
	scratch_load_b64 v[47:48], v51, off
	ds_load_b64 v[60:61], v50
	s_waitcnt vmcnt(0) lgkmcnt(0)
	v_mul_f64 v[47:48], v[47:48], v[60:61]
	s_cbranch_execz .LBB22_62
	s_branch .LBB22_63
.LBB22_61:
                                        ; implicit-def: $vgpr47_vgpr48
.LBB22_62:
	ds_load_b64 v[47:48], v50
.LBB22_63:
	s_and_saveexec_b32 s4, s0
	s_cbranch_execz .LBB22_67
; %bb.64:
	v_add_nc_u32_e32 v60, -16, v0
	s_movk_i32 s5, 0x140
	s_mov_b32 s0, 0
.LBB22_65:                              ; =>This Inner Loop Header: Depth=1
	scratch_load_b64 v[61:62], v59, off
	v_dual_mov_b32 v63, s5 :: v_dual_add_nc_u32 v60, -1, v60
	v_add_nc_u32_e32 v59, 8, v59
	s_add_i32 s5, s5, 8
	ds_load_b64 v[63:64], v63
	v_cmp_eq_u32_e32 vcc_lo, 0, v60
	s_or_b32 s0, vcc_lo, s0
	s_waitcnt vmcnt(0) lgkmcnt(0)
	v_fma_f64 v[47:48], v[61:62], v[63:64], v[47:48]
	s_and_not1_b32 exec_lo, exec_lo, s0
	s_cbranch_execnz .LBB22_65
; %bb.66:
	s_or_b32 exec_lo, exec_lo, s0
.LBB22_67:
	s_delay_alu instid0(SALU_CYCLE_1)
	s_or_b32 exec_lo, exec_lo, s4
	v_mov_b32_e32 v59, 0
	ds_load_b64 v[59:60], v59 offset:120
	s_waitcnt lgkmcnt(0)
	v_mul_f64 v[47:48], v[47:48], v[59:60]
	scratch_store_b64 off, v[47:48], off offset:120
.LBB22_68:
	s_or_b32 exec_lo, exec_lo, s3
	scratch_load_b64 v[47:48], off, off offset:112
	v_cmp_lt_u32_e64 s0, 14, v0
	s_waitcnt vmcnt(0)
	ds_store_b64 v50, v[47:48]
	s_waitcnt lgkmcnt(0)
	s_waitcnt_vscnt null, 0x0
	s_barrier
	buffer_gl0_inv
	s_and_saveexec_b32 s3, s0
	s_cbranch_execz .LBB22_78
; %bb.69:
	s_and_not1_b32 vcc_lo, exec_lo, s2
	s_cbranch_vccnz .LBB22_71
; %bb.70:
	scratch_load_b64 v[47:48], v51, off
	ds_load_b64 v[59:60], v50
	s_waitcnt vmcnt(0) lgkmcnt(0)
	v_mul_f64 v[47:48], v[47:48], v[59:60]
	s_cbranch_execz .LBB22_72
	s_branch .LBB22_73
.LBB22_71:
                                        ; implicit-def: $vgpr47_vgpr48
.LBB22_72:
	ds_load_b64 v[47:48], v50
.LBB22_73:
	s_and_saveexec_b32 s4, s1
	s_cbranch_execz .LBB22_77
; %bb.74:
	v_dual_mov_b32 v59, 0 :: v_dual_add_nc_u32 v60, -15, v0
	s_movk_i32 s5, 0x138
	s_mov_b32 s1, 0
	s_delay_alu instid0(VALU_DEP_1)
	v_add_nc_u32_e32 v59, 0x78, v59
.LBB22_75:                              ; =>This Inner Loop Header: Depth=1
	scratch_load_b64 v[61:62], v59, off
	v_dual_mov_b32 v63, s5 :: v_dual_add_nc_u32 v60, -1, v60
	v_add_nc_u32_e32 v59, 8, v59
	s_add_i32 s5, s5, 8
	ds_load_b64 v[63:64], v63
	v_cmp_eq_u32_e32 vcc_lo, 0, v60
	s_or_b32 s1, vcc_lo, s1
	s_waitcnt vmcnt(0) lgkmcnt(0)
	v_fma_f64 v[47:48], v[61:62], v[63:64], v[47:48]
	s_and_not1_b32 exec_lo, exec_lo, s1
	s_cbranch_execnz .LBB22_75
; %bb.76:
	s_or_b32 exec_lo, exec_lo, s1
.LBB22_77:
	s_delay_alu instid0(SALU_CYCLE_1)
	s_or_b32 exec_lo, exec_lo, s4
	v_mov_b32_e32 v59, 0
	ds_load_b64 v[59:60], v59 offset:112
	s_waitcnt lgkmcnt(0)
	v_mul_f64 v[47:48], v[47:48], v[59:60]
	scratch_store_b64 off, v[47:48], off offset:112
.LBB22_78:
	s_or_b32 exec_lo, exec_lo, s3
	scratch_load_b64 v[47:48], off, off offset:104
	v_cmp_lt_u32_e64 s1, 13, v0
	s_waitcnt vmcnt(0)
	ds_store_b64 v50, v[47:48]
	s_waitcnt lgkmcnt(0)
	s_waitcnt_vscnt null, 0x0
	s_barrier
	buffer_gl0_inv
	s_and_saveexec_b32 s3, s1
	s_cbranch_execz .LBB22_88
; %bb.79:
	s_and_not1_b32 vcc_lo, exec_lo, s2
	s_cbranch_vccnz .LBB22_81
; %bb.80:
	scratch_load_b64 v[47:48], v51, off
	ds_load_b64 v[59:60], v50
	s_waitcnt vmcnt(0) lgkmcnt(0)
	v_mul_f64 v[47:48], v[47:48], v[59:60]
	s_cbranch_execz .LBB22_82
	s_branch .LBB22_83
.LBB22_81:
                                        ; implicit-def: $vgpr47_vgpr48
.LBB22_82:
	ds_load_b64 v[47:48], v50
.LBB22_83:
	s_and_saveexec_b32 s4, s0
	s_cbranch_execz .LBB22_87
; %bb.84:
	v_add_nc_u32_e32 v59, -14, v0
	s_movk_i32 s5, 0x130
	s_mov_b32 s0, 0
.LBB22_85:                              ; =>This Inner Loop Header: Depth=1
	scratch_load_b64 v[60:61], v58, off
	v_dual_mov_b32 v62, s5 :: v_dual_add_nc_u32 v59, -1, v59
	v_add_nc_u32_e32 v58, 8, v58
	s_add_i32 s5, s5, 8
	ds_load_b64 v[62:63], v62
	v_cmp_eq_u32_e32 vcc_lo, 0, v59
	s_or_b32 s0, vcc_lo, s0
	s_waitcnt vmcnt(0) lgkmcnt(0)
	v_fma_f64 v[47:48], v[60:61], v[62:63], v[47:48]
	s_and_not1_b32 exec_lo, exec_lo, s0
	s_cbranch_execnz .LBB22_85
; %bb.86:
	s_or_b32 exec_lo, exec_lo, s0
.LBB22_87:
	s_delay_alu instid0(SALU_CYCLE_1)
	s_or_b32 exec_lo, exec_lo, s4
	v_mov_b32_e32 v58, 0
	ds_load_b64 v[58:59], v58 offset:104
	s_waitcnt lgkmcnt(0)
	v_mul_f64 v[47:48], v[47:48], v[58:59]
	scratch_store_b64 off, v[47:48], off offset:104
.LBB22_88:
	s_or_b32 exec_lo, exec_lo, s3
	scratch_load_b64 v[47:48], off, off offset:96
	v_cmp_lt_u32_e64 s0, 12, v0
	s_waitcnt vmcnt(0)
	ds_store_b64 v50, v[47:48]
	s_waitcnt lgkmcnt(0)
	s_waitcnt_vscnt null, 0x0
	s_barrier
	buffer_gl0_inv
	s_and_saveexec_b32 s3, s0
	s_cbranch_execz .LBB22_98
; %bb.89:
	s_and_not1_b32 vcc_lo, exec_lo, s2
	s_cbranch_vccnz .LBB22_91
; %bb.90:
	scratch_load_b64 v[47:48], v51, off
	ds_load_b64 v[58:59], v50
	s_waitcnt vmcnt(0) lgkmcnt(0)
	v_mul_f64 v[47:48], v[47:48], v[58:59]
	s_cbranch_execz .LBB22_92
	s_branch .LBB22_93
.LBB22_91:
                                        ; implicit-def: $vgpr47_vgpr48
.LBB22_92:
	ds_load_b64 v[47:48], v50
.LBB22_93:
	s_and_saveexec_b32 s4, s1
	s_cbranch_execz .LBB22_97
; %bb.94:
	v_dual_mov_b32 v58, 0 :: v_dual_add_nc_u32 v59, -13, v0
	s_movk_i32 s5, 0x128
	s_mov_b32 s1, 0
	s_delay_alu instid0(VALU_DEP_1)
	v_add_nc_u32_e32 v58, 0x68, v58
.LBB22_95:                              ; =>This Inner Loop Header: Depth=1
	scratch_load_b64 v[60:61], v58, off
	v_dual_mov_b32 v62, s5 :: v_dual_add_nc_u32 v59, -1, v59
	v_add_nc_u32_e32 v58, 8, v58
	s_add_i32 s5, s5, 8
	ds_load_b64 v[62:63], v62
	v_cmp_eq_u32_e32 vcc_lo, 0, v59
	s_or_b32 s1, vcc_lo, s1
	s_waitcnt vmcnt(0) lgkmcnt(0)
	v_fma_f64 v[47:48], v[60:61], v[62:63], v[47:48]
	s_and_not1_b32 exec_lo, exec_lo, s1
	s_cbranch_execnz .LBB22_95
; %bb.96:
	s_or_b32 exec_lo, exec_lo, s1
.LBB22_97:
	s_delay_alu instid0(SALU_CYCLE_1)
	s_or_b32 exec_lo, exec_lo, s4
	v_mov_b32_e32 v58, 0
	ds_load_b64 v[58:59], v58 offset:96
	s_waitcnt lgkmcnt(0)
	v_mul_f64 v[47:48], v[47:48], v[58:59]
	scratch_store_b64 off, v[47:48], off offset:96
.LBB22_98:
	s_or_b32 exec_lo, exec_lo, s3
	scratch_load_b64 v[47:48], off, off offset:88
	v_cmp_lt_u32_e64 s1, 11, v0
	s_waitcnt vmcnt(0)
	ds_store_b64 v50, v[47:48]
	s_waitcnt lgkmcnt(0)
	s_waitcnt_vscnt null, 0x0
	s_barrier
	buffer_gl0_inv
	s_and_saveexec_b32 s3, s1
	s_cbranch_execz .LBB22_108
; %bb.99:
	s_and_not1_b32 vcc_lo, exec_lo, s2
	s_cbranch_vccnz .LBB22_101
; %bb.100:
	scratch_load_b64 v[47:48], v51, off
	ds_load_b64 v[58:59], v50
	s_waitcnt vmcnt(0) lgkmcnt(0)
	v_mul_f64 v[47:48], v[47:48], v[58:59]
	s_cbranch_execz .LBB22_102
	s_branch .LBB22_103
.LBB22_101:
                                        ; implicit-def: $vgpr47_vgpr48
.LBB22_102:
	ds_load_b64 v[47:48], v50
.LBB22_103:
	s_and_saveexec_b32 s4, s0
	s_cbranch_execz .LBB22_107
; %bb.104:
	v_add_nc_u32_e32 v58, -12, v0
	s_movk_i32 s5, 0x120
	s_mov_b32 s0, 0
.LBB22_105:                             ; =>This Inner Loop Header: Depth=1
	scratch_load_b64 v[59:60], v57, off
	v_dual_mov_b32 v61, s5 :: v_dual_add_nc_u32 v58, -1, v58
	v_add_nc_u32_e32 v57, 8, v57
	s_add_i32 s5, s5, 8
	ds_load_b64 v[61:62], v61
	v_cmp_eq_u32_e32 vcc_lo, 0, v58
	s_or_b32 s0, vcc_lo, s0
	s_waitcnt vmcnt(0) lgkmcnt(0)
	v_fma_f64 v[47:48], v[59:60], v[61:62], v[47:48]
	s_and_not1_b32 exec_lo, exec_lo, s0
	s_cbranch_execnz .LBB22_105
; %bb.106:
	s_or_b32 exec_lo, exec_lo, s0
.LBB22_107:
	s_delay_alu instid0(SALU_CYCLE_1)
	s_or_b32 exec_lo, exec_lo, s4
	v_mov_b32_e32 v57, 0
	ds_load_b64 v[57:58], v57 offset:88
	s_waitcnt lgkmcnt(0)
	v_mul_f64 v[47:48], v[47:48], v[57:58]
	scratch_store_b64 off, v[47:48], off offset:88
.LBB22_108:
	s_or_b32 exec_lo, exec_lo, s3
	scratch_load_b64 v[47:48], off, off offset:80
	v_cmp_lt_u32_e64 s0, 10, v0
	s_waitcnt vmcnt(0)
	ds_store_b64 v50, v[47:48]
	s_waitcnt lgkmcnt(0)
	s_waitcnt_vscnt null, 0x0
	s_barrier
	buffer_gl0_inv
	s_and_saveexec_b32 s3, s0
	s_cbranch_execz .LBB22_118
; %bb.109:
	s_and_not1_b32 vcc_lo, exec_lo, s2
	s_cbranch_vccnz .LBB22_111
; %bb.110:
	scratch_load_b64 v[47:48], v51, off
	ds_load_b64 v[57:58], v50
	s_waitcnt vmcnt(0) lgkmcnt(0)
	v_mul_f64 v[47:48], v[47:48], v[57:58]
	s_cbranch_execz .LBB22_112
	s_branch .LBB22_113
.LBB22_111:
                                        ; implicit-def: $vgpr47_vgpr48
.LBB22_112:
	ds_load_b64 v[47:48], v50
.LBB22_113:
	s_and_saveexec_b32 s4, s1
	s_cbranch_execz .LBB22_117
; %bb.114:
	v_dual_mov_b32 v57, 0 :: v_dual_add_nc_u32 v58, -11, v0
	s_movk_i32 s5, 0x118
	s_mov_b32 s1, 0
	s_delay_alu instid0(VALU_DEP_1)
	v_add_nc_u32_e32 v57, 0x58, v57
.LBB22_115:                             ; =>This Inner Loop Header: Depth=1
	scratch_load_b64 v[59:60], v57, off
	v_dual_mov_b32 v61, s5 :: v_dual_add_nc_u32 v58, -1, v58
	v_add_nc_u32_e32 v57, 8, v57
	s_add_i32 s5, s5, 8
	ds_load_b64 v[61:62], v61
	v_cmp_eq_u32_e32 vcc_lo, 0, v58
	s_or_b32 s1, vcc_lo, s1
	s_waitcnt vmcnt(0) lgkmcnt(0)
	v_fma_f64 v[47:48], v[59:60], v[61:62], v[47:48]
	s_and_not1_b32 exec_lo, exec_lo, s1
	s_cbranch_execnz .LBB22_115
; %bb.116:
	s_or_b32 exec_lo, exec_lo, s1
.LBB22_117:
	s_delay_alu instid0(SALU_CYCLE_1)
	s_or_b32 exec_lo, exec_lo, s4
	v_mov_b32_e32 v57, 0
	ds_load_b64 v[57:58], v57 offset:80
	s_waitcnt lgkmcnt(0)
	v_mul_f64 v[47:48], v[47:48], v[57:58]
	scratch_store_b64 off, v[47:48], off offset:80
.LBB22_118:
	s_or_b32 exec_lo, exec_lo, s3
	scratch_load_b64 v[47:48], off, off offset:72
	v_cmp_lt_u32_e64 s1, 9, v0
	s_waitcnt vmcnt(0)
	ds_store_b64 v50, v[47:48]
	s_waitcnt lgkmcnt(0)
	s_waitcnt_vscnt null, 0x0
	s_barrier
	buffer_gl0_inv
	s_and_saveexec_b32 s3, s1
	s_cbranch_execz .LBB22_128
; %bb.119:
	s_and_not1_b32 vcc_lo, exec_lo, s2
	s_cbranch_vccnz .LBB22_121
; %bb.120:
	scratch_load_b64 v[47:48], v51, off
	ds_load_b64 v[57:58], v50
	s_waitcnt vmcnt(0) lgkmcnt(0)
	v_mul_f64 v[47:48], v[47:48], v[57:58]
	s_cbranch_execz .LBB22_122
	s_branch .LBB22_123
.LBB22_121:
                                        ; implicit-def: $vgpr47_vgpr48
.LBB22_122:
	ds_load_b64 v[47:48], v50
.LBB22_123:
	s_and_saveexec_b32 s4, s0
	s_cbranch_execz .LBB22_127
; %bb.124:
	v_add_nc_u32_e32 v57, -10, v0
	s_movk_i32 s5, 0x110
	s_mov_b32 s0, 0
.LBB22_125:                             ; =>This Inner Loop Header: Depth=1
	scratch_load_b64 v[58:59], v56, off
	v_dual_mov_b32 v60, s5 :: v_dual_add_nc_u32 v57, -1, v57
	v_add_nc_u32_e32 v56, 8, v56
	s_add_i32 s5, s5, 8
	ds_load_b64 v[60:61], v60
	v_cmp_eq_u32_e32 vcc_lo, 0, v57
	s_or_b32 s0, vcc_lo, s0
	s_waitcnt vmcnt(0) lgkmcnt(0)
	v_fma_f64 v[47:48], v[58:59], v[60:61], v[47:48]
	s_and_not1_b32 exec_lo, exec_lo, s0
	s_cbranch_execnz .LBB22_125
; %bb.126:
	s_or_b32 exec_lo, exec_lo, s0
.LBB22_127:
	s_delay_alu instid0(SALU_CYCLE_1)
	s_or_b32 exec_lo, exec_lo, s4
	v_mov_b32_e32 v56, 0
	ds_load_b64 v[56:57], v56 offset:72
	s_waitcnt lgkmcnt(0)
	v_mul_f64 v[47:48], v[47:48], v[56:57]
	scratch_store_b64 off, v[47:48], off offset:72
.LBB22_128:
	s_or_b32 exec_lo, exec_lo, s3
	scratch_load_b64 v[47:48], off, off offset:64
	v_cmp_lt_u32_e64 s0, 8, v0
	s_waitcnt vmcnt(0)
	ds_store_b64 v50, v[47:48]
	s_waitcnt lgkmcnt(0)
	s_waitcnt_vscnt null, 0x0
	s_barrier
	buffer_gl0_inv
	s_and_saveexec_b32 s3, s0
	s_cbranch_execz .LBB22_138
; %bb.129:
	s_and_not1_b32 vcc_lo, exec_lo, s2
	s_cbranch_vccnz .LBB22_131
; %bb.130:
	scratch_load_b64 v[47:48], v51, off
	ds_load_b64 v[56:57], v50
	s_waitcnt vmcnt(0) lgkmcnt(0)
	v_mul_f64 v[47:48], v[47:48], v[56:57]
	s_cbranch_execz .LBB22_132
	s_branch .LBB22_133
.LBB22_131:
                                        ; implicit-def: $vgpr47_vgpr48
.LBB22_132:
	ds_load_b64 v[47:48], v50
.LBB22_133:
	s_and_saveexec_b32 s4, s1
	s_cbranch_execz .LBB22_137
; %bb.134:
	v_dual_mov_b32 v56, 0 :: v_dual_add_nc_u32 v57, -9, v0
	s_movk_i32 s5, 0x108
	s_mov_b32 s1, 0
	s_delay_alu instid0(VALU_DEP_1)
	v_add_nc_u32_e32 v56, 0x48, v56
.LBB22_135:                             ; =>This Inner Loop Header: Depth=1
	scratch_load_b64 v[58:59], v56, off
	v_dual_mov_b32 v60, s5 :: v_dual_add_nc_u32 v57, -1, v57
	v_add_nc_u32_e32 v56, 8, v56
	s_add_i32 s5, s5, 8
	ds_load_b64 v[60:61], v60
	v_cmp_eq_u32_e32 vcc_lo, 0, v57
	s_or_b32 s1, vcc_lo, s1
	s_waitcnt vmcnt(0) lgkmcnt(0)
	v_fma_f64 v[47:48], v[58:59], v[60:61], v[47:48]
	s_and_not1_b32 exec_lo, exec_lo, s1
	s_cbranch_execnz .LBB22_135
; %bb.136:
	s_or_b32 exec_lo, exec_lo, s1
.LBB22_137:
	s_delay_alu instid0(SALU_CYCLE_1)
	s_or_b32 exec_lo, exec_lo, s4
	v_mov_b32_e32 v56, 0
	ds_load_b64 v[56:57], v56 offset:64
	s_waitcnt lgkmcnt(0)
	v_mul_f64 v[47:48], v[47:48], v[56:57]
	scratch_store_b64 off, v[47:48], off offset:64
.LBB22_138:
	s_or_b32 exec_lo, exec_lo, s3
	scratch_load_b64 v[47:48], off, off offset:56
	v_cmp_lt_u32_e64 s1, 7, v0
	s_waitcnt vmcnt(0)
	ds_store_b64 v50, v[47:48]
	s_waitcnt lgkmcnt(0)
	s_waitcnt_vscnt null, 0x0
	s_barrier
	buffer_gl0_inv
	s_and_saveexec_b32 s3, s1
	s_cbranch_execz .LBB22_148
; %bb.139:
	s_and_not1_b32 vcc_lo, exec_lo, s2
	s_cbranch_vccnz .LBB22_141
; %bb.140:
	scratch_load_b64 v[47:48], v51, off
	ds_load_b64 v[56:57], v50
	s_waitcnt vmcnt(0) lgkmcnt(0)
	v_mul_f64 v[47:48], v[47:48], v[56:57]
	s_cbranch_execz .LBB22_142
	s_branch .LBB22_143
.LBB22_141:
                                        ; implicit-def: $vgpr47_vgpr48
.LBB22_142:
	ds_load_b64 v[47:48], v50
.LBB22_143:
	s_and_saveexec_b32 s4, s0
	s_cbranch_execz .LBB22_147
; %bb.144:
	v_add_nc_u32_e32 v56, -8, v0
	s_movk_i32 s5, 0x100
	s_mov_b32 s0, 0
.LBB22_145:                             ; =>This Inner Loop Header: Depth=1
	scratch_load_b64 v[57:58], v55, off
	v_dual_mov_b32 v59, s5 :: v_dual_add_nc_u32 v56, -1, v56
	v_add_nc_u32_e32 v55, 8, v55
	s_add_i32 s5, s5, 8
	ds_load_b64 v[59:60], v59
	v_cmp_eq_u32_e32 vcc_lo, 0, v56
	s_or_b32 s0, vcc_lo, s0
	s_waitcnt vmcnt(0) lgkmcnt(0)
	v_fma_f64 v[47:48], v[57:58], v[59:60], v[47:48]
	s_and_not1_b32 exec_lo, exec_lo, s0
	s_cbranch_execnz .LBB22_145
; %bb.146:
	s_or_b32 exec_lo, exec_lo, s0
.LBB22_147:
	s_delay_alu instid0(SALU_CYCLE_1)
	s_or_b32 exec_lo, exec_lo, s4
	v_mov_b32_e32 v55, 0
	ds_load_b64 v[55:56], v55 offset:56
	s_waitcnt lgkmcnt(0)
	v_mul_f64 v[47:48], v[47:48], v[55:56]
	scratch_store_b64 off, v[47:48], off offset:56
.LBB22_148:
	s_or_b32 exec_lo, exec_lo, s3
	scratch_load_b64 v[47:48], off, off offset:48
	v_cmp_lt_u32_e64 s0, 6, v0
	s_waitcnt vmcnt(0)
	ds_store_b64 v50, v[47:48]
	s_waitcnt lgkmcnt(0)
	s_waitcnt_vscnt null, 0x0
	s_barrier
	buffer_gl0_inv
	s_and_saveexec_b32 s3, s0
	s_cbranch_execz .LBB22_158
; %bb.149:
	s_and_not1_b32 vcc_lo, exec_lo, s2
	s_cbranch_vccnz .LBB22_151
; %bb.150:
	scratch_load_b64 v[47:48], v51, off
	ds_load_b64 v[55:56], v50
	s_waitcnt vmcnt(0) lgkmcnt(0)
	v_mul_f64 v[47:48], v[47:48], v[55:56]
	s_cbranch_execz .LBB22_152
	s_branch .LBB22_153
.LBB22_151:
                                        ; implicit-def: $vgpr47_vgpr48
.LBB22_152:
	ds_load_b64 v[47:48], v50
.LBB22_153:
	s_and_saveexec_b32 s4, s1
	s_cbranch_execz .LBB22_157
; %bb.154:
	v_add_nc_u32_e64 v55, 0, 56
	v_add_nc_u32_e32 v56, -7, v0
	s_movk_i32 s5, 0xf8
	s_mov_b32 s1, 0
.LBB22_155:                             ; =>This Inner Loop Header: Depth=1
	scratch_load_b64 v[57:58], v55, off
	v_dual_mov_b32 v59, s5 :: v_dual_add_nc_u32 v56, -1, v56
	v_add_nc_u32_e32 v55, 8, v55
	s_add_i32 s5, s5, 8
	ds_load_b64 v[59:60], v59
	v_cmp_eq_u32_e32 vcc_lo, 0, v56
	s_or_b32 s1, vcc_lo, s1
	s_waitcnt vmcnt(0) lgkmcnt(0)
	v_fma_f64 v[47:48], v[57:58], v[59:60], v[47:48]
	s_and_not1_b32 exec_lo, exec_lo, s1
	s_cbranch_execnz .LBB22_155
; %bb.156:
	s_or_b32 exec_lo, exec_lo, s1
.LBB22_157:
	s_delay_alu instid0(SALU_CYCLE_1)
	s_or_b32 exec_lo, exec_lo, s4
	v_mov_b32_e32 v55, 0
	ds_load_b64 v[55:56], v55 offset:48
	s_waitcnt lgkmcnt(0)
	v_mul_f64 v[47:48], v[47:48], v[55:56]
	scratch_store_b64 off, v[47:48], off offset:48
.LBB22_158:
	s_or_b32 exec_lo, exec_lo, s3
	scratch_load_b64 v[47:48], off, off offset:40
	v_cmp_lt_u32_e64 s1, 5, v0
	s_waitcnt vmcnt(0)
	ds_store_b64 v50, v[47:48]
	s_waitcnt lgkmcnt(0)
	s_waitcnt_vscnt null, 0x0
	s_barrier
	buffer_gl0_inv
	s_and_saveexec_b32 s3, s1
	s_cbranch_execz .LBB22_168
; %bb.159:
	s_and_not1_b32 vcc_lo, exec_lo, s2
	s_cbranch_vccnz .LBB22_161
; %bb.160:
	scratch_load_b64 v[47:48], v51, off
	ds_load_b64 v[55:56], v50
	s_waitcnt vmcnt(0) lgkmcnt(0)
	v_mul_f64 v[47:48], v[47:48], v[55:56]
	s_cbranch_execz .LBB22_162
	s_branch .LBB22_163
.LBB22_161:
                                        ; implicit-def: $vgpr47_vgpr48
.LBB22_162:
	ds_load_b64 v[47:48], v50
.LBB22_163:
	s_and_saveexec_b32 s4, s0
	s_cbranch_execz .LBB22_167
; %bb.164:
	v_add_nc_u32_e32 v55, -6, v0
	s_movk_i32 s5, 0xf0
	s_mov_b32 s0, 0
.LBB22_165:                             ; =>This Inner Loop Header: Depth=1
	scratch_load_b64 v[56:57], v54, off
	v_dual_mov_b32 v58, s5 :: v_dual_add_nc_u32 v55, -1, v55
	v_add_nc_u32_e32 v54, 8, v54
	s_add_i32 s5, s5, 8
	ds_load_b64 v[58:59], v58
	v_cmp_eq_u32_e32 vcc_lo, 0, v55
	s_or_b32 s0, vcc_lo, s0
	s_waitcnt vmcnt(0) lgkmcnt(0)
	v_fma_f64 v[47:48], v[56:57], v[58:59], v[47:48]
	s_and_not1_b32 exec_lo, exec_lo, s0
	s_cbranch_execnz .LBB22_165
; %bb.166:
	s_or_b32 exec_lo, exec_lo, s0
.LBB22_167:
	s_delay_alu instid0(SALU_CYCLE_1)
	s_or_b32 exec_lo, exec_lo, s4
	v_mov_b32_e32 v54, 0
	ds_load_b64 v[54:55], v54 offset:40
	s_waitcnt lgkmcnt(0)
	v_mul_f64 v[47:48], v[47:48], v[54:55]
	scratch_store_b64 off, v[47:48], off offset:40
.LBB22_168:
	s_or_b32 exec_lo, exec_lo, s3
	scratch_load_b64 v[47:48], off, off offset:32
	v_cmp_lt_u32_e64 s0, 4, v0
	s_waitcnt vmcnt(0)
	ds_store_b64 v50, v[47:48]
	s_waitcnt lgkmcnt(0)
	s_waitcnt_vscnt null, 0x0
	s_barrier
	buffer_gl0_inv
	s_and_saveexec_b32 s3, s0
	s_cbranch_execz .LBB22_178
; %bb.169:
	s_and_not1_b32 vcc_lo, exec_lo, s2
	s_cbranch_vccnz .LBB22_171
; %bb.170:
	scratch_load_b64 v[47:48], v51, off
	ds_load_b64 v[54:55], v50
	s_waitcnt vmcnt(0) lgkmcnt(0)
	v_mul_f64 v[47:48], v[47:48], v[54:55]
	s_cbranch_execz .LBB22_172
	s_branch .LBB22_173
.LBB22_171:
                                        ; implicit-def: $vgpr47_vgpr48
.LBB22_172:
	ds_load_b64 v[47:48], v50
.LBB22_173:
	s_and_saveexec_b32 s4, s1
	s_cbranch_execz .LBB22_177
; %bb.174:
	v_add_nc_u32_e64 v54, 0, 40
	v_add_nc_u32_e32 v55, -5, v0
	s_movk_i32 s5, 0xe8
	s_mov_b32 s1, 0
.LBB22_175:                             ; =>This Inner Loop Header: Depth=1
	scratch_load_b64 v[56:57], v54, off
	v_dual_mov_b32 v58, s5 :: v_dual_add_nc_u32 v55, -1, v55
	v_add_nc_u32_e32 v54, 8, v54
	s_add_i32 s5, s5, 8
	ds_load_b64 v[58:59], v58
	v_cmp_eq_u32_e32 vcc_lo, 0, v55
	s_or_b32 s1, vcc_lo, s1
	s_waitcnt vmcnt(0) lgkmcnt(0)
	v_fma_f64 v[47:48], v[56:57], v[58:59], v[47:48]
	s_and_not1_b32 exec_lo, exec_lo, s1
	s_cbranch_execnz .LBB22_175
; %bb.176:
	s_or_b32 exec_lo, exec_lo, s1
.LBB22_177:
	s_delay_alu instid0(SALU_CYCLE_1)
	s_or_b32 exec_lo, exec_lo, s4
	v_mov_b32_e32 v54, 0
	ds_load_b64 v[54:55], v54 offset:32
	s_waitcnt lgkmcnt(0)
	v_mul_f64 v[47:48], v[47:48], v[54:55]
	scratch_store_b64 off, v[47:48], off offset:32
.LBB22_178:
	s_or_b32 exec_lo, exec_lo, s3
	scratch_load_b64 v[47:48], off, off offset:24
	v_cmp_lt_u32_e64 s1, 3, v0
	s_waitcnt vmcnt(0)
	ds_store_b64 v50, v[47:48]
	s_waitcnt lgkmcnt(0)
	s_waitcnt_vscnt null, 0x0
	s_barrier
	buffer_gl0_inv
	s_and_saveexec_b32 s3, s1
	s_cbranch_execz .LBB22_188
; %bb.179:
	s_and_not1_b32 vcc_lo, exec_lo, s2
	s_cbranch_vccnz .LBB22_181
; %bb.180:
	scratch_load_b64 v[47:48], v51, off
	ds_load_b64 v[54:55], v50
	s_waitcnt vmcnt(0) lgkmcnt(0)
	v_mul_f64 v[47:48], v[47:48], v[54:55]
	s_cbranch_execz .LBB22_182
	s_branch .LBB22_183
.LBB22_181:
                                        ; implicit-def: $vgpr47_vgpr48
.LBB22_182:
	ds_load_b64 v[47:48], v50
.LBB22_183:
	s_and_saveexec_b32 s4, s0
	s_cbranch_execz .LBB22_187
; %bb.184:
	v_add_nc_u32_e32 v54, -4, v0
	s_movk_i32 s5, 0xe0
	s_mov_b32 s0, 0
.LBB22_185:                             ; =>This Inner Loop Header: Depth=1
	scratch_load_b64 v[55:56], v53, off
	v_dual_mov_b32 v57, s5 :: v_dual_add_nc_u32 v54, -1, v54
	v_add_nc_u32_e32 v53, 8, v53
	s_add_i32 s5, s5, 8
	ds_load_b64 v[57:58], v57
	v_cmp_eq_u32_e32 vcc_lo, 0, v54
	s_or_b32 s0, vcc_lo, s0
	s_waitcnt vmcnt(0) lgkmcnt(0)
	v_fma_f64 v[47:48], v[55:56], v[57:58], v[47:48]
	s_and_not1_b32 exec_lo, exec_lo, s0
	s_cbranch_execnz .LBB22_185
; %bb.186:
	s_or_b32 exec_lo, exec_lo, s0
.LBB22_187:
	s_delay_alu instid0(SALU_CYCLE_1)
	s_or_b32 exec_lo, exec_lo, s4
	v_mov_b32_e32 v53, 0
	ds_load_b64 v[53:54], v53 offset:24
	s_waitcnt lgkmcnt(0)
	v_mul_f64 v[47:48], v[47:48], v[53:54]
	scratch_store_b64 off, v[47:48], off offset:24
.LBB22_188:
	s_or_b32 exec_lo, exec_lo, s3
	scratch_load_b64 v[47:48], off, off offset:16
	v_cmp_lt_u32_e64 s0, 2, v0
	s_waitcnt vmcnt(0)
	ds_store_b64 v50, v[47:48]
	s_waitcnt lgkmcnt(0)
	s_waitcnt_vscnt null, 0x0
	s_barrier
	buffer_gl0_inv
	s_and_saveexec_b32 s3, s0
	s_cbranch_execz .LBB22_198
; %bb.189:
	s_and_not1_b32 vcc_lo, exec_lo, s2
	s_cbranch_vccnz .LBB22_191
; %bb.190:
	scratch_load_b64 v[47:48], v51, off
	ds_load_b64 v[53:54], v50
	s_waitcnt vmcnt(0) lgkmcnt(0)
	v_mul_f64 v[47:48], v[47:48], v[53:54]
	s_cbranch_execz .LBB22_192
	s_branch .LBB22_193
.LBB22_191:
                                        ; implicit-def: $vgpr47_vgpr48
.LBB22_192:
	ds_load_b64 v[47:48], v50
.LBB22_193:
	s_and_saveexec_b32 s4, s1
	s_cbranch_execz .LBB22_197
; %bb.194:
	v_add_nc_u32_e64 v53, 0, 24
	v_add_nc_u32_e32 v54, -3, v0
	s_movk_i32 s5, 0xd8
	s_mov_b32 s1, 0
.LBB22_195:                             ; =>This Inner Loop Header: Depth=1
	scratch_load_b64 v[55:56], v53, off
	v_dual_mov_b32 v57, s5 :: v_dual_add_nc_u32 v54, -1, v54
	v_add_nc_u32_e32 v53, 8, v53
	s_add_i32 s5, s5, 8
	ds_load_b64 v[57:58], v57
	v_cmp_eq_u32_e32 vcc_lo, 0, v54
	s_or_b32 s1, vcc_lo, s1
	s_waitcnt vmcnt(0) lgkmcnt(0)
	v_fma_f64 v[47:48], v[55:56], v[57:58], v[47:48]
	s_and_not1_b32 exec_lo, exec_lo, s1
	s_cbranch_execnz .LBB22_195
; %bb.196:
	s_or_b32 exec_lo, exec_lo, s1
.LBB22_197:
	s_delay_alu instid0(SALU_CYCLE_1)
	s_or_b32 exec_lo, exec_lo, s4
	v_mov_b32_e32 v53, 0
	ds_load_b64 v[53:54], v53 offset:16
	s_waitcnt lgkmcnt(0)
	v_mul_f64 v[47:48], v[47:48], v[53:54]
	scratch_store_b64 off, v[47:48], off offset:16
.LBB22_198:
	s_or_b32 exec_lo, exec_lo, s3
	scratch_load_b64 v[47:48], off, off offset:8
	v_cmp_lt_u32_e64 s1, 1, v0
	s_waitcnt vmcnt(0)
	ds_store_b64 v50, v[47:48]
	s_waitcnt lgkmcnt(0)
	s_waitcnt_vscnt null, 0x0
	s_barrier
	buffer_gl0_inv
	s_and_saveexec_b32 s3, s1
	s_cbranch_execz .LBB22_208
; %bb.199:
	s_and_not1_b32 vcc_lo, exec_lo, s2
	s_cbranch_vccnz .LBB22_201
; %bb.200:
	scratch_load_b64 v[47:48], v51, off
	ds_load_b64 v[53:54], v50
	s_waitcnt vmcnt(0) lgkmcnt(0)
	v_mul_f64 v[47:48], v[47:48], v[53:54]
	s_cbranch_execz .LBB22_202
	s_branch .LBB22_203
.LBB22_201:
                                        ; implicit-def: $vgpr47_vgpr48
.LBB22_202:
	ds_load_b64 v[47:48], v50
.LBB22_203:
	s_and_saveexec_b32 s4, s0
	s_cbranch_execz .LBB22_207
; %bb.204:
	v_add_nc_u32_e32 v53, -2, v0
	s_movk_i32 s5, 0xd0
	s_mov_b32 s0, 0
.LBB22_205:                             ; =>This Inner Loop Header: Depth=1
	scratch_load_b64 v[54:55], v52, off
	v_dual_mov_b32 v56, s5 :: v_dual_add_nc_u32 v53, -1, v53
	v_add_nc_u32_e32 v52, 8, v52
	s_add_i32 s5, s5, 8
	ds_load_b64 v[56:57], v56
	v_cmp_eq_u32_e32 vcc_lo, 0, v53
	s_or_b32 s0, vcc_lo, s0
	s_waitcnt vmcnt(0) lgkmcnt(0)
	v_fma_f64 v[47:48], v[54:55], v[56:57], v[47:48]
	s_and_not1_b32 exec_lo, exec_lo, s0
	s_cbranch_execnz .LBB22_205
; %bb.206:
	s_or_b32 exec_lo, exec_lo, s0
.LBB22_207:
	s_delay_alu instid0(SALU_CYCLE_1)
	s_or_b32 exec_lo, exec_lo, s4
	v_mov_b32_e32 v52, 0
	ds_load_b64 v[52:53], v52 offset:8
	s_waitcnt lgkmcnt(0)
	v_mul_f64 v[47:48], v[47:48], v[52:53]
	scratch_store_b64 off, v[47:48], off offset:8
.LBB22_208:
	s_or_b32 exec_lo, exec_lo, s3
	scratch_load_b64 v[47:48], off, off
	s_mov_b32 s0, 0
	s_mov_b32 s3, exec_lo
	s_waitcnt vmcnt(0)
	ds_store_b64 v50, v[47:48]
	s_waitcnt lgkmcnt(0)
	s_waitcnt_vscnt null, 0x0
	s_barrier
	buffer_gl0_inv
	v_cmpx_ne_u32_e32 0, v0
	s_cbranch_execz .LBB22_218
; %bb.209:
	s_and_not1_b32 vcc_lo, exec_lo, s2
	s_cbranch_vccnz .LBB22_211
; %bb.210:
	scratch_load_b64 v[47:48], v51, off
	ds_load_b64 v[52:53], v50
	s_waitcnt vmcnt(0) lgkmcnt(0)
	v_mul_f64 v[47:48], v[47:48], v[52:53]
	s_cbranch_execz .LBB22_212
	s_branch .LBB22_213
.LBB22_211:
                                        ; implicit-def: $vgpr47_vgpr48
.LBB22_212:
	ds_load_b64 v[47:48], v50
.LBB22_213:
	s_and_saveexec_b32 s4, s1
	s_cbranch_execz .LBB22_217
; %bb.214:
	v_or_b32_e64 v52, 0, 8
	v_add_nc_u32_e32 v53, -1, v0
	s_movk_i32 s5, 0xc8
	s_mov_b32 s1, 0
.LBB22_215:                             ; =>This Inner Loop Header: Depth=1
	scratch_load_b64 v[54:55], v52, off
	v_dual_mov_b32 v56, s5 :: v_dual_add_nc_u32 v53, -1, v53
	v_add_nc_u32_e32 v52, 8, v52
	s_add_i32 s5, s5, 8
	ds_load_b64 v[56:57], v56
	v_cmp_eq_u32_e32 vcc_lo, 0, v53
	s_or_b32 s1, vcc_lo, s1
	s_waitcnt vmcnt(0) lgkmcnt(0)
	v_fma_f64 v[47:48], v[54:55], v[56:57], v[47:48]
	s_and_not1_b32 exec_lo, exec_lo, s1
	s_cbranch_execnz .LBB22_215
; %bb.216:
	s_or_b32 exec_lo, exec_lo, s1
.LBB22_217:
	s_delay_alu instid0(SALU_CYCLE_1)
	s_or_b32 exec_lo, exec_lo, s4
	v_mov_b32_e32 v52, 0
	ds_load_b64 v[52:53], v52
	s_waitcnt lgkmcnt(0)
	v_mul_f64 v[47:48], v[47:48], v[52:53]
	scratch_store_b64 off, v[47:48], off
.LBB22_218:
	s_or_b32 exec_lo, exec_lo, s3
.LBB22_219:
	s_delay_alu instid0(SALU_CYCLE_1)
	s_and_b32 vcc_lo, exec_lo, s0
	s_cbranch_vccz .LBB22_435
; %bb.220:
	scratch_load_b64 v[47:48], off, off offset:8
	v_cmp_eq_u32_e64 s0, 0, v0
	s_waitcnt vmcnt(0)
	ds_store_b64 v50, v[47:48]
	s_waitcnt lgkmcnt(0)
	s_waitcnt_vscnt null, 0x0
	s_barrier
	buffer_gl0_inv
	s_and_saveexec_b32 s1, s0
	s_cbranch_execz .LBB22_226
; %bb.221:
	s_and_b32 vcc_lo, exec_lo, s2
	s_cbranch_vccz .LBB22_223
; %bb.222:
	scratch_load_b64 v[47:48], v51, off
	ds_load_b64 v[52:53], v50
	s_waitcnt vmcnt(0) lgkmcnt(0)
	v_mul_f64 v[47:48], v[47:48], v[52:53]
	s_cbranch_execz .LBB22_224
	s_branch .LBB22_225
.LBB22_223:
                                        ; implicit-def: $vgpr47_vgpr48
.LBB22_224:
	ds_load_b64 v[47:48], v50
.LBB22_225:
	v_mov_b32_e32 v52, 0
	ds_load_b64 v[52:53], v52 offset:8
	s_waitcnt lgkmcnt(0)
	v_mul_f64 v[47:48], v[47:48], v[52:53]
	scratch_store_b64 off, v[47:48], off offset:8
.LBB22_226:
	s_or_b32 exec_lo, exec_lo, s1
	scratch_load_b64 v[47:48], off, off offset:16
	v_cndmask_b32_e64 v52, 0, 1, s2
	s_mov_b32 s1, exec_lo
	s_waitcnt vmcnt(0)
	ds_store_b64 v50, v[47:48]
	s_waitcnt lgkmcnt(0)
	s_waitcnt_vscnt null, 0x0
	s_barrier
	buffer_gl0_inv
	v_cmpx_gt_u32_e32 2, v0
	s_cbranch_execz .LBB22_234
; %bb.227:
	s_and_not1_b32 vcc_lo, exec_lo, s2
	s_cbranch_vccnz .LBB22_229
; %bb.228:
	scratch_load_b64 v[47:48], v51, off
	ds_load_b64 v[53:54], v50
	s_waitcnt vmcnt(0) lgkmcnt(0)
	v_mul_f64 v[47:48], v[47:48], v[53:54]
	s_cbranch_execz .LBB22_230
	s_branch .LBB22_231
.LBB22_229:
                                        ; implicit-def: $vgpr47_vgpr48
.LBB22_230:
	ds_load_b64 v[47:48], v50
.LBB22_231:
	s_and_saveexec_b32 s2, s0
	s_cbranch_execz .LBB22_233
; %bb.232:
	scratch_load_b64 v[53:54], v51, off offset:8
	ds_load_b64 v[55:56], v50 offset:8
	s_waitcnt vmcnt(0) lgkmcnt(0)
	v_fma_f64 v[47:48], v[53:54], v[55:56], v[47:48]
.LBB22_233:
	s_or_b32 exec_lo, exec_lo, s2
	v_mov_b32_e32 v53, 0
	ds_load_b64 v[53:54], v53 offset:16
	s_waitcnt lgkmcnt(0)
	v_mul_f64 v[47:48], v[47:48], v[53:54]
	scratch_store_b64 off, v[47:48], off offset:16
.LBB22_234:
	s_or_b32 exec_lo, exec_lo, s1
	scratch_load_b64 v[47:48], off, off offset:24
	s_mov_b32 s1, exec_lo
	s_waitcnt vmcnt(0)
	ds_store_b64 v50, v[47:48]
	s_waitcnt lgkmcnt(0)
	s_waitcnt_vscnt null, 0x0
	s_barrier
	buffer_gl0_inv
	v_cmpx_gt_u32_e32 3, v0
	s_cbranch_execz .LBB22_244
; %bb.235:
	v_cmp_ne_u32_e32 vcc_lo, 1, v52
	s_cbranch_vccnz .LBB22_237
; %bb.236:
	scratch_load_b64 v[47:48], v51, off
	ds_load_b64 v[53:54], v50
	s_waitcnt vmcnt(0) lgkmcnt(0)
	v_mul_f64 v[47:48], v[47:48], v[53:54]
	s_cbranch_execz .LBB22_238
	s_branch .LBB22_239
.LBB22_237:
                                        ; implicit-def: $vgpr47_vgpr48
.LBB22_238:
	ds_load_b64 v[47:48], v50
.LBB22_239:
	s_mov_b32 s2, exec_lo
	v_cmpx_ne_u32_e32 2, v0
	s_cbranch_execz .LBB22_243
; %bb.240:
	scratch_load_b64 v[53:54], v51, off offset:8
	ds_load_b64 v[55:56], v50 offset:8
	s_waitcnt vmcnt(0) lgkmcnt(0)
	v_fma_f64 v[47:48], v[53:54], v[55:56], v[47:48]
	s_and_saveexec_b32 s3, s0
	s_cbranch_execz .LBB22_242
; %bb.241:
	scratch_load_b64 v[53:54], off, off offset:16
	v_mov_b32_e32 v55, 0
	ds_load_b64 v[55:56], v55 offset:208
	s_waitcnt vmcnt(0) lgkmcnt(0)
	v_fma_f64 v[47:48], v[53:54], v[55:56], v[47:48]
.LBB22_242:
	s_or_b32 exec_lo, exec_lo, s3
.LBB22_243:
	s_delay_alu instid0(SALU_CYCLE_1)
	s_or_b32 exec_lo, exec_lo, s2
	v_mov_b32_e32 v53, 0
	ds_load_b64 v[53:54], v53 offset:24
	s_waitcnt lgkmcnt(0)
	v_mul_f64 v[47:48], v[47:48], v[53:54]
	scratch_store_b64 off, v[47:48], off offset:24
.LBB22_244:
	s_or_b32 exec_lo, exec_lo, s1
	scratch_load_b64 v[47:48], off, off offset:32
	s_mov_b32 s0, exec_lo
	s_waitcnt vmcnt(0)
	ds_store_b64 v50, v[47:48]
	s_waitcnt lgkmcnt(0)
	s_waitcnt_vscnt null, 0x0
	s_barrier
	buffer_gl0_inv
	v_cmpx_gt_u32_e32 4, v0
	s_cbranch_execz .LBB22_254
; %bb.245:
	v_cmp_ne_u32_e32 vcc_lo, 1, v52
	s_cbranch_vccnz .LBB22_247
; %bb.246:
	scratch_load_b64 v[47:48], v51, off
	ds_load_b64 v[53:54], v50
	s_waitcnt vmcnt(0) lgkmcnt(0)
	v_mul_f64 v[47:48], v[47:48], v[53:54]
	s_cbranch_execz .LBB22_248
	s_branch .LBB22_249
.LBB22_247:
                                        ; implicit-def: $vgpr47_vgpr48
.LBB22_248:
	ds_load_b64 v[47:48], v50
.LBB22_249:
	s_mov_b32 s1, exec_lo
	v_cmpx_ne_u32_e32 3, v0
	s_cbranch_execz .LBB22_253
; %bb.250:
	v_add_nc_u32_e32 v53, 0xc8, v49
	v_add3_u32 v54, 0, v49, 8
	v_mov_b32_e32 v55, v0
	s_mov_b32 s2, 0
.LBB22_251:                             ; =>This Inner Loop Header: Depth=1
	scratch_load_b64 v[56:57], v54, off
	ds_load_b64 v[58:59], v53
	v_add_nc_u32_e32 v55, 1, v55
	v_add_nc_u32_e32 v53, 8, v53
	v_add_nc_u32_e32 v54, 8, v54
	s_delay_alu instid0(VALU_DEP_3)
	v_cmp_lt_u32_e32 vcc_lo, 2, v55
	s_or_b32 s2, vcc_lo, s2
	s_waitcnt vmcnt(0) lgkmcnt(0)
	v_fma_f64 v[47:48], v[56:57], v[58:59], v[47:48]
	s_and_not1_b32 exec_lo, exec_lo, s2
	s_cbranch_execnz .LBB22_251
; %bb.252:
	s_or_b32 exec_lo, exec_lo, s2
.LBB22_253:
	s_delay_alu instid0(SALU_CYCLE_1)
	s_or_b32 exec_lo, exec_lo, s1
	v_mov_b32_e32 v53, 0
	ds_load_b64 v[53:54], v53 offset:32
	s_waitcnt lgkmcnt(0)
	v_mul_f64 v[47:48], v[47:48], v[53:54]
	scratch_store_b64 off, v[47:48], off offset:32
.LBB22_254:
	s_or_b32 exec_lo, exec_lo, s0
	scratch_load_b64 v[47:48], off, off offset:40
	s_mov_b32 s0, exec_lo
	s_waitcnt vmcnt(0)
	ds_store_b64 v50, v[47:48]
	s_waitcnt lgkmcnt(0)
	s_waitcnt_vscnt null, 0x0
	s_barrier
	buffer_gl0_inv
	v_cmpx_gt_u32_e32 5, v0
	s_cbranch_execz .LBB22_264
; %bb.255:
	v_cmp_ne_u32_e32 vcc_lo, 1, v52
	s_cbranch_vccnz .LBB22_257
; %bb.256:
	scratch_load_b64 v[47:48], v51, off
	ds_load_b64 v[53:54], v50
	s_waitcnt vmcnt(0) lgkmcnt(0)
	v_mul_f64 v[47:48], v[47:48], v[53:54]
	s_cbranch_execz .LBB22_258
	s_branch .LBB22_259
.LBB22_257:
                                        ; implicit-def: $vgpr47_vgpr48
.LBB22_258:
	ds_load_b64 v[47:48], v50
.LBB22_259:
	s_mov_b32 s1, exec_lo
	v_cmpx_ne_u32_e32 4, v0
	s_cbranch_execz .LBB22_263
; %bb.260:
	v_add_nc_u32_e32 v53, 0xc8, v49
	v_add3_u32 v54, 0, v49, 8
	v_mov_b32_e32 v55, v0
	s_mov_b32 s2, 0
.LBB22_261:                             ; =>This Inner Loop Header: Depth=1
	scratch_load_b64 v[56:57], v54, off
	ds_load_b64 v[58:59], v53
	v_add_nc_u32_e32 v55, 1, v55
	v_add_nc_u32_e32 v53, 8, v53
	v_add_nc_u32_e32 v54, 8, v54
	s_delay_alu instid0(VALU_DEP_3)
	v_cmp_lt_u32_e32 vcc_lo, 3, v55
	s_or_b32 s2, vcc_lo, s2
	s_waitcnt vmcnt(0) lgkmcnt(0)
	v_fma_f64 v[47:48], v[56:57], v[58:59], v[47:48]
	s_and_not1_b32 exec_lo, exec_lo, s2
	s_cbranch_execnz .LBB22_261
; %bb.262:
	s_or_b32 exec_lo, exec_lo, s2
.LBB22_263:
	s_delay_alu instid0(SALU_CYCLE_1)
	s_or_b32 exec_lo, exec_lo, s1
	v_mov_b32_e32 v53, 0
	ds_load_b64 v[53:54], v53 offset:40
	s_waitcnt lgkmcnt(0)
	v_mul_f64 v[47:48], v[47:48], v[53:54]
	scratch_store_b64 off, v[47:48], off offset:40
.LBB22_264:
	;; [unrolled: 58-line block ×17, first 2 shown]
	s_or_b32 exec_lo, exec_lo, s0
	scratch_load_b64 v[47:48], off, off offset:168
	v_cmp_gt_u32_e64 s0, 21, v0
	s_waitcnt vmcnt(0)
	ds_store_b64 v50, v[47:48]
	s_waitcnt lgkmcnt(0)
	s_waitcnt_vscnt null, 0x0
	s_barrier
	buffer_gl0_inv
	s_and_saveexec_b32 s1, s0
	s_cbranch_execz .LBB22_424
; %bb.415:
	v_cmp_ne_u32_e32 vcc_lo, 1, v52
	s_cbranch_vccnz .LBB22_417
; %bb.416:
	scratch_load_b64 v[47:48], v51, off
	ds_load_b64 v[53:54], v50
	s_waitcnt vmcnt(0) lgkmcnt(0)
	v_mul_f64 v[47:48], v[47:48], v[53:54]
	s_cbranch_execz .LBB22_418
	s_branch .LBB22_419
.LBB22_417:
                                        ; implicit-def: $vgpr47_vgpr48
.LBB22_418:
	ds_load_b64 v[47:48], v50
.LBB22_419:
	s_mov_b32 s2, exec_lo
	v_cmpx_ne_u32_e32 20, v0
	s_cbranch_execz .LBB22_423
; %bb.420:
	v_add_nc_u32_e32 v53, 0xc8, v49
	v_add3_u32 v54, 0, v49, 8
	v_mov_b32_e32 v55, v0
	s_mov_b32 s3, 0
.LBB22_421:                             ; =>This Inner Loop Header: Depth=1
	scratch_load_b64 v[56:57], v54, off
	ds_load_b64 v[58:59], v53
	v_add_nc_u32_e32 v55, 1, v55
	v_add_nc_u32_e32 v53, 8, v53
	;; [unrolled: 1-line block ×3, first 2 shown]
	s_delay_alu instid0(VALU_DEP_3)
	v_cmp_lt_u32_e32 vcc_lo, 19, v55
	s_or_b32 s3, vcc_lo, s3
	s_waitcnt vmcnt(0) lgkmcnt(0)
	v_fma_f64 v[47:48], v[56:57], v[58:59], v[47:48]
	s_and_not1_b32 exec_lo, exec_lo, s3
	s_cbranch_execnz .LBB22_421
; %bb.422:
	s_or_b32 exec_lo, exec_lo, s3
.LBB22_423:
	s_delay_alu instid0(SALU_CYCLE_1)
	s_or_b32 exec_lo, exec_lo, s2
	v_mov_b32_e32 v53, 0
	ds_load_b64 v[53:54], v53 offset:168
	s_waitcnt lgkmcnt(0)
	v_mul_f64 v[47:48], v[47:48], v[53:54]
	scratch_store_b64 off, v[47:48], off offset:168
.LBB22_424:
	s_or_b32 exec_lo, exec_lo, s1
	scratch_load_b64 v[47:48], off, off offset:176
	s_mov_b32 s1, exec_lo
	s_waitcnt vmcnt(0)
	ds_store_b64 v50, v[47:48]
	s_waitcnt lgkmcnt(0)
	s_waitcnt_vscnt null, 0x0
	s_barrier
	buffer_gl0_inv
	v_cmpx_ne_u32_e32 22, v0
	s_cbranch_execz .LBB22_434
; %bb.425:
	v_cmp_ne_u32_e32 vcc_lo, 1, v52
	s_cbranch_vccnz .LBB22_427
; %bb.426:
	scratch_load_b64 v[47:48], v51, off
	ds_load_b64 v[51:52], v50
	s_waitcnt vmcnt(0) lgkmcnt(0)
	v_mul_f64 v[47:48], v[47:48], v[51:52]
	s_cbranch_execz .LBB22_428
	s_branch .LBB22_429
.LBB22_427:
                                        ; implicit-def: $vgpr47_vgpr48
.LBB22_428:
	ds_load_b64 v[47:48], v50
.LBB22_429:
	s_and_saveexec_b32 s2, s0
	s_cbranch_execz .LBB22_433
; %bb.430:
	v_add_nc_u32_e32 v50, 0xc8, v49
	v_add3_u32 v49, 0, v49, 8
	s_mov_b32 s0, 0
.LBB22_431:                             ; =>This Inner Loop Header: Depth=1
	scratch_load_b64 v[51:52], v49, off
	ds_load_b64 v[53:54], v50
	v_add_nc_u32_e32 v0, 1, v0
	v_add_nc_u32_e32 v50, 8, v50
	;; [unrolled: 1-line block ×3, first 2 shown]
	s_delay_alu instid0(VALU_DEP_3)
	v_cmp_lt_u32_e32 vcc_lo, 20, v0
	s_or_b32 s0, vcc_lo, s0
	s_waitcnt vmcnt(0) lgkmcnt(0)
	v_fma_f64 v[47:48], v[51:52], v[53:54], v[47:48]
	s_and_not1_b32 exec_lo, exec_lo, s0
	s_cbranch_execnz .LBB22_431
; %bb.432:
	s_or_b32 exec_lo, exec_lo, s0
.LBB22_433:
	s_delay_alu instid0(SALU_CYCLE_1)
	s_or_b32 exec_lo, exec_lo, s2
	v_mov_b32_e32 v0, 0
	ds_load_b64 v[49:50], v0 offset:176
	s_waitcnt lgkmcnt(0)
	v_mul_f64 v[47:48], v[47:48], v[49:50]
	scratch_store_b64 off, v[47:48], off offset:176
.LBB22_434:
	s_or_b32 exec_lo, exec_lo, s1
.LBB22_435:
	s_clause 0xb
	scratch_load_b128 v[47:50], off, off
	scratch_load_b128 v[51:54], off, off offset:16
	scratch_load_b128 v[55:58], off, off offset:32
	;; [unrolled: 1-line block ×10, first 2 shown]
	scratch_load_b64 v[91:92], off, off offset:176
	s_waitcnt vmcnt(11)
	s_clause 0x1
	global_store_b64 v[1:2], v[47:48], off
	global_store_b64 v[3:4], v[49:50], off
	s_waitcnt vmcnt(10)
	s_clause 0x1
	global_store_b64 v[5:6], v[51:52], off
	global_store_b64 v[7:8], v[53:54], off
	;; [unrolled: 4-line block ×11, first 2 shown]
	s_waitcnt vmcnt(0)
	global_store_b64 v[43:44], v[91:92], off
.LBB22_436:
	s_endpgm
	.section	.rodata,"a",@progbits
	.p2align	6, 0x0
	.amdhsa_kernel _ZN9rocsolver6v33100L18trti2_kernel_smallILi23EdPdEEv13rocblas_fill_17rocblas_diagonal_T1_iil
		.amdhsa_group_segment_fixed_size 376
		.amdhsa_private_segment_fixed_size 192
		.amdhsa_kernarg_size 32
		.amdhsa_user_sgpr_count 15
		.amdhsa_user_sgpr_dispatch_ptr 0
		.amdhsa_user_sgpr_queue_ptr 0
		.amdhsa_user_sgpr_kernarg_segment_ptr 1
		.amdhsa_user_sgpr_dispatch_id 0
		.amdhsa_user_sgpr_private_segment_size 0
		.amdhsa_wavefront_size32 1
		.amdhsa_uses_dynamic_stack 0
		.amdhsa_enable_private_segment 1
		.amdhsa_system_sgpr_workgroup_id_x 1
		.amdhsa_system_sgpr_workgroup_id_y 0
		.amdhsa_system_sgpr_workgroup_id_z 0
		.amdhsa_system_sgpr_workgroup_info 0
		.amdhsa_system_vgpr_workitem_id 0
		.amdhsa_next_free_vgpr 93
		.amdhsa_next_free_sgpr 16
		.amdhsa_reserve_vcc 1
		.amdhsa_float_round_mode_32 0
		.amdhsa_float_round_mode_16_64 0
		.amdhsa_float_denorm_mode_32 3
		.amdhsa_float_denorm_mode_16_64 3
		.amdhsa_dx10_clamp 1
		.amdhsa_ieee_mode 1
		.amdhsa_fp16_overflow 0
		.amdhsa_workgroup_processor_mode 1
		.amdhsa_memory_ordered 1
		.amdhsa_forward_progress 0
		.amdhsa_shared_vgpr_count 0
		.amdhsa_exception_fp_ieee_invalid_op 0
		.amdhsa_exception_fp_denorm_src 0
		.amdhsa_exception_fp_ieee_div_zero 0
		.amdhsa_exception_fp_ieee_overflow 0
		.amdhsa_exception_fp_ieee_underflow 0
		.amdhsa_exception_fp_ieee_inexact 0
		.amdhsa_exception_int_div_zero 0
	.end_amdhsa_kernel
	.section	.text._ZN9rocsolver6v33100L18trti2_kernel_smallILi23EdPdEEv13rocblas_fill_17rocblas_diagonal_T1_iil,"axG",@progbits,_ZN9rocsolver6v33100L18trti2_kernel_smallILi23EdPdEEv13rocblas_fill_17rocblas_diagonal_T1_iil,comdat
.Lfunc_end22:
	.size	_ZN9rocsolver6v33100L18trti2_kernel_smallILi23EdPdEEv13rocblas_fill_17rocblas_diagonal_T1_iil, .Lfunc_end22-_ZN9rocsolver6v33100L18trti2_kernel_smallILi23EdPdEEv13rocblas_fill_17rocblas_diagonal_T1_iil
                                        ; -- End function
	.section	.AMDGPU.csdata,"",@progbits
; Kernel info:
; codeLenInByte = 12216
; NumSgprs: 18
; NumVgprs: 93
; ScratchSize: 192
; MemoryBound: 0
; FloatMode: 240
; IeeeMode: 1
; LDSByteSize: 376 bytes/workgroup (compile time only)
; SGPRBlocks: 2
; VGPRBlocks: 11
; NumSGPRsForWavesPerEU: 18
; NumVGPRsForWavesPerEU: 93
; Occupancy: 16
; WaveLimiterHint : 0
; COMPUTE_PGM_RSRC2:SCRATCH_EN: 1
; COMPUTE_PGM_RSRC2:USER_SGPR: 15
; COMPUTE_PGM_RSRC2:TRAP_HANDLER: 0
; COMPUTE_PGM_RSRC2:TGID_X_EN: 1
; COMPUTE_PGM_RSRC2:TGID_Y_EN: 0
; COMPUTE_PGM_RSRC2:TGID_Z_EN: 0
; COMPUTE_PGM_RSRC2:TIDIG_COMP_CNT: 0
	.section	.text._ZN9rocsolver6v33100L18trti2_kernel_smallILi24EdPdEEv13rocblas_fill_17rocblas_diagonal_T1_iil,"axG",@progbits,_ZN9rocsolver6v33100L18trti2_kernel_smallILi24EdPdEEv13rocblas_fill_17rocblas_diagonal_T1_iil,comdat
	.globl	_ZN9rocsolver6v33100L18trti2_kernel_smallILi24EdPdEEv13rocblas_fill_17rocblas_diagonal_T1_iil ; -- Begin function _ZN9rocsolver6v33100L18trti2_kernel_smallILi24EdPdEEv13rocblas_fill_17rocblas_diagonal_T1_iil
	.p2align	8
	.type	_ZN9rocsolver6v33100L18trti2_kernel_smallILi24EdPdEEv13rocblas_fill_17rocblas_diagonal_T1_iil,@function
_ZN9rocsolver6v33100L18trti2_kernel_smallILi24EdPdEEv13rocblas_fill_17rocblas_diagonal_T1_iil: ; @_ZN9rocsolver6v33100L18trti2_kernel_smallILi24EdPdEEv13rocblas_fill_17rocblas_diagonal_T1_iil
; %bb.0:
	s_mov_b32 s2, exec_lo
	v_cmpx_gt_u32_e32 24, v0
	s_cbranch_execz .LBB23_456
; %bb.1:
	s_load_b256 s[0:7], s[0:1], 0x0
	s_ashr_i32 s10, s15, 31
	v_lshlrev_b32_e32 v51, 3, v0
	s_waitcnt lgkmcnt(0)
	v_add3_u32 v1, s5, s5, v0
	s_ashr_i32 s9, s4, 31
	s_mov_b32 s8, s4
	s_mul_i32 s4, s15, s7
	s_mul_hi_u32 s7, s15, s6
	v_add_nc_u32_e32 v9, s5, v1
	s_mul_i32 s11, s10, s6
	s_add_i32 s4, s7, s4
	s_mul_i32 s6, s15, s6
	s_add_i32 s7, s4, s11
	v_ashrrev_i32_e32 v10, 31, v9
	v_ashrrev_i32_e32 v2, 31, v1
	s_lshl_b64 s[6:7], s[6:7], 3
	s_mov_b32 s10, s5
	s_add_u32 s4, s2, s6
	v_lshlrev_b64 v[3:4], 3, v[9:10]
	v_add_nc_u32_e32 v9, s5, v9
	s_addc_u32 s6, s3, s7
	s_lshl_b64 s[2:3], s[8:9], 3
	v_lshlrev_b64 v[1:2], 3, v[1:2]
	s_add_u32 s2, s4, s2
	v_add_nc_u32_e32 v11, s5, v9
	s_addc_u32 s3, s6, s3
	v_add_co_u32 v7, s4, s2, v51
	v_ashrrev_i32_e32 v10, 31, v9
	s_delay_alu instid0(VALU_DEP_3) | instskip(SKIP_3) | instid1(VALU_DEP_3)
	v_add_nc_u32_e32 v13, s5, v11
	s_ashr_i32 s11, s5, 31
	v_add_co_ci_u32_e64 v8, null, s3, 0, s4
	v_add_co_u32 v1, vcc_lo, s2, v1
	v_add_nc_u32_e32 v15, s5, v13
	s_lshl_b64 s[6:7], s[10:11], 3
	v_ashrrev_i32_e32 v12, 31, v11
	v_add_co_ci_u32_e32 v2, vcc_lo, s3, v2, vcc_lo
	s_delay_alu instid0(VALU_DEP_3) | instskip(SKIP_3) | instid1(VALU_DEP_4)
	v_add_nc_u32_e32 v17, s5, v15
	v_add_co_u32 v5, vcc_lo, v7, s6
	v_lshlrev_b64 v[9:10], 3, v[9:10]
	v_ashrrev_i32_e32 v14, 31, v13
	v_add_nc_u32_e32 v19, s5, v17
	v_add_co_ci_u32_e32 v6, vcc_lo, s7, v8, vcc_lo
	v_add_co_u32 v3, vcc_lo, s2, v3
	s_delay_alu instid0(VALU_DEP_3) | instskip(SKIP_3) | instid1(VALU_DEP_4)
	v_add_nc_u32_e32 v21, s5, v19
	v_lshlrev_b64 v[11:12], 3, v[11:12]
	v_ashrrev_i32_e32 v16, 31, v15
	v_add_co_ci_u32_e32 v4, vcc_lo, s3, v4, vcc_lo
	v_add_nc_u32_e32 v23, s5, v21
	v_add_co_u32 v9, vcc_lo, s2, v9
	v_lshlrev_b64 v[13:14], 3, v[13:14]
	v_ashrrev_i32_e32 v18, 31, v17
	s_delay_alu instid0(VALU_DEP_4) | instskip(SKIP_2) | instid1(VALU_DEP_3)
	v_add_nc_u32_e32 v25, s5, v23
	v_add_co_ci_u32_e32 v10, vcc_lo, s3, v10, vcc_lo
	v_add_co_u32 v11, vcc_lo, s2, v11
	v_add_nc_u32_e32 v27, s5, v25
	v_lshlrev_b64 v[15:16], 3, v[15:16]
	v_ashrrev_i32_e32 v20, 31, v19
	v_add_co_ci_u32_e32 v12, vcc_lo, s3, v12, vcc_lo
	s_delay_alu instid0(VALU_DEP_4) | instskip(SKIP_3) | instid1(VALU_DEP_4)
	v_add_nc_u32_e32 v29, s5, v27
	v_add_co_u32 v13, vcc_lo, s2, v13
	v_lshlrev_b64 v[17:18], 3, v[17:18]
	v_ashrrev_i32_e32 v22, 31, v21
	v_add_nc_u32_e32 v31, s5, v29
	v_add_co_ci_u32_e32 v14, vcc_lo, s3, v14, vcc_lo
	v_add_co_u32 v15, vcc_lo, s2, v15
	s_delay_alu instid0(VALU_DEP_3) | instskip(SKIP_3) | instid1(VALU_DEP_4)
	v_add_nc_u32_e32 v33, s5, v31
	v_lshlrev_b64 v[19:20], 3, v[19:20]
	v_ashrrev_i32_e32 v24, 31, v23
	v_add_co_ci_u32_e32 v16, vcc_lo, s3, v16, vcc_lo
	v_add_nc_u32_e32 v35, s5, v33
	v_add_co_u32 v17, vcc_lo, s2, v17
	v_lshlrev_b64 v[21:22], 3, v[21:22]
	v_ashrrev_i32_e32 v26, 31, v25
	v_add_co_ci_u32_e32 v18, vcc_lo, s3, v18, vcc_lo
	v_add_co_u32 v19, vcc_lo, s2, v19
	v_lshlrev_b64 v[23:24], 3, v[23:24]
	v_ashrrev_i32_e32 v28, 31, v27
	v_add_nc_u32_e32 v37, s5, v35
	v_add_co_ci_u32_e32 v20, vcc_lo, s3, v20, vcc_lo
	v_add_co_u32 v21, vcc_lo, s2, v21
	v_lshlrev_b64 v[25:26], 3, v[25:26]
	v_ashrrev_i32_e32 v30, 31, v29
	v_add_co_ci_u32_e32 v22, vcc_lo, s3, v22, vcc_lo
	v_add_co_u32 v23, vcc_lo, s2, v23
	v_lshlrev_b64 v[27:28], 3, v[27:28]
	v_add_nc_u32_e32 v39, s5, v37
	v_ashrrev_i32_e32 v32, 31, v31
	v_add_co_ci_u32_e32 v24, vcc_lo, s3, v24, vcc_lo
	v_add_co_u32 v25, vcc_lo, s2, v25
	v_lshlrev_b64 v[29:30], 3, v[29:30]
	v_ashrrev_i32_e32 v34, 31, v33
	v_add_co_ci_u32_e32 v26, vcc_lo, s3, v26, vcc_lo
	v_add_nc_u32_e32 v41, s5, v39
	v_add_co_u32 v27, vcc_lo, s2, v27
	v_lshlrev_b64 v[31:32], 3, v[31:32]
	v_ashrrev_i32_e32 v36, 31, v35
	v_add_co_ci_u32_e32 v28, vcc_lo, s3, v28, vcc_lo
	v_add_co_u32 v29, vcc_lo, s2, v29
	v_lshlrev_b64 v[33:34], 3, v[33:34]
	v_ashrrev_i32_e32 v38, 31, v37
	v_add_nc_u32_e32 v43, s5, v41
	v_add_co_ci_u32_e32 v30, vcc_lo, s3, v30, vcc_lo
	v_add_co_u32 v31, vcc_lo, s2, v31
	v_lshlrev_b64 v[35:36], 3, v[35:36]
	v_ashrrev_i32_e32 v40, 31, v39
	v_add_co_ci_u32_e32 v32, vcc_lo, s3, v32, vcc_lo
	v_add_co_u32 v33, vcc_lo, s2, v33
	v_lshlrev_b64 v[37:38], 3, v[37:38]
	v_add_nc_u32_e32 v45, s5, v43
	v_ashrrev_i32_e32 v42, 31, v41
	v_add_co_ci_u32_e32 v34, vcc_lo, s3, v34, vcc_lo
	v_add_co_u32 v35, vcc_lo, s2, v35
	v_lshlrev_b64 v[39:40], 3, v[39:40]
	v_ashrrev_i32_e32 v44, 31, v43
	v_add_co_ci_u32_e32 v36, vcc_lo, s3, v36, vcc_lo
	v_add_nc_u32_e32 v47, s5, v45
	v_add_co_u32 v37, vcc_lo, s2, v37
	v_lshlrev_b64 v[41:42], 3, v[41:42]
	v_add_co_ci_u32_e32 v38, vcc_lo, s3, v38, vcc_lo
	v_add_co_u32 v39, vcc_lo, s2, v39
	v_lshlrev_b64 v[49:50], 3, v[43:44]
	v_ashrrev_i32_e32 v48, 31, v47
	v_add_co_ci_u32_e32 v40, vcc_lo, s3, v40, vcc_lo
	v_add_co_u32 v43, vcc_lo, s2, v41
	v_add_co_ci_u32_e32 v44, vcc_lo, s3, v42, vcc_lo
	s_delay_alu instid0(VALU_DEP_4)
	v_lshlrev_b64 v[41:42], 3, v[47:48]
	v_add_co_u32 v47, vcc_lo, s2, v49
	v_add_co_ci_u32_e32 v48, vcc_lo, s3, v50, vcc_lo
	v_mov_b32_e32 v49, 0
	v_mov_b32_e32 v50, 0xbff00000
	s_clause 0x3
	global_load_b64 v[52:53], v51, s[2:3]
	global_load_b64 v[54:55], v[5:6], off
	global_load_b64 v[56:57], v[1:2], off
	;; [unrolled: 1-line block ×3, first 2 shown]
	v_ashrrev_i32_e32 v46, 31, v45
	v_add_co_u32 v41, vcc_lo, s2, v41
	v_add_co_ci_u32_e32 v42, vcc_lo, s3, v42, vcc_lo
	s_delay_alu instid0(VALU_DEP_3)
	v_lshlrev_b64 v[45:46], 3, v[45:46]
	s_clause 0xd
	global_load_b64 v[60:61], v[9:10], off
	global_load_b64 v[62:63], v[11:12], off
	;; [unrolled: 1-line block ×14, first 2 shown]
	v_add_co_u32 v45, vcc_lo, s2, v45
	v_add_co_ci_u32_e32 v46, vcc_lo, s3, v46, vcc_lo
	s_cmpk_lg_i32 s1, 0x84
	s_cselect_b32 s2, -1, 0
	s_cmpk_eq_i32 s1, 0x84
	s_waitcnt vmcnt(16)
	scratch_store_b128 off, v[52:55], off
	s_clause 0x2
	global_load_b64 v[86:87], v[35:36], off
	global_load_b64 v[52:53], v[37:38], off
	;; [unrolled: 1-line block ×3, first 2 shown]
	s_waitcnt vmcnt(17)
	scratch_store_b128 off, v[56:59], off offset:16
	s_clause 0x2
	global_load_b64 v[56:57], v[43:44], off
	global_load_b64 v[58:59], v[47:48], off
	;; [unrolled: 1-line block ×3, first 2 shown]
	s_waitcnt vmcnt(18)
	scratch_store_b128 off, v[60:63], off offset:32
	s_waitcnt vmcnt(16)
	scratch_store_b128 off, v[64:67], off offset:48
	;; [unrolled: 2-line block ×10, first 2 shown]
	s_cbranch_scc1 .LBB23_3
; %bb.2:
	scratch_load_b64 v[49:50], v51, off
	s_waitcnt vmcnt(0)
	v_div_scale_f64 v[52:53], null, v[49:50], v[49:50], 1.0
	v_div_scale_f64 v[58:59], vcc_lo, 1.0, v[49:50], 1.0
	s_delay_alu instid0(VALU_DEP_2) | instskip(SKIP_2) | instid1(VALU_DEP_1)
	v_rcp_f64_e32 v[54:55], v[52:53]
	s_waitcnt_depctr 0xfff
	v_fma_f64 v[56:57], -v[52:53], v[54:55], 1.0
	v_fma_f64 v[54:55], v[54:55], v[56:57], v[54:55]
	s_delay_alu instid0(VALU_DEP_1) | instskip(NEXT) | instid1(VALU_DEP_1)
	v_fma_f64 v[56:57], -v[52:53], v[54:55], 1.0
	v_fma_f64 v[54:55], v[54:55], v[56:57], v[54:55]
	s_delay_alu instid0(VALU_DEP_1) | instskip(NEXT) | instid1(VALU_DEP_1)
	v_mul_f64 v[56:57], v[58:59], v[54:55]
	v_fma_f64 v[52:53], -v[52:53], v[56:57], v[58:59]
	s_delay_alu instid0(VALU_DEP_1) | instskip(NEXT) | instid1(VALU_DEP_1)
	v_div_fmas_f64 v[52:53], v[52:53], v[54:55], v[56:57]
	v_div_fixup_f64 v[49:50], v[52:53], v[49:50], 1.0
	scratch_store_b64 v51, v[49:50], off
	v_xor_b32_e32 v50, 0x80000000, v50
.LBB23_3:
	v_add_nc_u32_e32 v52, 0xc0, v51
	v_add_nc_u32_e32 v53, 0, v51
	s_cmpk_eq_i32 s0, 0x79
	s_mov_b32 s0, -1
	ds_store_b64 v51, v[49:50]
	s_cbranch_scc1 .LBB23_229
; %bb.4:
	scratch_load_b64 v[49:50], off, off offset:176
	v_cmp_eq_u32_e64 s0, 23, v0
	s_movk_i32 s1, 0x50
	s_movk_i32 s3, 0x60
	;; [unrolled: 1-line block ×6, first 2 shown]
	s_waitcnt vmcnt(0)
	ds_store_b64 v52, v[49:50]
	s_waitcnt lgkmcnt(0)
	s_waitcnt_vscnt null, 0x0
	s_barrier
	buffer_gl0_inv
	s_and_saveexec_b32 s8, s0
	s_cbranch_execz .LBB23_10
; %bb.5:
	s_and_b32 vcc_lo, exec_lo, s2
	s_cbranch_vccz .LBB23_7
; %bb.6:
	scratch_load_b64 v[49:50], v53, off
	ds_load_b64 v[54:55], v52
	s_waitcnt vmcnt(0) lgkmcnt(0)
	v_mul_f64 v[49:50], v[49:50], v[54:55]
	s_cbranch_execz .LBB23_8
	s_branch .LBB23_9
.LBB23_7:
                                        ; implicit-def: $vgpr49_vgpr50
.LBB23_8:
	ds_load_b64 v[49:50], v52
.LBB23_9:
	v_mov_b32_e32 v54, 0
	ds_load_b64 v[54:55], v54 offset:176
	s_waitcnt lgkmcnt(0)
	v_mul_f64 v[49:50], v[49:50], v[54:55]
	scratch_store_b64 off, v[49:50], off offset:176
.LBB23_10:
	s_or_b32 exec_lo, exec_lo, s8
	scratch_load_b64 v[49:50], off, off offset:168
	v_add_nc_u32_e64 v54, 0, 16
	v_add_nc_u32_e64 v55, 0, 32
	;; [unrolled: 1-line block ×10, first 2 shown]
	v_cmp_lt_u32_e64 s1, 21, v0
	s_waitcnt vmcnt(0)
	ds_store_b64 v52, v[49:50]
	s_waitcnt lgkmcnt(0)
	s_waitcnt_vscnt null, 0x0
	s_barrier
	buffer_gl0_inv
	s_and_saveexec_b32 s3, s1
	s_cbranch_execz .LBB23_18
; %bb.11:
	s_and_not1_b32 vcc_lo, exec_lo, s2
	s_cbranch_vccnz .LBB23_13
; %bb.12:
	scratch_load_b64 v[49:50], v53, off
	ds_load_b64 v[64:65], v52
	s_waitcnt vmcnt(0) lgkmcnt(0)
	v_mul_f64 v[49:50], v[49:50], v[64:65]
	s_cbranch_execz .LBB23_14
	s_branch .LBB23_15
.LBB23_13:
                                        ; implicit-def: $vgpr49_vgpr50
.LBB23_14:
	ds_load_b64 v[49:50], v52
.LBB23_15:
	s_and_saveexec_b32 s4, s0
	s_cbranch_execz .LBB23_17
; %bb.16:
	scratch_load_b64 v[64:65], off, off offset:176
	v_mov_b32_e32 v66, 0
	ds_load_b64 v[66:67], v66 offset:368
	s_waitcnt vmcnt(0) lgkmcnt(0)
	v_fma_f64 v[49:50], v[64:65], v[66:67], v[49:50]
.LBB23_17:
	s_or_b32 exec_lo, exec_lo, s4
	v_mov_b32_e32 v64, 0
	ds_load_b64 v[64:65], v64 offset:168
	s_waitcnt lgkmcnt(0)
	v_mul_f64 v[49:50], v[49:50], v[64:65]
	scratch_store_b64 off, v[49:50], off offset:168
.LBB23_18:
	s_or_b32 exec_lo, exec_lo, s3
	scratch_load_b64 v[49:50], off, off offset:160
	v_cmp_lt_u32_e64 s0, 20, v0
	s_waitcnt vmcnt(0)
	ds_store_b64 v52, v[49:50]
	s_waitcnt lgkmcnt(0)
	s_waitcnt_vscnt null, 0x0
	s_barrier
	buffer_gl0_inv
	s_and_saveexec_b32 s3, s0
	s_cbranch_execz .LBB23_28
; %bb.19:
	s_and_not1_b32 vcc_lo, exec_lo, s2
	s_cbranch_vccnz .LBB23_21
; %bb.20:
	scratch_load_b64 v[49:50], v53, off
	ds_load_b64 v[64:65], v52
	s_waitcnt vmcnt(0) lgkmcnt(0)
	v_mul_f64 v[49:50], v[49:50], v[64:65]
	s_cbranch_execz .LBB23_22
	s_branch .LBB23_23
.LBB23_21:
                                        ; implicit-def: $vgpr49_vgpr50
.LBB23_22:
	ds_load_b64 v[49:50], v52
.LBB23_23:
	s_and_saveexec_b32 s4, s1
	s_cbranch_execz .LBB23_27
; %bb.24:
	v_mov_b32_e32 v64, 0
	v_subrev_nc_u32_e32 v65, 21, v0
	s_movk_i32 s5, 0x168
	s_mov_b32 s1, 0
	s_delay_alu instid0(VALU_DEP_2)
	v_add_nc_u32_e32 v64, 0xa8, v64
.LBB23_25:                              ; =>This Inner Loop Header: Depth=1
	scratch_load_b64 v[66:67], v64, off
	v_dual_mov_b32 v68, s5 :: v_dual_add_nc_u32 v65, -1, v65
	v_add_nc_u32_e32 v64, 8, v64
	s_add_i32 s5, s5, 8
	ds_load_b64 v[68:69], v68
	v_cmp_eq_u32_e32 vcc_lo, 0, v65
	s_or_b32 s1, vcc_lo, s1
	s_waitcnt vmcnt(0) lgkmcnt(0)
	v_fma_f64 v[49:50], v[66:67], v[68:69], v[49:50]
	s_and_not1_b32 exec_lo, exec_lo, s1
	s_cbranch_execnz .LBB23_25
; %bb.26:
	s_or_b32 exec_lo, exec_lo, s1
.LBB23_27:
	s_delay_alu instid0(SALU_CYCLE_1)
	s_or_b32 exec_lo, exec_lo, s4
	v_mov_b32_e32 v64, 0
	ds_load_b64 v[64:65], v64 offset:160
	s_waitcnt lgkmcnt(0)
	v_mul_f64 v[49:50], v[49:50], v[64:65]
	scratch_store_b64 off, v[49:50], off offset:160
.LBB23_28:
	s_or_b32 exec_lo, exec_lo, s3
	scratch_load_b64 v[49:50], off, off offset:152
	v_cmp_lt_u32_e64 s1, 19, v0
	s_waitcnt vmcnt(0)
	ds_store_b64 v52, v[49:50]
	s_waitcnt lgkmcnt(0)
	s_waitcnt_vscnt null, 0x0
	s_barrier
	buffer_gl0_inv
	s_and_saveexec_b32 s3, s1
	s_cbranch_execz .LBB23_38
; %bb.29:
	s_and_not1_b32 vcc_lo, exec_lo, s2
	s_cbranch_vccnz .LBB23_31
; %bb.30:
	scratch_load_b64 v[49:50], v53, off
	ds_load_b64 v[64:65], v52
	s_waitcnt vmcnt(0) lgkmcnt(0)
	v_mul_f64 v[49:50], v[49:50], v[64:65]
	s_cbranch_execz .LBB23_32
	s_branch .LBB23_33
.LBB23_31:
                                        ; implicit-def: $vgpr49_vgpr50
.LBB23_32:
	ds_load_b64 v[49:50], v52
.LBB23_33:
	s_and_saveexec_b32 s4, s0
	s_cbranch_execz .LBB23_37
; %bb.34:
	v_subrev_nc_u32_e32 v64, 20, v0
	s_movk_i32 s5, 0x160
	s_mov_b32 s0, 0
.LBB23_35:                              ; =>This Inner Loop Header: Depth=1
	scratch_load_b64 v[65:66], v63, off
	v_dual_mov_b32 v67, s5 :: v_dual_add_nc_u32 v64, -1, v64
	v_add_nc_u32_e32 v63, 8, v63
	s_add_i32 s5, s5, 8
	ds_load_b64 v[67:68], v67
	v_cmp_eq_u32_e32 vcc_lo, 0, v64
	s_or_b32 s0, vcc_lo, s0
	s_waitcnt vmcnt(0) lgkmcnt(0)
	v_fma_f64 v[49:50], v[65:66], v[67:68], v[49:50]
	s_and_not1_b32 exec_lo, exec_lo, s0
	s_cbranch_execnz .LBB23_35
; %bb.36:
	s_or_b32 exec_lo, exec_lo, s0
.LBB23_37:
	s_delay_alu instid0(SALU_CYCLE_1)
	s_or_b32 exec_lo, exec_lo, s4
	v_mov_b32_e32 v63, 0
	ds_load_b64 v[63:64], v63 offset:152
	s_waitcnt lgkmcnt(0)
	v_mul_f64 v[49:50], v[49:50], v[63:64]
	scratch_store_b64 off, v[49:50], off offset:152
.LBB23_38:
	s_or_b32 exec_lo, exec_lo, s3
	scratch_load_b64 v[49:50], off, off offset:144
	v_cmp_lt_u32_e64 s0, 18, v0
	s_waitcnt vmcnt(0)
	ds_store_b64 v52, v[49:50]
	s_waitcnt lgkmcnt(0)
	s_waitcnt_vscnt null, 0x0
	s_barrier
	buffer_gl0_inv
	s_and_saveexec_b32 s3, s0
	s_cbranch_execz .LBB23_48
; %bb.39:
	s_and_not1_b32 vcc_lo, exec_lo, s2
	s_cbranch_vccnz .LBB23_41
; %bb.40:
	scratch_load_b64 v[49:50], v53, off
	ds_load_b64 v[63:64], v52
	s_waitcnt vmcnt(0) lgkmcnt(0)
	v_mul_f64 v[49:50], v[49:50], v[63:64]
	s_cbranch_execz .LBB23_42
	s_branch .LBB23_43
.LBB23_41:
                                        ; implicit-def: $vgpr49_vgpr50
.LBB23_42:
	ds_load_b64 v[49:50], v52
.LBB23_43:
	s_and_saveexec_b32 s4, s1
	s_cbranch_execz .LBB23_47
; %bb.44:
	v_mov_b32_e32 v63, 0
	v_subrev_nc_u32_e32 v64, 19, v0
	s_movk_i32 s5, 0x158
	s_mov_b32 s1, 0
	s_delay_alu instid0(VALU_DEP_2)
	v_add_nc_u32_e32 v63, 0x98, v63
.LBB23_45:                              ; =>This Inner Loop Header: Depth=1
	scratch_load_b64 v[65:66], v63, off
	v_dual_mov_b32 v67, s5 :: v_dual_add_nc_u32 v64, -1, v64
	v_add_nc_u32_e32 v63, 8, v63
	s_add_i32 s5, s5, 8
	ds_load_b64 v[67:68], v67
	v_cmp_eq_u32_e32 vcc_lo, 0, v64
	s_or_b32 s1, vcc_lo, s1
	s_waitcnt vmcnt(0) lgkmcnt(0)
	v_fma_f64 v[49:50], v[65:66], v[67:68], v[49:50]
	s_and_not1_b32 exec_lo, exec_lo, s1
	s_cbranch_execnz .LBB23_45
; %bb.46:
	s_or_b32 exec_lo, exec_lo, s1
.LBB23_47:
	s_delay_alu instid0(SALU_CYCLE_1)
	s_or_b32 exec_lo, exec_lo, s4
	v_mov_b32_e32 v63, 0
	ds_load_b64 v[63:64], v63 offset:144
	s_waitcnt lgkmcnt(0)
	v_mul_f64 v[49:50], v[49:50], v[63:64]
	scratch_store_b64 off, v[49:50], off offset:144
.LBB23_48:
	s_or_b32 exec_lo, exec_lo, s3
	scratch_load_b64 v[49:50], off, off offset:136
	v_cmp_lt_u32_e64 s1, 17, v0
	s_waitcnt vmcnt(0)
	ds_store_b64 v52, v[49:50]
	s_waitcnt lgkmcnt(0)
	s_waitcnt_vscnt null, 0x0
	s_barrier
	buffer_gl0_inv
	s_and_saveexec_b32 s3, s1
	s_cbranch_execz .LBB23_58
; %bb.49:
	s_and_not1_b32 vcc_lo, exec_lo, s2
	s_cbranch_vccnz .LBB23_51
; %bb.50:
	scratch_load_b64 v[49:50], v53, off
	ds_load_b64 v[63:64], v52
	s_waitcnt vmcnt(0) lgkmcnt(0)
	v_mul_f64 v[49:50], v[49:50], v[63:64]
	s_cbranch_execz .LBB23_52
	s_branch .LBB23_53
.LBB23_51:
                                        ; implicit-def: $vgpr49_vgpr50
.LBB23_52:
	ds_load_b64 v[49:50], v52
.LBB23_53:
	s_and_saveexec_b32 s4, s0
	s_cbranch_execz .LBB23_57
; %bb.54:
	v_subrev_nc_u32_e32 v63, 18, v0
	s_movk_i32 s5, 0x150
	s_mov_b32 s0, 0
.LBB23_55:                              ; =>This Inner Loop Header: Depth=1
	scratch_load_b64 v[64:65], v62, off
	v_dual_mov_b32 v66, s5 :: v_dual_add_nc_u32 v63, -1, v63
	v_add_nc_u32_e32 v62, 8, v62
	s_add_i32 s5, s5, 8
	ds_load_b64 v[66:67], v66
	v_cmp_eq_u32_e32 vcc_lo, 0, v63
	s_or_b32 s0, vcc_lo, s0
	s_waitcnt vmcnt(0) lgkmcnt(0)
	v_fma_f64 v[49:50], v[64:65], v[66:67], v[49:50]
	s_and_not1_b32 exec_lo, exec_lo, s0
	s_cbranch_execnz .LBB23_55
; %bb.56:
	s_or_b32 exec_lo, exec_lo, s0
.LBB23_57:
	s_delay_alu instid0(SALU_CYCLE_1)
	s_or_b32 exec_lo, exec_lo, s4
	v_mov_b32_e32 v62, 0
	ds_load_b64 v[62:63], v62 offset:136
	s_waitcnt lgkmcnt(0)
	v_mul_f64 v[49:50], v[49:50], v[62:63]
	scratch_store_b64 off, v[49:50], off offset:136
.LBB23_58:
	s_or_b32 exec_lo, exec_lo, s3
	scratch_load_b64 v[49:50], off, off offset:128
	v_cmp_lt_u32_e64 s0, 16, v0
	s_waitcnt vmcnt(0)
	ds_store_b64 v52, v[49:50]
	s_waitcnt lgkmcnt(0)
	s_waitcnt_vscnt null, 0x0
	s_barrier
	buffer_gl0_inv
	s_and_saveexec_b32 s3, s0
	s_cbranch_execz .LBB23_68
; %bb.59:
	s_and_not1_b32 vcc_lo, exec_lo, s2
	s_cbranch_vccnz .LBB23_61
; %bb.60:
	scratch_load_b64 v[49:50], v53, off
	ds_load_b64 v[62:63], v52
	s_waitcnt vmcnt(0) lgkmcnt(0)
	v_mul_f64 v[49:50], v[49:50], v[62:63]
	s_cbranch_execz .LBB23_62
	s_branch .LBB23_63
.LBB23_61:
                                        ; implicit-def: $vgpr49_vgpr50
.LBB23_62:
	ds_load_b64 v[49:50], v52
.LBB23_63:
	s_and_saveexec_b32 s4, s1
	s_cbranch_execz .LBB23_67
; %bb.64:
	v_mov_b32_e32 v62, 0
	v_subrev_nc_u32_e32 v63, 17, v0
	s_movk_i32 s5, 0x148
	s_mov_b32 s1, 0
	s_delay_alu instid0(VALU_DEP_2)
	v_add_nc_u32_e32 v62, 0x88, v62
.LBB23_65:                              ; =>This Inner Loop Header: Depth=1
	scratch_load_b64 v[64:65], v62, off
	v_dual_mov_b32 v66, s5 :: v_dual_add_nc_u32 v63, -1, v63
	v_add_nc_u32_e32 v62, 8, v62
	s_add_i32 s5, s5, 8
	ds_load_b64 v[66:67], v66
	v_cmp_eq_u32_e32 vcc_lo, 0, v63
	s_or_b32 s1, vcc_lo, s1
	s_waitcnt vmcnt(0) lgkmcnt(0)
	v_fma_f64 v[49:50], v[64:65], v[66:67], v[49:50]
	s_and_not1_b32 exec_lo, exec_lo, s1
	s_cbranch_execnz .LBB23_65
; %bb.66:
	s_or_b32 exec_lo, exec_lo, s1
.LBB23_67:
	s_delay_alu instid0(SALU_CYCLE_1)
	s_or_b32 exec_lo, exec_lo, s4
	v_mov_b32_e32 v62, 0
	ds_load_b64 v[62:63], v62 offset:128
	s_waitcnt lgkmcnt(0)
	v_mul_f64 v[49:50], v[49:50], v[62:63]
	scratch_store_b64 off, v[49:50], off offset:128
.LBB23_68:
	s_or_b32 exec_lo, exec_lo, s3
	scratch_load_b64 v[49:50], off, off offset:120
	v_cmp_lt_u32_e64 s1, 15, v0
	s_waitcnt vmcnt(0)
	ds_store_b64 v52, v[49:50]
	s_waitcnt lgkmcnt(0)
	s_waitcnt_vscnt null, 0x0
	s_barrier
	buffer_gl0_inv
	s_and_saveexec_b32 s3, s1
	s_cbranch_execz .LBB23_78
; %bb.69:
	s_and_not1_b32 vcc_lo, exec_lo, s2
	s_cbranch_vccnz .LBB23_71
; %bb.70:
	scratch_load_b64 v[49:50], v53, off
	ds_load_b64 v[62:63], v52
	s_waitcnt vmcnt(0) lgkmcnt(0)
	v_mul_f64 v[49:50], v[49:50], v[62:63]
	s_cbranch_execz .LBB23_72
	s_branch .LBB23_73
.LBB23_71:
                                        ; implicit-def: $vgpr49_vgpr50
.LBB23_72:
	ds_load_b64 v[49:50], v52
.LBB23_73:
	s_and_saveexec_b32 s4, s0
	s_cbranch_execz .LBB23_77
; %bb.74:
	v_add_nc_u32_e32 v62, -16, v0
	s_movk_i32 s5, 0x140
	s_mov_b32 s0, 0
.LBB23_75:                              ; =>This Inner Loop Header: Depth=1
	scratch_load_b64 v[63:64], v61, off
	v_dual_mov_b32 v65, s5 :: v_dual_add_nc_u32 v62, -1, v62
	v_add_nc_u32_e32 v61, 8, v61
	s_add_i32 s5, s5, 8
	ds_load_b64 v[65:66], v65
	v_cmp_eq_u32_e32 vcc_lo, 0, v62
	s_or_b32 s0, vcc_lo, s0
	s_waitcnt vmcnt(0) lgkmcnt(0)
	v_fma_f64 v[49:50], v[63:64], v[65:66], v[49:50]
	s_and_not1_b32 exec_lo, exec_lo, s0
	s_cbranch_execnz .LBB23_75
; %bb.76:
	s_or_b32 exec_lo, exec_lo, s0
.LBB23_77:
	s_delay_alu instid0(SALU_CYCLE_1)
	s_or_b32 exec_lo, exec_lo, s4
	v_mov_b32_e32 v61, 0
	ds_load_b64 v[61:62], v61 offset:120
	s_waitcnt lgkmcnt(0)
	v_mul_f64 v[49:50], v[49:50], v[61:62]
	scratch_store_b64 off, v[49:50], off offset:120
.LBB23_78:
	s_or_b32 exec_lo, exec_lo, s3
	scratch_load_b64 v[49:50], off, off offset:112
	v_cmp_lt_u32_e64 s0, 14, v0
	s_waitcnt vmcnt(0)
	ds_store_b64 v52, v[49:50]
	s_waitcnt lgkmcnt(0)
	s_waitcnt_vscnt null, 0x0
	s_barrier
	buffer_gl0_inv
	s_and_saveexec_b32 s3, s0
	s_cbranch_execz .LBB23_88
; %bb.79:
	s_and_not1_b32 vcc_lo, exec_lo, s2
	s_cbranch_vccnz .LBB23_81
; %bb.80:
	scratch_load_b64 v[49:50], v53, off
	ds_load_b64 v[61:62], v52
	s_waitcnt vmcnt(0) lgkmcnt(0)
	v_mul_f64 v[49:50], v[49:50], v[61:62]
	s_cbranch_execz .LBB23_82
	s_branch .LBB23_83
.LBB23_81:
                                        ; implicit-def: $vgpr49_vgpr50
.LBB23_82:
	ds_load_b64 v[49:50], v52
.LBB23_83:
	s_and_saveexec_b32 s4, s1
	s_cbranch_execz .LBB23_87
; %bb.84:
	v_dual_mov_b32 v61, 0 :: v_dual_add_nc_u32 v62, -15, v0
	s_movk_i32 s5, 0x138
	s_mov_b32 s1, 0
	s_delay_alu instid0(VALU_DEP_1)
	v_add_nc_u32_e32 v61, 0x78, v61
.LBB23_85:                              ; =>This Inner Loop Header: Depth=1
	scratch_load_b64 v[63:64], v61, off
	v_dual_mov_b32 v65, s5 :: v_dual_add_nc_u32 v62, -1, v62
	v_add_nc_u32_e32 v61, 8, v61
	s_add_i32 s5, s5, 8
	ds_load_b64 v[65:66], v65
	v_cmp_eq_u32_e32 vcc_lo, 0, v62
	s_or_b32 s1, vcc_lo, s1
	s_waitcnt vmcnt(0) lgkmcnt(0)
	v_fma_f64 v[49:50], v[63:64], v[65:66], v[49:50]
	s_and_not1_b32 exec_lo, exec_lo, s1
	s_cbranch_execnz .LBB23_85
; %bb.86:
	s_or_b32 exec_lo, exec_lo, s1
.LBB23_87:
	s_delay_alu instid0(SALU_CYCLE_1)
	s_or_b32 exec_lo, exec_lo, s4
	v_mov_b32_e32 v61, 0
	ds_load_b64 v[61:62], v61 offset:112
	s_waitcnt lgkmcnt(0)
	v_mul_f64 v[49:50], v[49:50], v[61:62]
	scratch_store_b64 off, v[49:50], off offset:112
.LBB23_88:
	s_or_b32 exec_lo, exec_lo, s3
	scratch_load_b64 v[49:50], off, off offset:104
	v_cmp_lt_u32_e64 s1, 13, v0
	s_waitcnt vmcnt(0)
	ds_store_b64 v52, v[49:50]
	s_waitcnt lgkmcnt(0)
	s_waitcnt_vscnt null, 0x0
	s_barrier
	buffer_gl0_inv
	s_and_saveexec_b32 s3, s1
	s_cbranch_execz .LBB23_98
; %bb.89:
	s_and_not1_b32 vcc_lo, exec_lo, s2
	s_cbranch_vccnz .LBB23_91
; %bb.90:
	scratch_load_b64 v[49:50], v53, off
	ds_load_b64 v[61:62], v52
	s_waitcnt vmcnt(0) lgkmcnt(0)
	v_mul_f64 v[49:50], v[49:50], v[61:62]
	s_cbranch_execz .LBB23_92
	s_branch .LBB23_93
.LBB23_91:
                                        ; implicit-def: $vgpr49_vgpr50
.LBB23_92:
	ds_load_b64 v[49:50], v52
.LBB23_93:
	s_and_saveexec_b32 s4, s0
	s_cbranch_execz .LBB23_97
; %bb.94:
	v_add_nc_u32_e32 v61, -14, v0
	s_movk_i32 s5, 0x130
	s_mov_b32 s0, 0
.LBB23_95:                              ; =>This Inner Loop Header: Depth=1
	scratch_load_b64 v[62:63], v60, off
	v_dual_mov_b32 v64, s5 :: v_dual_add_nc_u32 v61, -1, v61
	v_add_nc_u32_e32 v60, 8, v60
	s_add_i32 s5, s5, 8
	ds_load_b64 v[64:65], v64
	v_cmp_eq_u32_e32 vcc_lo, 0, v61
	s_or_b32 s0, vcc_lo, s0
	s_waitcnt vmcnt(0) lgkmcnt(0)
	v_fma_f64 v[49:50], v[62:63], v[64:65], v[49:50]
	s_and_not1_b32 exec_lo, exec_lo, s0
	s_cbranch_execnz .LBB23_95
; %bb.96:
	s_or_b32 exec_lo, exec_lo, s0
.LBB23_97:
	s_delay_alu instid0(SALU_CYCLE_1)
	s_or_b32 exec_lo, exec_lo, s4
	v_mov_b32_e32 v60, 0
	ds_load_b64 v[60:61], v60 offset:104
	s_waitcnt lgkmcnt(0)
	v_mul_f64 v[49:50], v[49:50], v[60:61]
	scratch_store_b64 off, v[49:50], off offset:104
.LBB23_98:
	s_or_b32 exec_lo, exec_lo, s3
	scratch_load_b64 v[49:50], off, off offset:96
	v_cmp_lt_u32_e64 s0, 12, v0
	s_waitcnt vmcnt(0)
	ds_store_b64 v52, v[49:50]
	s_waitcnt lgkmcnt(0)
	s_waitcnt_vscnt null, 0x0
	s_barrier
	buffer_gl0_inv
	s_and_saveexec_b32 s3, s0
	s_cbranch_execz .LBB23_108
; %bb.99:
	s_and_not1_b32 vcc_lo, exec_lo, s2
	s_cbranch_vccnz .LBB23_101
; %bb.100:
	scratch_load_b64 v[49:50], v53, off
	ds_load_b64 v[60:61], v52
	s_waitcnt vmcnt(0) lgkmcnt(0)
	v_mul_f64 v[49:50], v[49:50], v[60:61]
	s_cbranch_execz .LBB23_102
	s_branch .LBB23_103
.LBB23_101:
                                        ; implicit-def: $vgpr49_vgpr50
.LBB23_102:
	ds_load_b64 v[49:50], v52
.LBB23_103:
	s_and_saveexec_b32 s4, s1
	s_cbranch_execz .LBB23_107
; %bb.104:
	v_dual_mov_b32 v60, 0 :: v_dual_add_nc_u32 v61, -13, v0
	s_movk_i32 s5, 0x128
	s_mov_b32 s1, 0
	s_delay_alu instid0(VALU_DEP_1)
	v_add_nc_u32_e32 v60, 0x68, v60
.LBB23_105:                             ; =>This Inner Loop Header: Depth=1
	scratch_load_b64 v[62:63], v60, off
	v_dual_mov_b32 v64, s5 :: v_dual_add_nc_u32 v61, -1, v61
	v_add_nc_u32_e32 v60, 8, v60
	s_add_i32 s5, s5, 8
	ds_load_b64 v[64:65], v64
	v_cmp_eq_u32_e32 vcc_lo, 0, v61
	s_or_b32 s1, vcc_lo, s1
	s_waitcnt vmcnt(0) lgkmcnt(0)
	v_fma_f64 v[49:50], v[62:63], v[64:65], v[49:50]
	s_and_not1_b32 exec_lo, exec_lo, s1
	s_cbranch_execnz .LBB23_105
; %bb.106:
	s_or_b32 exec_lo, exec_lo, s1
.LBB23_107:
	s_delay_alu instid0(SALU_CYCLE_1)
	s_or_b32 exec_lo, exec_lo, s4
	v_mov_b32_e32 v60, 0
	ds_load_b64 v[60:61], v60 offset:96
	s_waitcnt lgkmcnt(0)
	v_mul_f64 v[49:50], v[49:50], v[60:61]
	scratch_store_b64 off, v[49:50], off offset:96
.LBB23_108:
	s_or_b32 exec_lo, exec_lo, s3
	scratch_load_b64 v[49:50], off, off offset:88
	v_cmp_lt_u32_e64 s1, 11, v0
	s_waitcnt vmcnt(0)
	ds_store_b64 v52, v[49:50]
	s_waitcnt lgkmcnt(0)
	s_waitcnt_vscnt null, 0x0
	s_barrier
	buffer_gl0_inv
	s_and_saveexec_b32 s3, s1
	s_cbranch_execz .LBB23_118
; %bb.109:
	s_and_not1_b32 vcc_lo, exec_lo, s2
	s_cbranch_vccnz .LBB23_111
; %bb.110:
	scratch_load_b64 v[49:50], v53, off
	ds_load_b64 v[60:61], v52
	s_waitcnt vmcnt(0) lgkmcnt(0)
	v_mul_f64 v[49:50], v[49:50], v[60:61]
	s_cbranch_execz .LBB23_112
	s_branch .LBB23_113
.LBB23_111:
                                        ; implicit-def: $vgpr49_vgpr50
.LBB23_112:
	ds_load_b64 v[49:50], v52
.LBB23_113:
	s_and_saveexec_b32 s4, s0
	s_cbranch_execz .LBB23_117
; %bb.114:
	v_add_nc_u32_e32 v60, -12, v0
	s_movk_i32 s5, 0x120
	s_mov_b32 s0, 0
.LBB23_115:                             ; =>This Inner Loop Header: Depth=1
	scratch_load_b64 v[61:62], v59, off
	v_dual_mov_b32 v63, s5 :: v_dual_add_nc_u32 v60, -1, v60
	v_add_nc_u32_e32 v59, 8, v59
	s_add_i32 s5, s5, 8
	ds_load_b64 v[63:64], v63
	v_cmp_eq_u32_e32 vcc_lo, 0, v60
	s_or_b32 s0, vcc_lo, s0
	s_waitcnt vmcnt(0) lgkmcnt(0)
	v_fma_f64 v[49:50], v[61:62], v[63:64], v[49:50]
	s_and_not1_b32 exec_lo, exec_lo, s0
	s_cbranch_execnz .LBB23_115
; %bb.116:
	s_or_b32 exec_lo, exec_lo, s0
.LBB23_117:
	s_delay_alu instid0(SALU_CYCLE_1)
	s_or_b32 exec_lo, exec_lo, s4
	v_mov_b32_e32 v59, 0
	ds_load_b64 v[59:60], v59 offset:88
	s_waitcnt lgkmcnt(0)
	v_mul_f64 v[49:50], v[49:50], v[59:60]
	scratch_store_b64 off, v[49:50], off offset:88
.LBB23_118:
	s_or_b32 exec_lo, exec_lo, s3
	scratch_load_b64 v[49:50], off, off offset:80
	v_cmp_lt_u32_e64 s0, 10, v0
	s_waitcnt vmcnt(0)
	ds_store_b64 v52, v[49:50]
	s_waitcnt lgkmcnt(0)
	s_waitcnt_vscnt null, 0x0
	s_barrier
	buffer_gl0_inv
	s_and_saveexec_b32 s3, s0
	s_cbranch_execz .LBB23_128
; %bb.119:
	s_and_not1_b32 vcc_lo, exec_lo, s2
	s_cbranch_vccnz .LBB23_121
; %bb.120:
	scratch_load_b64 v[49:50], v53, off
	ds_load_b64 v[59:60], v52
	s_waitcnt vmcnt(0) lgkmcnt(0)
	v_mul_f64 v[49:50], v[49:50], v[59:60]
	s_cbranch_execz .LBB23_122
	s_branch .LBB23_123
.LBB23_121:
                                        ; implicit-def: $vgpr49_vgpr50
.LBB23_122:
	ds_load_b64 v[49:50], v52
.LBB23_123:
	s_and_saveexec_b32 s4, s1
	s_cbranch_execz .LBB23_127
; %bb.124:
	v_dual_mov_b32 v59, 0 :: v_dual_add_nc_u32 v60, -11, v0
	s_movk_i32 s5, 0x118
	s_mov_b32 s1, 0
	s_delay_alu instid0(VALU_DEP_1)
	v_add_nc_u32_e32 v59, 0x58, v59
.LBB23_125:                             ; =>This Inner Loop Header: Depth=1
	scratch_load_b64 v[61:62], v59, off
	v_dual_mov_b32 v63, s5 :: v_dual_add_nc_u32 v60, -1, v60
	v_add_nc_u32_e32 v59, 8, v59
	s_add_i32 s5, s5, 8
	ds_load_b64 v[63:64], v63
	v_cmp_eq_u32_e32 vcc_lo, 0, v60
	s_or_b32 s1, vcc_lo, s1
	s_waitcnt vmcnt(0) lgkmcnt(0)
	v_fma_f64 v[49:50], v[61:62], v[63:64], v[49:50]
	s_and_not1_b32 exec_lo, exec_lo, s1
	s_cbranch_execnz .LBB23_125
; %bb.126:
	s_or_b32 exec_lo, exec_lo, s1
.LBB23_127:
	s_delay_alu instid0(SALU_CYCLE_1)
	s_or_b32 exec_lo, exec_lo, s4
	v_mov_b32_e32 v59, 0
	ds_load_b64 v[59:60], v59 offset:80
	s_waitcnt lgkmcnt(0)
	v_mul_f64 v[49:50], v[49:50], v[59:60]
	scratch_store_b64 off, v[49:50], off offset:80
.LBB23_128:
	s_or_b32 exec_lo, exec_lo, s3
	scratch_load_b64 v[49:50], off, off offset:72
	v_cmp_lt_u32_e64 s1, 9, v0
	s_waitcnt vmcnt(0)
	ds_store_b64 v52, v[49:50]
	s_waitcnt lgkmcnt(0)
	s_waitcnt_vscnt null, 0x0
	s_barrier
	buffer_gl0_inv
	s_and_saveexec_b32 s3, s1
	s_cbranch_execz .LBB23_138
; %bb.129:
	s_and_not1_b32 vcc_lo, exec_lo, s2
	s_cbranch_vccnz .LBB23_131
; %bb.130:
	scratch_load_b64 v[49:50], v53, off
	ds_load_b64 v[59:60], v52
	s_waitcnt vmcnt(0) lgkmcnt(0)
	v_mul_f64 v[49:50], v[49:50], v[59:60]
	s_cbranch_execz .LBB23_132
	s_branch .LBB23_133
.LBB23_131:
                                        ; implicit-def: $vgpr49_vgpr50
.LBB23_132:
	ds_load_b64 v[49:50], v52
.LBB23_133:
	s_and_saveexec_b32 s4, s0
	s_cbranch_execz .LBB23_137
; %bb.134:
	v_add_nc_u32_e32 v59, -10, v0
	s_movk_i32 s5, 0x110
	s_mov_b32 s0, 0
.LBB23_135:                             ; =>This Inner Loop Header: Depth=1
	scratch_load_b64 v[60:61], v58, off
	v_dual_mov_b32 v62, s5 :: v_dual_add_nc_u32 v59, -1, v59
	v_add_nc_u32_e32 v58, 8, v58
	s_add_i32 s5, s5, 8
	ds_load_b64 v[62:63], v62
	v_cmp_eq_u32_e32 vcc_lo, 0, v59
	s_or_b32 s0, vcc_lo, s0
	s_waitcnt vmcnt(0) lgkmcnt(0)
	v_fma_f64 v[49:50], v[60:61], v[62:63], v[49:50]
	s_and_not1_b32 exec_lo, exec_lo, s0
	s_cbranch_execnz .LBB23_135
; %bb.136:
	s_or_b32 exec_lo, exec_lo, s0
.LBB23_137:
	s_delay_alu instid0(SALU_CYCLE_1)
	s_or_b32 exec_lo, exec_lo, s4
	v_mov_b32_e32 v58, 0
	ds_load_b64 v[58:59], v58 offset:72
	s_waitcnt lgkmcnt(0)
	v_mul_f64 v[49:50], v[49:50], v[58:59]
	scratch_store_b64 off, v[49:50], off offset:72
.LBB23_138:
	s_or_b32 exec_lo, exec_lo, s3
	scratch_load_b64 v[49:50], off, off offset:64
	v_cmp_lt_u32_e64 s0, 8, v0
	s_waitcnt vmcnt(0)
	ds_store_b64 v52, v[49:50]
	s_waitcnt lgkmcnt(0)
	s_waitcnt_vscnt null, 0x0
	s_barrier
	buffer_gl0_inv
	s_and_saveexec_b32 s3, s0
	s_cbranch_execz .LBB23_148
; %bb.139:
	s_and_not1_b32 vcc_lo, exec_lo, s2
	s_cbranch_vccnz .LBB23_141
; %bb.140:
	scratch_load_b64 v[49:50], v53, off
	ds_load_b64 v[58:59], v52
	s_waitcnt vmcnt(0) lgkmcnt(0)
	v_mul_f64 v[49:50], v[49:50], v[58:59]
	s_cbranch_execz .LBB23_142
	s_branch .LBB23_143
.LBB23_141:
                                        ; implicit-def: $vgpr49_vgpr50
.LBB23_142:
	ds_load_b64 v[49:50], v52
.LBB23_143:
	s_and_saveexec_b32 s4, s1
	s_cbranch_execz .LBB23_147
; %bb.144:
	v_dual_mov_b32 v58, 0 :: v_dual_add_nc_u32 v59, -9, v0
	s_movk_i32 s5, 0x108
	s_mov_b32 s1, 0
	s_delay_alu instid0(VALU_DEP_1)
	v_add_nc_u32_e32 v58, 0x48, v58
.LBB23_145:                             ; =>This Inner Loop Header: Depth=1
	scratch_load_b64 v[60:61], v58, off
	v_dual_mov_b32 v62, s5 :: v_dual_add_nc_u32 v59, -1, v59
	v_add_nc_u32_e32 v58, 8, v58
	s_add_i32 s5, s5, 8
	ds_load_b64 v[62:63], v62
	v_cmp_eq_u32_e32 vcc_lo, 0, v59
	s_or_b32 s1, vcc_lo, s1
	s_waitcnt vmcnt(0) lgkmcnt(0)
	v_fma_f64 v[49:50], v[60:61], v[62:63], v[49:50]
	s_and_not1_b32 exec_lo, exec_lo, s1
	s_cbranch_execnz .LBB23_145
; %bb.146:
	s_or_b32 exec_lo, exec_lo, s1
.LBB23_147:
	s_delay_alu instid0(SALU_CYCLE_1)
	s_or_b32 exec_lo, exec_lo, s4
	v_mov_b32_e32 v58, 0
	ds_load_b64 v[58:59], v58 offset:64
	s_waitcnt lgkmcnt(0)
	v_mul_f64 v[49:50], v[49:50], v[58:59]
	scratch_store_b64 off, v[49:50], off offset:64
.LBB23_148:
	s_or_b32 exec_lo, exec_lo, s3
	scratch_load_b64 v[49:50], off, off offset:56
	v_cmp_lt_u32_e64 s1, 7, v0
	s_waitcnt vmcnt(0)
	ds_store_b64 v52, v[49:50]
	s_waitcnt lgkmcnt(0)
	s_waitcnt_vscnt null, 0x0
	s_barrier
	buffer_gl0_inv
	s_and_saveexec_b32 s3, s1
	s_cbranch_execz .LBB23_158
; %bb.149:
	s_and_not1_b32 vcc_lo, exec_lo, s2
	s_cbranch_vccnz .LBB23_151
; %bb.150:
	scratch_load_b64 v[49:50], v53, off
	ds_load_b64 v[58:59], v52
	s_waitcnt vmcnt(0) lgkmcnt(0)
	v_mul_f64 v[49:50], v[49:50], v[58:59]
	s_cbranch_execz .LBB23_152
	s_branch .LBB23_153
.LBB23_151:
                                        ; implicit-def: $vgpr49_vgpr50
.LBB23_152:
	ds_load_b64 v[49:50], v52
.LBB23_153:
	s_and_saveexec_b32 s4, s0
	s_cbranch_execz .LBB23_157
; %bb.154:
	v_add_nc_u32_e32 v58, -8, v0
	s_movk_i32 s5, 0x100
	s_mov_b32 s0, 0
.LBB23_155:                             ; =>This Inner Loop Header: Depth=1
	scratch_load_b64 v[59:60], v57, off
	v_dual_mov_b32 v61, s5 :: v_dual_add_nc_u32 v58, -1, v58
	v_add_nc_u32_e32 v57, 8, v57
	s_add_i32 s5, s5, 8
	ds_load_b64 v[61:62], v61
	v_cmp_eq_u32_e32 vcc_lo, 0, v58
	s_or_b32 s0, vcc_lo, s0
	s_waitcnt vmcnt(0) lgkmcnt(0)
	v_fma_f64 v[49:50], v[59:60], v[61:62], v[49:50]
	s_and_not1_b32 exec_lo, exec_lo, s0
	s_cbranch_execnz .LBB23_155
; %bb.156:
	s_or_b32 exec_lo, exec_lo, s0
.LBB23_157:
	s_delay_alu instid0(SALU_CYCLE_1)
	s_or_b32 exec_lo, exec_lo, s4
	v_mov_b32_e32 v57, 0
	ds_load_b64 v[57:58], v57 offset:56
	s_waitcnt lgkmcnt(0)
	v_mul_f64 v[49:50], v[49:50], v[57:58]
	scratch_store_b64 off, v[49:50], off offset:56
.LBB23_158:
	s_or_b32 exec_lo, exec_lo, s3
	scratch_load_b64 v[49:50], off, off offset:48
	v_cmp_lt_u32_e64 s0, 6, v0
	s_waitcnt vmcnt(0)
	ds_store_b64 v52, v[49:50]
	s_waitcnt lgkmcnt(0)
	s_waitcnt_vscnt null, 0x0
	s_barrier
	buffer_gl0_inv
	s_and_saveexec_b32 s3, s0
	s_cbranch_execz .LBB23_168
; %bb.159:
	s_and_not1_b32 vcc_lo, exec_lo, s2
	s_cbranch_vccnz .LBB23_161
; %bb.160:
	scratch_load_b64 v[49:50], v53, off
	ds_load_b64 v[57:58], v52
	s_waitcnt vmcnt(0) lgkmcnt(0)
	v_mul_f64 v[49:50], v[49:50], v[57:58]
	s_cbranch_execz .LBB23_162
	s_branch .LBB23_163
.LBB23_161:
                                        ; implicit-def: $vgpr49_vgpr50
.LBB23_162:
	ds_load_b64 v[49:50], v52
.LBB23_163:
	s_and_saveexec_b32 s4, s1
	s_cbranch_execz .LBB23_167
; %bb.164:
	v_add_nc_u32_e64 v57, 0, 56
	v_add_nc_u32_e32 v58, -7, v0
	s_movk_i32 s5, 0xf8
	s_mov_b32 s1, 0
.LBB23_165:                             ; =>This Inner Loop Header: Depth=1
	scratch_load_b64 v[59:60], v57, off
	v_dual_mov_b32 v61, s5 :: v_dual_add_nc_u32 v58, -1, v58
	v_add_nc_u32_e32 v57, 8, v57
	s_add_i32 s5, s5, 8
	ds_load_b64 v[61:62], v61
	v_cmp_eq_u32_e32 vcc_lo, 0, v58
	s_or_b32 s1, vcc_lo, s1
	s_waitcnt vmcnt(0) lgkmcnt(0)
	v_fma_f64 v[49:50], v[59:60], v[61:62], v[49:50]
	s_and_not1_b32 exec_lo, exec_lo, s1
	s_cbranch_execnz .LBB23_165
; %bb.166:
	s_or_b32 exec_lo, exec_lo, s1
.LBB23_167:
	s_delay_alu instid0(SALU_CYCLE_1)
	s_or_b32 exec_lo, exec_lo, s4
	v_mov_b32_e32 v57, 0
	ds_load_b64 v[57:58], v57 offset:48
	s_waitcnt lgkmcnt(0)
	v_mul_f64 v[49:50], v[49:50], v[57:58]
	scratch_store_b64 off, v[49:50], off offset:48
.LBB23_168:
	s_or_b32 exec_lo, exec_lo, s3
	scratch_load_b64 v[49:50], off, off offset:40
	v_cmp_lt_u32_e64 s1, 5, v0
	s_waitcnt vmcnt(0)
	ds_store_b64 v52, v[49:50]
	s_waitcnt lgkmcnt(0)
	s_waitcnt_vscnt null, 0x0
	s_barrier
	buffer_gl0_inv
	s_and_saveexec_b32 s3, s1
	s_cbranch_execz .LBB23_178
; %bb.169:
	s_and_not1_b32 vcc_lo, exec_lo, s2
	s_cbranch_vccnz .LBB23_171
; %bb.170:
	scratch_load_b64 v[49:50], v53, off
	ds_load_b64 v[57:58], v52
	s_waitcnt vmcnt(0) lgkmcnt(0)
	v_mul_f64 v[49:50], v[49:50], v[57:58]
	s_cbranch_execz .LBB23_172
	s_branch .LBB23_173
.LBB23_171:
                                        ; implicit-def: $vgpr49_vgpr50
.LBB23_172:
	ds_load_b64 v[49:50], v52
.LBB23_173:
	s_and_saveexec_b32 s4, s0
	s_cbranch_execz .LBB23_177
; %bb.174:
	v_add_nc_u32_e32 v57, -6, v0
	s_movk_i32 s5, 0xf0
	s_mov_b32 s0, 0
.LBB23_175:                             ; =>This Inner Loop Header: Depth=1
	scratch_load_b64 v[58:59], v56, off
	v_dual_mov_b32 v60, s5 :: v_dual_add_nc_u32 v57, -1, v57
	v_add_nc_u32_e32 v56, 8, v56
	s_add_i32 s5, s5, 8
	ds_load_b64 v[60:61], v60
	v_cmp_eq_u32_e32 vcc_lo, 0, v57
	s_or_b32 s0, vcc_lo, s0
	s_waitcnt vmcnt(0) lgkmcnt(0)
	v_fma_f64 v[49:50], v[58:59], v[60:61], v[49:50]
	s_and_not1_b32 exec_lo, exec_lo, s0
	s_cbranch_execnz .LBB23_175
; %bb.176:
	s_or_b32 exec_lo, exec_lo, s0
.LBB23_177:
	s_delay_alu instid0(SALU_CYCLE_1)
	s_or_b32 exec_lo, exec_lo, s4
	v_mov_b32_e32 v56, 0
	ds_load_b64 v[56:57], v56 offset:40
	s_waitcnt lgkmcnt(0)
	v_mul_f64 v[49:50], v[49:50], v[56:57]
	scratch_store_b64 off, v[49:50], off offset:40
.LBB23_178:
	s_or_b32 exec_lo, exec_lo, s3
	scratch_load_b64 v[49:50], off, off offset:32
	v_cmp_lt_u32_e64 s0, 4, v0
	s_waitcnt vmcnt(0)
	ds_store_b64 v52, v[49:50]
	s_waitcnt lgkmcnt(0)
	s_waitcnt_vscnt null, 0x0
	s_barrier
	buffer_gl0_inv
	s_and_saveexec_b32 s3, s0
	s_cbranch_execz .LBB23_188
; %bb.179:
	s_and_not1_b32 vcc_lo, exec_lo, s2
	s_cbranch_vccnz .LBB23_181
; %bb.180:
	scratch_load_b64 v[49:50], v53, off
	ds_load_b64 v[56:57], v52
	s_waitcnt vmcnt(0) lgkmcnt(0)
	v_mul_f64 v[49:50], v[49:50], v[56:57]
	s_cbranch_execz .LBB23_182
	s_branch .LBB23_183
.LBB23_181:
                                        ; implicit-def: $vgpr49_vgpr50
.LBB23_182:
	ds_load_b64 v[49:50], v52
.LBB23_183:
	s_and_saveexec_b32 s4, s1
	s_cbranch_execz .LBB23_187
; %bb.184:
	v_add_nc_u32_e64 v56, 0, 40
	v_add_nc_u32_e32 v57, -5, v0
	s_movk_i32 s5, 0xe8
	s_mov_b32 s1, 0
.LBB23_185:                             ; =>This Inner Loop Header: Depth=1
	scratch_load_b64 v[58:59], v56, off
	v_dual_mov_b32 v60, s5 :: v_dual_add_nc_u32 v57, -1, v57
	v_add_nc_u32_e32 v56, 8, v56
	s_add_i32 s5, s5, 8
	ds_load_b64 v[60:61], v60
	v_cmp_eq_u32_e32 vcc_lo, 0, v57
	s_or_b32 s1, vcc_lo, s1
	s_waitcnt vmcnt(0) lgkmcnt(0)
	v_fma_f64 v[49:50], v[58:59], v[60:61], v[49:50]
	s_and_not1_b32 exec_lo, exec_lo, s1
	s_cbranch_execnz .LBB23_185
; %bb.186:
	s_or_b32 exec_lo, exec_lo, s1
.LBB23_187:
	s_delay_alu instid0(SALU_CYCLE_1)
	s_or_b32 exec_lo, exec_lo, s4
	v_mov_b32_e32 v56, 0
	ds_load_b64 v[56:57], v56 offset:32
	s_waitcnt lgkmcnt(0)
	v_mul_f64 v[49:50], v[49:50], v[56:57]
	scratch_store_b64 off, v[49:50], off offset:32
.LBB23_188:
	s_or_b32 exec_lo, exec_lo, s3
	scratch_load_b64 v[49:50], off, off offset:24
	v_cmp_lt_u32_e64 s1, 3, v0
	s_waitcnt vmcnt(0)
	ds_store_b64 v52, v[49:50]
	s_waitcnt lgkmcnt(0)
	s_waitcnt_vscnt null, 0x0
	s_barrier
	buffer_gl0_inv
	s_and_saveexec_b32 s3, s1
	s_cbranch_execz .LBB23_198
; %bb.189:
	s_and_not1_b32 vcc_lo, exec_lo, s2
	s_cbranch_vccnz .LBB23_191
; %bb.190:
	scratch_load_b64 v[49:50], v53, off
	ds_load_b64 v[56:57], v52
	s_waitcnt vmcnt(0) lgkmcnt(0)
	v_mul_f64 v[49:50], v[49:50], v[56:57]
	s_cbranch_execz .LBB23_192
	s_branch .LBB23_193
.LBB23_191:
                                        ; implicit-def: $vgpr49_vgpr50
.LBB23_192:
	ds_load_b64 v[49:50], v52
.LBB23_193:
	s_and_saveexec_b32 s4, s0
	s_cbranch_execz .LBB23_197
; %bb.194:
	v_add_nc_u32_e32 v56, -4, v0
	s_movk_i32 s5, 0xe0
	s_mov_b32 s0, 0
.LBB23_195:                             ; =>This Inner Loop Header: Depth=1
	scratch_load_b64 v[57:58], v55, off
	v_dual_mov_b32 v59, s5 :: v_dual_add_nc_u32 v56, -1, v56
	v_add_nc_u32_e32 v55, 8, v55
	s_add_i32 s5, s5, 8
	ds_load_b64 v[59:60], v59
	v_cmp_eq_u32_e32 vcc_lo, 0, v56
	s_or_b32 s0, vcc_lo, s0
	s_waitcnt vmcnt(0) lgkmcnt(0)
	v_fma_f64 v[49:50], v[57:58], v[59:60], v[49:50]
	s_and_not1_b32 exec_lo, exec_lo, s0
	s_cbranch_execnz .LBB23_195
; %bb.196:
	s_or_b32 exec_lo, exec_lo, s0
.LBB23_197:
	s_delay_alu instid0(SALU_CYCLE_1)
	s_or_b32 exec_lo, exec_lo, s4
	v_mov_b32_e32 v55, 0
	ds_load_b64 v[55:56], v55 offset:24
	s_waitcnt lgkmcnt(0)
	v_mul_f64 v[49:50], v[49:50], v[55:56]
	scratch_store_b64 off, v[49:50], off offset:24
.LBB23_198:
	s_or_b32 exec_lo, exec_lo, s3
	scratch_load_b64 v[49:50], off, off offset:16
	v_cmp_lt_u32_e64 s0, 2, v0
	s_waitcnt vmcnt(0)
	ds_store_b64 v52, v[49:50]
	s_waitcnt lgkmcnt(0)
	s_waitcnt_vscnt null, 0x0
	s_barrier
	buffer_gl0_inv
	s_and_saveexec_b32 s3, s0
	s_cbranch_execz .LBB23_208
; %bb.199:
	s_and_not1_b32 vcc_lo, exec_lo, s2
	s_cbranch_vccnz .LBB23_201
; %bb.200:
	scratch_load_b64 v[49:50], v53, off
	ds_load_b64 v[55:56], v52
	s_waitcnt vmcnt(0) lgkmcnt(0)
	v_mul_f64 v[49:50], v[49:50], v[55:56]
	s_cbranch_execz .LBB23_202
	s_branch .LBB23_203
.LBB23_201:
                                        ; implicit-def: $vgpr49_vgpr50
.LBB23_202:
	ds_load_b64 v[49:50], v52
.LBB23_203:
	s_and_saveexec_b32 s4, s1
	s_cbranch_execz .LBB23_207
; %bb.204:
	v_add_nc_u32_e64 v55, 0, 24
	v_add_nc_u32_e32 v56, -3, v0
	s_movk_i32 s5, 0xd8
	s_mov_b32 s1, 0
.LBB23_205:                             ; =>This Inner Loop Header: Depth=1
	scratch_load_b64 v[57:58], v55, off
	v_dual_mov_b32 v59, s5 :: v_dual_add_nc_u32 v56, -1, v56
	v_add_nc_u32_e32 v55, 8, v55
	s_add_i32 s5, s5, 8
	ds_load_b64 v[59:60], v59
	v_cmp_eq_u32_e32 vcc_lo, 0, v56
	s_or_b32 s1, vcc_lo, s1
	s_waitcnt vmcnt(0) lgkmcnt(0)
	v_fma_f64 v[49:50], v[57:58], v[59:60], v[49:50]
	s_and_not1_b32 exec_lo, exec_lo, s1
	s_cbranch_execnz .LBB23_205
; %bb.206:
	s_or_b32 exec_lo, exec_lo, s1
.LBB23_207:
	s_delay_alu instid0(SALU_CYCLE_1)
	s_or_b32 exec_lo, exec_lo, s4
	v_mov_b32_e32 v55, 0
	ds_load_b64 v[55:56], v55 offset:16
	s_waitcnt lgkmcnt(0)
	v_mul_f64 v[49:50], v[49:50], v[55:56]
	scratch_store_b64 off, v[49:50], off offset:16
.LBB23_208:
	s_or_b32 exec_lo, exec_lo, s3
	scratch_load_b64 v[49:50], off, off offset:8
	v_cmp_lt_u32_e64 s1, 1, v0
	s_waitcnt vmcnt(0)
	ds_store_b64 v52, v[49:50]
	s_waitcnt lgkmcnt(0)
	s_waitcnt_vscnt null, 0x0
	s_barrier
	buffer_gl0_inv
	s_and_saveexec_b32 s3, s1
	s_cbranch_execz .LBB23_218
; %bb.209:
	s_and_not1_b32 vcc_lo, exec_lo, s2
	s_cbranch_vccnz .LBB23_211
; %bb.210:
	scratch_load_b64 v[49:50], v53, off
	ds_load_b64 v[55:56], v52
	s_waitcnt vmcnt(0) lgkmcnt(0)
	v_mul_f64 v[49:50], v[49:50], v[55:56]
	s_cbranch_execz .LBB23_212
	s_branch .LBB23_213
.LBB23_211:
                                        ; implicit-def: $vgpr49_vgpr50
.LBB23_212:
	ds_load_b64 v[49:50], v52
.LBB23_213:
	s_and_saveexec_b32 s4, s0
	s_cbranch_execz .LBB23_217
; %bb.214:
	v_add_nc_u32_e32 v55, -2, v0
	s_movk_i32 s5, 0xd0
	s_mov_b32 s0, 0
.LBB23_215:                             ; =>This Inner Loop Header: Depth=1
	scratch_load_b64 v[56:57], v54, off
	v_dual_mov_b32 v58, s5 :: v_dual_add_nc_u32 v55, -1, v55
	v_add_nc_u32_e32 v54, 8, v54
	s_add_i32 s5, s5, 8
	ds_load_b64 v[58:59], v58
	v_cmp_eq_u32_e32 vcc_lo, 0, v55
	s_or_b32 s0, vcc_lo, s0
	s_waitcnt vmcnt(0) lgkmcnt(0)
	v_fma_f64 v[49:50], v[56:57], v[58:59], v[49:50]
	s_and_not1_b32 exec_lo, exec_lo, s0
	s_cbranch_execnz .LBB23_215
; %bb.216:
	s_or_b32 exec_lo, exec_lo, s0
.LBB23_217:
	s_delay_alu instid0(SALU_CYCLE_1)
	s_or_b32 exec_lo, exec_lo, s4
	v_mov_b32_e32 v54, 0
	ds_load_b64 v[54:55], v54 offset:8
	s_waitcnt lgkmcnt(0)
	v_mul_f64 v[49:50], v[49:50], v[54:55]
	scratch_store_b64 off, v[49:50], off offset:8
.LBB23_218:
	s_or_b32 exec_lo, exec_lo, s3
	scratch_load_b64 v[49:50], off, off
	s_mov_b32 s0, 0
	s_mov_b32 s3, exec_lo
	s_waitcnt vmcnt(0)
	ds_store_b64 v52, v[49:50]
	s_waitcnt lgkmcnt(0)
	s_waitcnt_vscnt null, 0x0
	s_barrier
	buffer_gl0_inv
	v_cmpx_ne_u32_e32 0, v0
	s_cbranch_execz .LBB23_228
; %bb.219:
	s_and_not1_b32 vcc_lo, exec_lo, s2
	s_cbranch_vccnz .LBB23_221
; %bb.220:
	scratch_load_b64 v[49:50], v53, off
	ds_load_b64 v[54:55], v52
	s_waitcnt vmcnt(0) lgkmcnt(0)
	v_mul_f64 v[49:50], v[49:50], v[54:55]
	s_cbranch_execz .LBB23_222
	s_branch .LBB23_223
.LBB23_221:
                                        ; implicit-def: $vgpr49_vgpr50
.LBB23_222:
	ds_load_b64 v[49:50], v52
.LBB23_223:
	s_and_saveexec_b32 s4, s1
	s_cbranch_execz .LBB23_227
; %bb.224:
	v_or_b32_e64 v54, 0, 8
	v_add_nc_u32_e32 v55, -1, v0
	s_movk_i32 s5, 0xc8
	s_mov_b32 s1, 0
.LBB23_225:                             ; =>This Inner Loop Header: Depth=1
	scratch_load_b64 v[56:57], v54, off
	v_dual_mov_b32 v58, s5 :: v_dual_add_nc_u32 v55, -1, v55
	v_add_nc_u32_e32 v54, 8, v54
	s_add_i32 s5, s5, 8
	ds_load_b64 v[58:59], v58
	v_cmp_eq_u32_e32 vcc_lo, 0, v55
	s_or_b32 s1, vcc_lo, s1
	s_waitcnt vmcnt(0) lgkmcnt(0)
	v_fma_f64 v[49:50], v[56:57], v[58:59], v[49:50]
	s_and_not1_b32 exec_lo, exec_lo, s1
	s_cbranch_execnz .LBB23_225
; %bb.226:
	s_or_b32 exec_lo, exec_lo, s1
.LBB23_227:
	s_delay_alu instid0(SALU_CYCLE_1)
	s_or_b32 exec_lo, exec_lo, s4
	v_mov_b32_e32 v54, 0
	ds_load_b64 v[54:55], v54
	s_waitcnt lgkmcnt(0)
	v_mul_f64 v[49:50], v[49:50], v[54:55]
	scratch_store_b64 off, v[49:50], off
.LBB23_228:
	s_or_b32 exec_lo, exec_lo, s3
.LBB23_229:
	s_delay_alu instid0(SALU_CYCLE_1)
	s_and_b32 vcc_lo, exec_lo, s0
	s_cbranch_vccz .LBB23_455
; %bb.230:
	scratch_load_b64 v[49:50], off, off offset:8
	v_cmp_eq_u32_e64 s0, 0, v0
	s_waitcnt vmcnt(0)
	ds_store_b64 v52, v[49:50]
	s_waitcnt lgkmcnt(0)
	s_waitcnt_vscnt null, 0x0
	s_barrier
	buffer_gl0_inv
	s_and_saveexec_b32 s1, s0
	s_cbranch_execz .LBB23_236
; %bb.231:
	s_and_b32 vcc_lo, exec_lo, s2
	s_cbranch_vccz .LBB23_233
; %bb.232:
	scratch_load_b64 v[49:50], v53, off
	ds_load_b64 v[54:55], v52
	s_waitcnt vmcnt(0) lgkmcnt(0)
	v_mul_f64 v[49:50], v[49:50], v[54:55]
	s_cbranch_execz .LBB23_234
	s_branch .LBB23_235
.LBB23_233:
                                        ; implicit-def: $vgpr49_vgpr50
.LBB23_234:
	ds_load_b64 v[49:50], v52
.LBB23_235:
	v_mov_b32_e32 v54, 0
	ds_load_b64 v[54:55], v54 offset:8
	s_waitcnt lgkmcnt(0)
	v_mul_f64 v[49:50], v[49:50], v[54:55]
	scratch_store_b64 off, v[49:50], off offset:8
.LBB23_236:
	s_or_b32 exec_lo, exec_lo, s1
	scratch_load_b64 v[49:50], off, off offset:16
	v_cndmask_b32_e64 v54, 0, 1, s2
	s_mov_b32 s1, exec_lo
	s_waitcnt vmcnt(0)
	ds_store_b64 v52, v[49:50]
	s_waitcnt lgkmcnt(0)
	s_waitcnt_vscnt null, 0x0
	s_barrier
	buffer_gl0_inv
	v_cmpx_gt_u32_e32 2, v0
	s_cbranch_execz .LBB23_244
; %bb.237:
	s_and_not1_b32 vcc_lo, exec_lo, s2
	s_cbranch_vccnz .LBB23_239
; %bb.238:
	scratch_load_b64 v[49:50], v53, off
	ds_load_b64 v[55:56], v52
	s_waitcnt vmcnt(0) lgkmcnt(0)
	v_mul_f64 v[49:50], v[49:50], v[55:56]
	s_cbranch_execz .LBB23_240
	s_branch .LBB23_241
.LBB23_239:
                                        ; implicit-def: $vgpr49_vgpr50
.LBB23_240:
	ds_load_b64 v[49:50], v52
.LBB23_241:
	s_and_saveexec_b32 s2, s0
	s_cbranch_execz .LBB23_243
; %bb.242:
	scratch_load_b64 v[55:56], v53, off offset:8
	ds_load_b64 v[57:58], v52 offset:8
	s_waitcnt vmcnt(0) lgkmcnt(0)
	v_fma_f64 v[49:50], v[55:56], v[57:58], v[49:50]
.LBB23_243:
	s_or_b32 exec_lo, exec_lo, s2
	v_mov_b32_e32 v55, 0
	ds_load_b64 v[55:56], v55 offset:16
	s_waitcnt lgkmcnt(0)
	v_mul_f64 v[49:50], v[49:50], v[55:56]
	scratch_store_b64 off, v[49:50], off offset:16
.LBB23_244:
	s_or_b32 exec_lo, exec_lo, s1
	scratch_load_b64 v[49:50], off, off offset:24
	s_mov_b32 s1, exec_lo
	s_waitcnt vmcnt(0)
	ds_store_b64 v52, v[49:50]
	s_waitcnt lgkmcnt(0)
	s_waitcnt_vscnt null, 0x0
	s_barrier
	buffer_gl0_inv
	v_cmpx_gt_u32_e32 3, v0
	s_cbranch_execz .LBB23_254
; %bb.245:
	v_cmp_ne_u32_e32 vcc_lo, 1, v54
	s_cbranch_vccnz .LBB23_247
; %bb.246:
	scratch_load_b64 v[49:50], v53, off
	ds_load_b64 v[55:56], v52
	s_waitcnt vmcnt(0) lgkmcnt(0)
	v_mul_f64 v[49:50], v[49:50], v[55:56]
	s_cbranch_execz .LBB23_248
	s_branch .LBB23_249
.LBB23_247:
                                        ; implicit-def: $vgpr49_vgpr50
.LBB23_248:
	ds_load_b64 v[49:50], v52
.LBB23_249:
	s_mov_b32 s2, exec_lo
	v_cmpx_ne_u32_e32 2, v0
	s_cbranch_execz .LBB23_253
; %bb.250:
	scratch_load_b64 v[55:56], v53, off offset:8
	ds_load_b64 v[57:58], v52 offset:8
	s_waitcnt vmcnt(0) lgkmcnt(0)
	v_fma_f64 v[49:50], v[55:56], v[57:58], v[49:50]
	s_and_saveexec_b32 s3, s0
	s_cbranch_execz .LBB23_252
; %bb.251:
	scratch_load_b64 v[55:56], off, off offset:16
	v_mov_b32_e32 v57, 0
	ds_load_b64 v[57:58], v57 offset:208
	s_waitcnt vmcnt(0) lgkmcnt(0)
	v_fma_f64 v[49:50], v[55:56], v[57:58], v[49:50]
.LBB23_252:
	s_or_b32 exec_lo, exec_lo, s3
.LBB23_253:
	s_delay_alu instid0(SALU_CYCLE_1)
	s_or_b32 exec_lo, exec_lo, s2
	v_mov_b32_e32 v55, 0
	ds_load_b64 v[55:56], v55 offset:24
	s_waitcnt lgkmcnt(0)
	v_mul_f64 v[49:50], v[49:50], v[55:56]
	scratch_store_b64 off, v[49:50], off offset:24
.LBB23_254:
	s_or_b32 exec_lo, exec_lo, s1
	scratch_load_b64 v[49:50], off, off offset:32
	s_mov_b32 s0, exec_lo
	s_waitcnt vmcnt(0)
	ds_store_b64 v52, v[49:50]
	s_waitcnt lgkmcnt(0)
	s_waitcnt_vscnt null, 0x0
	s_barrier
	buffer_gl0_inv
	v_cmpx_gt_u32_e32 4, v0
	s_cbranch_execz .LBB23_264
; %bb.255:
	v_cmp_ne_u32_e32 vcc_lo, 1, v54
	s_cbranch_vccnz .LBB23_257
; %bb.256:
	scratch_load_b64 v[49:50], v53, off
	ds_load_b64 v[55:56], v52
	s_waitcnt vmcnt(0) lgkmcnt(0)
	v_mul_f64 v[49:50], v[49:50], v[55:56]
	s_cbranch_execz .LBB23_258
	s_branch .LBB23_259
.LBB23_257:
                                        ; implicit-def: $vgpr49_vgpr50
.LBB23_258:
	ds_load_b64 v[49:50], v52
.LBB23_259:
	s_mov_b32 s1, exec_lo
	v_cmpx_ne_u32_e32 3, v0
	s_cbranch_execz .LBB23_263
; %bb.260:
	v_add_nc_u32_e32 v55, 0xc8, v51
	v_add3_u32 v56, 0, v51, 8
	v_mov_b32_e32 v57, v0
	s_mov_b32 s2, 0
.LBB23_261:                             ; =>This Inner Loop Header: Depth=1
	scratch_load_b64 v[58:59], v56, off
	ds_load_b64 v[60:61], v55
	v_add_nc_u32_e32 v57, 1, v57
	v_add_nc_u32_e32 v55, 8, v55
	v_add_nc_u32_e32 v56, 8, v56
	s_delay_alu instid0(VALU_DEP_3)
	v_cmp_lt_u32_e32 vcc_lo, 2, v57
	s_or_b32 s2, vcc_lo, s2
	s_waitcnt vmcnt(0) lgkmcnt(0)
	v_fma_f64 v[49:50], v[58:59], v[60:61], v[49:50]
	s_and_not1_b32 exec_lo, exec_lo, s2
	s_cbranch_execnz .LBB23_261
; %bb.262:
	s_or_b32 exec_lo, exec_lo, s2
.LBB23_263:
	s_delay_alu instid0(SALU_CYCLE_1)
	s_or_b32 exec_lo, exec_lo, s1
	v_mov_b32_e32 v55, 0
	ds_load_b64 v[55:56], v55 offset:32
	s_waitcnt lgkmcnt(0)
	v_mul_f64 v[49:50], v[49:50], v[55:56]
	scratch_store_b64 off, v[49:50], off offset:32
.LBB23_264:
	s_or_b32 exec_lo, exec_lo, s0
	scratch_load_b64 v[49:50], off, off offset:40
	s_mov_b32 s0, exec_lo
	s_waitcnt vmcnt(0)
	ds_store_b64 v52, v[49:50]
	s_waitcnt lgkmcnt(0)
	s_waitcnt_vscnt null, 0x0
	s_barrier
	buffer_gl0_inv
	v_cmpx_gt_u32_e32 5, v0
	s_cbranch_execz .LBB23_274
; %bb.265:
	v_cmp_ne_u32_e32 vcc_lo, 1, v54
	s_cbranch_vccnz .LBB23_267
; %bb.266:
	scratch_load_b64 v[49:50], v53, off
	ds_load_b64 v[55:56], v52
	s_waitcnt vmcnt(0) lgkmcnt(0)
	v_mul_f64 v[49:50], v[49:50], v[55:56]
	s_cbranch_execz .LBB23_268
	s_branch .LBB23_269
.LBB23_267:
                                        ; implicit-def: $vgpr49_vgpr50
.LBB23_268:
	ds_load_b64 v[49:50], v52
.LBB23_269:
	s_mov_b32 s1, exec_lo
	v_cmpx_ne_u32_e32 4, v0
	s_cbranch_execz .LBB23_273
; %bb.270:
	v_add_nc_u32_e32 v55, 0xc8, v51
	v_add3_u32 v56, 0, v51, 8
	v_mov_b32_e32 v57, v0
	s_mov_b32 s2, 0
.LBB23_271:                             ; =>This Inner Loop Header: Depth=1
	scratch_load_b64 v[58:59], v56, off
	ds_load_b64 v[60:61], v55
	v_add_nc_u32_e32 v57, 1, v57
	v_add_nc_u32_e32 v55, 8, v55
	v_add_nc_u32_e32 v56, 8, v56
	s_delay_alu instid0(VALU_DEP_3)
	v_cmp_lt_u32_e32 vcc_lo, 3, v57
	s_or_b32 s2, vcc_lo, s2
	s_waitcnt vmcnt(0) lgkmcnt(0)
	v_fma_f64 v[49:50], v[58:59], v[60:61], v[49:50]
	s_and_not1_b32 exec_lo, exec_lo, s2
	s_cbranch_execnz .LBB23_271
; %bb.272:
	s_or_b32 exec_lo, exec_lo, s2
.LBB23_273:
	s_delay_alu instid0(SALU_CYCLE_1)
	s_or_b32 exec_lo, exec_lo, s1
	v_mov_b32_e32 v55, 0
	ds_load_b64 v[55:56], v55 offset:40
	s_waitcnt lgkmcnt(0)
	v_mul_f64 v[49:50], v[49:50], v[55:56]
	scratch_store_b64 off, v[49:50], off offset:40
.LBB23_274:
	;; [unrolled: 58-line block ×18, first 2 shown]
	s_or_b32 exec_lo, exec_lo, s0
	scratch_load_b64 v[49:50], off, off offset:176
	v_cmp_gt_u32_e64 s0, 22, v0
	s_waitcnt vmcnt(0)
	ds_store_b64 v52, v[49:50]
	s_waitcnt lgkmcnt(0)
	s_waitcnt_vscnt null, 0x0
	s_barrier
	buffer_gl0_inv
	s_and_saveexec_b32 s1, s0
	s_cbranch_execz .LBB23_444
; %bb.435:
	v_cmp_ne_u32_e32 vcc_lo, 1, v54
	s_cbranch_vccnz .LBB23_437
; %bb.436:
	scratch_load_b64 v[49:50], v53, off
	ds_load_b64 v[55:56], v52
	s_waitcnt vmcnt(0) lgkmcnt(0)
	v_mul_f64 v[49:50], v[49:50], v[55:56]
	s_cbranch_execz .LBB23_438
	s_branch .LBB23_439
.LBB23_437:
                                        ; implicit-def: $vgpr49_vgpr50
.LBB23_438:
	ds_load_b64 v[49:50], v52
.LBB23_439:
	s_mov_b32 s2, exec_lo
	v_cmpx_ne_u32_e32 21, v0
	s_cbranch_execz .LBB23_443
; %bb.440:
	v_add_nc_u32_e32 v55, 0xc8, v51
	v_add3_u32 v56, 0, v51, 8
	v_mov_b32_e32 v57, v0
	s_mov_b32 s3, 0
.LBB23_441:                             ; =>This Inner Loop Header: Depth=1
	scratch_load_b64 v[58:59], v56, off
	ds_load_b64 v[60:61], v55
	v_add_nc_u32_e32 v57, 1, v57
	v_add_nc_u32_e32 v55, 8, v55
	;; [unrolled: 1-line block ×3, first 2 shown]
	s_delay_alu instid0(VALU_DEP_3)
	v_cmp_lt_u32_e32 vcc_lo, 20, v57
	s_or_b32 s3, vcc_lo, s3
	s_waitcnt vmcnt(0) lgkmcnt(0)
	v_fma_f64 v[49:50], v[58:59], v[60:61], v[49:50]
	s_and_not1_b32 exec_lo, exec_lo, s3
	s_cbranch_execnz .LBB23_441
; %bb.442:
	s_or_b32 exec_lo, exec_lo, s3
.LBB23_443:
	s_delay_alu instid0(SALU_CYCLE_1)
	s_or_b32 exec_lo, exec_lo, s2
	v_mov_b32_e32 v55, 0
	ds_load_b64 v[55:56], v55 offset:176
	s_waitcnt lgkmcnt(0)
	v_mul_f64 v[49:50], v[49:50], v[55:56]
	scratch_store_b64 off, v[49:50], off offset:176
.LBB23_444:
	s_or_b32 exec_lo, exec_lo, s1
	scratch_load_b64 v[49:50], off, off offset:184
	s_mov_b32 s1, exec_lo
	s_waitcnt vmcnt(0)
	ds_store_b64 v52, v[49:50]
	s_waitcnt lgkmcnt(0)
	s_waitcnt_vscnt null, 0x0
	s_barrier
	buffer_gl0_inv
	v_cmpx_ne_u32_e32 23, v0
	s_cbranch_execz .LBB23_454
; %bb.445:
	v_cmp_ne_u32_e32 vcc_lo, 1, v54
	s_cbranch_vccnz .LBB23_447
; %bb.446:
	scratch_load_b64 v[49:50], v53, off
	ds_load_b64 v[53:54], v52
	s_waitcnt vmcnt(0) lgkmcnt(0)
	v_mul_f64 v[49:50], v[49:50], v[53:54]
	s_cbranch_execz .LBB23_448
	s_branch .LBB23_449
.LBB23_447:
                                        ; implicit-def: $vgpr49_vgpr50
.LBB23_448:
	ds_load_b64 v[49:50], v52
.LBB23_449:
	s_and_saveexec_b32 s2, s0
	s_cbranch_execz .LBB23_453
; %bb.450:
	v_add_nc_u32_e32 v52, 0xc8, v51
	v_add3_u32 v51, 0, v51, 8
	s_mov_b32 s0, 0
.LBB23_451:                             ; =>This Inner Loop Header: Depth=1
	scratch_load_b64 v[53:54], v51, off
	ds_load_b64 v[55:56], v52
	v_add_nc_u32_e32 v0, 1, v0
	v_add_nc_u32_e32 v52, 8, v52
	;; [unrolled: 1-line block ×3, first 2 shown]
	s_delay_alu instid0(VALU_DEP_3)
	v_cmp_lt_u32_e32 vcc_lo, 21, v0
	s_or_b32 s0, vcc_lo, s0
	s_waitcnt vmcnt(0) lgkmcnt(0)
	v_fma_f64 v[49:50], v[53:54], v[55:56], v[49:50]
	s_and_not1_b32 exec_lo, exec_lo, s0
	s_cbranch_execnz .LBB23_451
; %bb.452:
	s_or_b32 exec_lo, exec_lo, s0
.LBB23_453:
	s_delay_alu instid0(SALU_CYCLE_1)
	s_or_b32 exec_lo, exec_lo, s2
	v_mov_b32_e32 v0, 0
	ds_load_b64 v[51:52], v0 offset:184
	s_waitcnt lgkmcnt(0)
	v_mul_f64 v[49:50], v[49:50], v[51:52]
	scratch_store_b64 off, v[49:50], off offset:184
.LBB23_454:
	s_or_b32 exec_lo, exec_lo, s1
.LBB23_455:
	s_clause 0xa
	scratch_load_b128 v[49:52], off, off
	scratch_load_b128 v[53:56], off, off offset:16
	scratch_load_b128 v[57:60], off, off offset:32
	;; [unrolled: 1-line block ×10, first 2 shown]
	s_waitcnt vmcnt(10)
	s_clause 0x1
	global_store_b64 v[7:8], v[49:50], off
	global_store_b64 v[5:6], v[51:52], off
	scratch_load_b128 v[5:8], off, off offset:176
	s_waitcnt vmcnt(10)
	s_clause 0x1
	global_store_b64 v[1:2], v[53:54], off
	global_store_b64 v[3:4], v[55:56], off
	s_waitcnt vmcnt(9)
	s_clause 0x1
	global_store_b64 v[9:10], v[57:58], off
	global_store_b64 v[11:12], v[59:60], off
	;; [unrolled: 4-line block ×11, first 2 shown]
.LBB23_456:
	s_endpgm
	.section	.rodata,"a",@progbits
	.p2align	6, 0x0
	.amdhsa_kernel _ZN9rocsolver6v33100L18trti2_kernel_smallILi24EdPdEEv13rocblas_fill_17rocblas_diagonal_T1_iil
		.amdhsa_group_segment_fixed_size 384
		.amdhsa_private_segment_fixed_size 208
		.amdhsa_kernarg_size 32
		.amdhsa_user_sgpr_count 15
		.amdhsa_user_sgpr_dispatch_ptr 0
		.amdhsa_user_sgpr_queue_ptr 0
		.amdhsa_user_sgpr_kernarg_segment_ptr 1
		.amdhsa_user_sgpr_dispatch_id 0
		.amdhsa_user_sgpr_private_segment_size 0
		.amdhsa_wavefront_size32 1
		.amdhsa_uses_dynamic_stack 0
		.amdhsa_enable_private_segment 1
		.amdhsa_system_sgpr_workgroup_id_x 1
		.amdhsa_system_sgpr_workgroup_id_y 0
		.amdhsa_system_sgpr_workgroup_id_z 0
		.amdhsa_system_sgpr_workgroup_info 0
		.amdhsa_system_vgpr_workitem_id 0
		.amdhsa_next_free_vgpr 93
		.amdhsa_next_free_sgpr 16
		.amdhsa_reserve_vcc 1
		.amdhsa_float_round_mode_32 0
		.amdhsa_float_round_mode_16_64 0
		.amdhsa_float_denorm_mode_32 3
		.amdhsa_float_denorm_mode_16_64 3
		.amdhsa_dx10_clamp 1
		.amdhsa_ieee_mode 1
		.amdhsa_fp16_overflow 0
		.amdhsa_workgroup_processor_mode 1
		.amdhsa_memory_ordered 1
		.amdhsa_forward_progress 0
		.amdhsa_shared_vgpr_count 0
		.amdhsa_exception_fp_ieee_invalid_op 0
		.amdhsa_exception_fp_denorm_src 0
		.amdhsa_exception_fp_ieee_div_zero 0
		.amdhsa_exception_fp_ieee_overflow 0
		.amdhsa_exception_fp_ieee_underflow 0
		.amdhsa_exception_fp_ieee_inexact 0
		.amdhsa_exception_int_div_zero 0
	.end_amdhsa_kernel
	.section	.text._ZN9rocsolver6v33100L18trti2_kernel_smallILi24EdPdEEv13rocblas_fill_17rocblas_diagonal_T1_iil,"axG",@progbits,_ZN9rocsolver6v33100L18trti2_kernel_smallILi24EdPdEEv13rocblas_fill_17rocblas_diagonal_T1_iil,comdat
.Lfunc_end23:
	.size	_ZN9rocsolver6v33100L18trti2_kernel_smallILi24EdPdEEv13rocblas_fill_17rocblas_diagonal_T1_iil, .Lfunc_end23-_ZN9rocsolver6v33100L18trti2_kernel_smallILi24EdPdEEv13rocblas_fill_17rocblas_diagonal_T1_iil
                                        ; -- End function
	.section	.AMDGPU.csdata,"",@progbits
; Kernel info:
; codeLenInByte = 12784
; NumSgprs: 18
; NumVgprs: 93
; ScratchSize: 208
; MemoryBound: 0
; FloatMode: 240
; IeeeMode: 1
; LDSByteSize: 384 bytes/workgroup (compile time only)
; SGPRBlocks: 2
; VGPRBlocks: 11
; NumSGPRsForWavesPerEU: 18
; NumVGPRsForWavesPerEU: 93
; Occupancy: 16
; WaveLimiterHint : 0
; COMPUTE_PGM_RSRC2:SCRATCH_EN: 1
; COMPUTE_PGM_RSRC2:USER_SGPR: 15
; COMPUTE_PGM_RSRC2:TRAP_HANDLER: 0
; COMPUTE_PGM_RSRC2:TGID_X_EN: 1
; COMPUTE_PGM_RSRC2:TGID_Y_EN: 0
; COMPUTE_PGM_RSRC2:TGID_Z_EN: 0
; COMPUTE_PGM_RSRC2:TIDIG_COMP_CNT: 0
	.section	.text._ZN9rocsolver6v33100L18trti2_kernel_smallILi25EdPdEEv13rocblas_fill_17rocblas_diagonal_T1_iil,"axG",@progbits,_ZN9rocsolver6v33100L18trti2_kernel_smallILi25EdPdEEv13rocblas_fill_17rocblas_diagonal_T1_iil,comdat
	.globl	_ZN9rocsolver6v33100L18trti2_kernel_smallILi25EdPdEEv13rocblas_fill_17rocblas_diagonal_T1_iil ; -- Begin function _ZN9rocsolver6v33100L18trti2_kernel_smallILi25EdPdEEv13rocblas_fill_17rocblas_diagonal_T1_iil
	.p2align	8
	.type	_ZN9rocsolver6v33100L18trti2_kernel_smallILi25EdPdEEv13rocblas_fill_17rocblas_diagonal_T1_iil,@function
_ZN9rocsolver6v33100L18trti2_kernel_smallILi25EdPdEEv13rocblas_fill_17rocblas_diagonal_T1_iil: ; @_ZN9rocsolver6v33100L18trti2_kernel_smallILi25EdPdEEv13rocblas_fill_17rocblas_diagonal_T1_iil
; %bb.0:
	s_mov_b32 s2, exec_lo
	v_cmpx_gt_u32_e32 25, v0
	s_cbranch_execz .LBB24_476
; %bb.1:
	s_load_b256 s[0:7], s[0:1], 0x0
	s_ashr_i32 s10, s15, 31
	v_lshlrev_b32_e32 v53, 3, v0
	v_mov_b32_e32 v51, 0
	v_mov_b32_e32 v52, 0xbff00000
	s_waitcnt lgkmcnt(0)
	v_add3_u32 v1, s5, s5, v0
	s_ashr_i32 s9, s4, 31
	s_mov_b32 s8, s4
	s_mul_i32 s4, s15, s7
	s_mul_hi_u32 s7, s15, s6
	s_mul_i32 s11, s10, s6
	s_add_i32 s4, s7, s4
	s_mul_i32 s6, s15, s6
	s_add_i32 s7, s4, s11
	v_add_nc_u32_e32 v3, s5, v1
	s_lshl_b64 s[6:7], s[6:7], 3
	v_ashrrev_i32_e32 v2, 31, v1
	s_add_u32 s4, s2, s6
	s_addc_u32 s6, s3, s7
	s_lshl_b64 s[2:3], s[8:9], 3
	v_add_nc_u32_e32 v5, s5, v3
	s_add_u32 s2, s4, s2
	v_ashrrev_i32_e32 v4, 31, v3
	s_addc_u32 s3, s6, s3
	v_add_co_u32 v9, s4, s2, v53
	s_mov_b32 s10, s5
	s_ashr_i32 s11, s5, 31
	v_add_nc_u32_e32 v13, s5, v5
	v_lshlrev_b64 v[1:2], 3, v[1:2]
	v_add_co_ci_u32_e64 v10, null, s3, 0, s4
	s_lshl_b64 s[6:7], s[10:11], 3
	v_ashrrev_i32_e32 v6, 31, v5
	v_lshlrev_b64 v[3:4], 3, v[3:4]
	v_add_co_u32 v11, vcc_lo, v9, s6
	v_ashrrev_i32_e32 v14, 31, v13
	v_add_co_ci_u32_e32 v12, vcc_lo, s7, v10, vcc_lo
	v_add_co_u32 v1, vcc_lo, s2, v1
	v_lshlrev_b64 v[5:6], 3, v[5:6]
	v_add_co_ci_u32_e32 v2, vcc_lo, s3, v2, vcc_lo
	v_add_co_u32 v3, vcc_lo, s2, v3
	v_lshlrev_b64 v[7:8], 3, v[13:14]
	v_add_co_ci_u32_e32 v4, vcc_lo, s3, v4, vcc_lo
	v_add_co_u32 v5, vcc_lo, s2, v5
	v_add_co_ci_u32_e32 v6, vcc_lo, s3, v6, vcc_lo
	s_delay_alu instid0(VALU_DEP_4)
	v_add_co_u32 v7, vcc_lo, s2, v7
	v_add_co_ci_u32_e32 v8, vcc_lo, s3, v8, vcc_lo
	s_clause 0x5
	global_load_b64 v[54:55], v53, s[2:3]
	global_load_b64 v[56:57], v[11:12], off
	global_load_b64 v[58:59], v[1:2], off
	global_load_b64 v[60:61], v[3:4], off
	global_load_b64 v[62:63], v[5:6], off
	global_load_b64 v[64:65], v[7:8], off
	v_add_nc_u32_e32 v13, s5, v13
	s_cmpk_lg_i32 s1, 0x84
	s_delay_alu instid0(VALU_DEP_1) | instskip(SKIP_1) | instid1(VALU_DEP_2)
	v_add_nc_u32_e32 v15, s5, v13
	v_ashrrev_i32_e32 v14, 31, v13
	v_add_nc_u32_e32 v17, s5, v15
	v_ashrrev_i32_e32 v16, 31, v15
	s_delay_alu instid0(VALU_DEP_3) | instskip(NEXT) | instid1(VALU_DEP_3)
	v_lshlrev_b64 v[13:14], 3, v[13:14]
	v_add_nc_u32_e32 v19, s5, v17
	v_ashrrev_i32_e32 v18, 31, v17
	s_delay_alu instid0(VALU_DEP_4) | instskip(NEXT) | instid1(VALU_DEP_4)
	v_lshlrev_b64 v[15:16], 3, v[15:16]
	v_add_co_u32 v13, vcc_lo, s2, v13
	s_delay_alu instid0(VALU_DEP_4) | instskip(SKIP_3) | instid1(VALU_DEP_4)
	v_add_nc_u32_e32 v21, s5, v19
	v_ashrrev_i32_e32 v20, 31, v19
	v_lshlrev_b64 v[17:18], 3, v[17:18]
	v_add_co_ci_u32_e32 v14, vcc_lo, s3, v14, vcc_lo
	v_add_nc_u32_e32 v23, s5, v21
	v_ashrrev_i32_e32 v22, 31, v21
	v_add_co_u32 v15, vcc_lo, s2, v15
	v_lshlrev_b64 v[19:20], 3, v[19:20]
	s_delay_alu instid0(VALU_DEP_4) | instskip(SKIP_3) | instid1(VALU_DEP_4)
	v_add_nc_u32_e32 v25, s5, v23
	v_ashrrev_i32_e32 v24, 31, v23
	v_add_co_ci_u32_e32 v16, vcc_lo, s3, v16, vcc_lo
	v_add_co_u32 v17, vcc_lo, s2, v17
	v_add_nc_u32_e32 v27, s5, v25
	v_lshlrev_b64 v[21:22], 3, v[21:22]
	v_ashrrev_i32_e32 v26, 31, v25
	v_add_co_ci_u32_e32 v18, vcc_lo, s3, v18, vcc_lo
	s_delay_alu instid0(VALU_DEP_4) | instskip(SKIP_3) | instid1(VALU_DEP_4)
	v_add_nc_u32_e32 v29, s5, v27
	v_add_co_u32 v19, vcc_lo, s2, v19
	v_lshlrev_b64 v[23:24], 3, v[23:24]
	v_ashrrev_i32_e32 v28, 31, v27
	v_add_nc_u32_e32 v31, s5, v29
	v_add_co_ci_u32_e32 v20, vcc_lo, s3, v20, vcc_lo
	v_add_co_u32 v21, vcc_lo, s2, v21
	s_delay_alu instid0(VALU_DEP_3) | instskip(SKIP_3) | instid1(VALU_DEP_4)
	v_add_nc_u32_e32 v33, s5, v31
	v_lshlrev_b64 v[25:26], 3, v[25:26]
	v_ashrrev_i32_e32 v30, 31, v29
	v_add_co_ci_u32_e32 v22, vcc_lo, s3, v22, vcc_lo
	v_add_nc_u32_e32 v35, s5, v33
	v_add_co_u32 v23, vcc_lo, s2, v23
	v_lshlrev_b64 v[27:28], 3, v[27:28]
	v_ashrrev_i32_e32 v32, 31, v31
	s_delay_alu instid0(VALU_DEP_4) | instskip(SKIP_2) | instid1(VALU_DEP_3)
	v_add_nc_u32_e32 v37, s5, v35
	v_add_co_ci_u32_e32 v24, vcc_lo, s3, v24, vcc_lo
	v_add_co_u32 v25, vcc_lo, s2, v25
	v_add_nc_u32_e32 v39, s5, v37
	v_lshlrev_b64 v[29:30], 3, v[29:30]
	v_ashrrev_i32_e32 v34, 31, v33
	v_add_co_ci_u32_e32 v26, vcc_lo, s3, v26, vcc_lo
	s_delay_alu instid0(VALU_DEP_4)
	v_add_nc_u32_e32 v41, s5, v39
	v_add_co_u32 v27, vcc_lo, s2, v27
	v_lshlrev_b64 v[31:32], 3, v[31:32]
	v_ashrrev_i32_e32 v36, 31, v35
	v_add_co_ci_u32_e32 v28, vcc_lo, s3, v28, vcc_lo
	v_add_nc_u32_e32 v43, s5, v41
	v_add_co_u32 v29, vcc_lo, s2, v29
	v_lshlrev_b64 v[33:34], 3, v[33:34]
	v_ashrrev_i32_e32 v38, 31, v37
	v_add_co_ci_u32_e32 v30, vcc_lo, s3, v30, vcc_lo
	v_add_co_u32 v31, vcc_lo, s2, v31
	v_lshlrev_b64 v[35:36], 3, v[35:36]
	v_ashrrev_i32_e32 v40, 31, v39
	v_add_nc_u32_e32 v45, s5, v43
	v_add_co_ci_u32_e32 v32, vcc_lo, s3, v32, vcc_lo
	v_add_co_u32 v33, vcc_lo, s2, v33
	v_lshlrev_b64 v[37:38], 3, v[37:38]
	v_ashrrev_i32_e32 v42, 31, v41
	v_add_co_ci_u32_e32 v34, vcc_lo, s3, v34, vcc_lo
	v_add_co_u32 v35, vcc_lo, s2, v35
	v_lshlrev_b64 v[39:40], 3, v[39:40]
	v_add_nc_u32_e32 v47, s5, v45
	v_ashrrev_i32_e32 v44, 31, v43
	v_add_co_ci_u32_e32 v36, vcc_lo, s3, v36, vcc_lo
	v_add_co_u32 v37, vcc_lo, s2, v37
	v_lshlrev_b64 v[41:42], 3, v[41:42]
	v_ashrrev_i32_e32 v46, 31, v45
	v_add_co_ci_u32_e32 v38, vcc_lo, s3, v38, vcc_lo
	v_add_nc_u32_e32 v49, s5, v47
	v_add_co_u32 v39, vcc_lo, s2, v39
	v_lshlrev_b64 v[43:44], 3, v[43:44]
	v_ashrrev_i32_e32 v48, 31, v47
	v_add_co_ci_u32_e32 v40, vcc_lo, s3, v40, vcc_lo
	v_add_co_u32 v41, vcc_lo, s2, v41
	v_lshlrev_b64 v[45:46], 3, v[45:46]
	v_ashrrev_i32_e32 v50, 31, v49
	v_add_co_ci_u32_e32 v42, vcc_lo, s3, v42, vcc_lo
	v_add_co_u32 v43, vcc_lo, s2, v43
	v_lshlrev_b64 v[47:48], 3, v[47:48]
	v_add_co_ci_u32_e32 v44, vcc_lo, s3, v44, vcc_lo
	v_add_co_u32 v45, vcc_lo, s2, v45
	v_lshlrev_b64 v[49:50], 3, v[49:50]
	v_add_co_ci_u32_e32 v46, vcc_lo, s3, v46, vcc_lo
	v_add_co_u32 v47, vcc_lo, s2, v47
	v_add_co_ci_u32_e32 v48, vcc_lo, s3, v48, vcc_lo
	s_delay_alu instid0(VALU_DEP_4)
	v_add_co_u32 v49, vcc_lo, s2, v49
	s_clause 0xa
	global_load_b64 v[66:67], v[13:14], off
	global_load_b64 v[68:69], v[15:16], off
	;; [unrolled: 1-line block ×11, first 2 shown]
	v_add_co_ci_u32_e32 v50, vcc_lo, s3, v50, vcc_lo
	s_cselect_b32 s2, -1, 0
	s_cmpk_eq_i32 s1, 0x84
	s_waitcnt vmcnt(15)
	scratch_store_b128 off, v[54:57], off
	s_clause 0x3
	global_load_b64 v[88:89], v[35:36], off
	global_load_b64 v[54:55], v[37:38], off
	;; [unrolled: 1-line block ×4, first 2 shown]
	s_waitcnt vmcnt(17)
	scratch_store_b128 off, v[58:61], off offset:16
	s_waitcnt vmcnt(15)
	scratch_store_b128 off, v[62:65], off offset:32
	s_clause 0x3
	global_load_b64 v[92:93], v[43:44], off
	global_load_b64 v[58:59], v[45:46], off
	;; [unrolled: 1-line block ×4, first 2 shown]
	s_waitcnt vmcnt(17)
	scratch_store_b128 off, v[66:69], off offset:48
	s_waitcnt vmcnt(15)
	scratch_store_b128 off, v[70:73], off offset:64
	;; [unrolled: 2-line block ×9, first 2 shown]
	s_waitcnt vmcnt(0)
	scratch_store_b64 off, v[62:63], off offset:192
	s_cbranch_scc1 .LBB24_3
; %bb.2:
	scratch_load_b64 v[51:52], v53, off
	s_waitcnt vmcnt(0)
	v_div_scale_f64 v[54:55], null, v[51:52], v[51:52], 1.0
	v_div_scale_f64 v[60:61], vcc_lo, 1.0, v[51:52], 1.0
	s_delay_alu instid0(VALU_DEP_2) | instskip(SKIP_2) | instid1(VALU_DEP_1)
	v_rcp_f64_e32 v[56:57], v[54:55]
	s_waitcnt_depctr 0xfff
	v_fma_f64 v[58:59], -v[54:55], v[56:57], 1.0
	v_fma_f64 v[56:57], v[56:57], v[58:59], v[56:57]
	s_delay_alu instid0(VALU_DEP_1) | instskip(NEXT) | instid1(VALU_DEP_1)
	v_fma_f64 v[58:59], -v[54:55], v[56:57], 1.0
	v_fma_f64 v[56:57], v[56:57], v[58:59], v[56:57]
	s_delay_alu instid0(VALU_DEP_1) | instskip(NEXT) | instid1(VALU_DEP_1)
	v_mul_f64 v[58:59], v[60:61], v[56:57]
	v_fma_f64 v[54:55], -v[54:55], v[58:59], v[60:61]
	s_delay_alu instid0(VALU_DEP_1) | instskip(NEXT) | instid1(VALU_DEP_1)
	v_div_fmas_f64 v[54:55], v[54:55], v[56:57], v[58:59]
	v_div_fixup_f64 v[51:52], v[54:55], v[51:52], 1.0
	scratch_store_b64 v53, v[51:52], off
	v_xor_b32_e32 v52, 0x80000000, v52
.LBB24_3:
	v_add_nc_u32_e32 v54, 0xd0, v53
	v_add_nc_u32_e32 v55, 0, v53
	s_cmpk_eq_i32 s0, 0x79
	s_mov_b32 s0, -1
	ds_store_b64 v53, v[51:52]
	s_cbranch_scc1 .LBB24_239
; %bb.4:
	scratch_load_b64 v[51:52], off, off offset:184
	v_cmp_eq_u32_e64 s1, 24, v0
	s_movk_i32 s0, 0x50
	s_movk_i32 s3, 0x60
	;; [unrolled: 1-line block ×7, first 2 shown]
	s_waitcnt vmcnt(0)
	ds_store_b64 v54, v[51:52]
	s_waitcnt lgkmcnt(0)
	s_waitcnt_vscnt null, 0x0
	s_barrier
	buffer_gl0_inv
	s_and_saveexec_b32 s9, s1
	s_cbranch_execz .LBB24_10
; %bb.5:
	s_and_b32 vcc_lo, exec_lo, s2
	s_cbranch_vccz .LBB24_7
; %bb.6:
	scratch_load_b64 v[51:52], v55, off
	ds_load_b64 v[56:57], v54
	s_waitcnt vmcnt(0) lgkmcnt(0)
	v_mul_f64 v[51:52], v[51:52], v[56:57]
	s_cbranch_execz .LBB24_8
	s_branch .LBB24_9
.LBB24_7:
                                        ; implicit-def: $vgpr51_vgpr52
.LBB24_8:
	ds_load_b64 v[51:52], v54
.LBB24_9:
	v_mov_b32_e32 v56, 0
	ds_load_b64 v[56:57], v56 offset:184
	s_waitcnt lgkmcnt(0)
	v_mul_f64 v[51:52], v[51:52], v[56:57]
	scratch_store_b64 off, v[51:52], off offset:184
.LBB24_10:
	s_or_b32 exec_lo, exec_lo, s9
	scratch_load_b64 v[51:52], off, off offset:176
	v_add_nc_u32_e64 v56, 0, 16
	v_add_nc_u32_e64 v57, 0, 32
	;; [unrolled: 1-line block ×11, first 2 shown]
	v_cmp_lt_u32_e64 s0, 22, v0
	s_waitcnt vmcnt(0)
	ds_store_b64 v54, v[51:52]
	s_waitcnt lgkmcnt(0)
	s_waitcnt_vscnt null, 0x0
	s_barrier
	buffer_gl0_inv
	s_and_saveexec_b32 s3, s0
	s_cbranch_execz .LBB24_18
; %bb.11:
	s_and_not1_b32 vcc_lo, exec_lo, s2
	s_cbranch_vccnz .LBB24_13
; %bb.12:
	scratch_load_b64 v[51:52], v55, off
	ds_load_b64 v[67:68], v54
	s_waitcnt vmcnt(0) lgkmcnt(0)
	v_mul_f64 v[51:52], v[51:52], v[67:68]
	s_cbranch_execz .LBB24_14
	s_branch .LBB24_15
.LBB24_13:
                                        ; implicit-def: $vgpr51_vgpr52
.LBB24_14:
	ds_load_b64 v[51:52], v54
.LBB24_15:
	s_and_saveexec_b32 s4, s1
	s_cbranch_execz .LBB24_17
; %bb.16:
	scratch_load_b64 v[67:68], off, off offset:184
	v_mov_b32_e32 v69, 0
	ds_load_b64 v[69:70], v69 offset:392
	s_waitcnt vmcnt(0) lgkmcnt(0)
	v_fma_f64 v[51:52], v[67:68], v[69:70], v[51:52]
.LBB24_17:
	s_or_b32 exec_lo, exec_lo, s4
	v_mov_b32_e32 v67, 0
	ds_load_b64 v[67:68], v67 offset:176
	s_waitcnt lgkmcnt(0)
	v_mul_f64 v[51:52], v[51:52], v[67:68]
	scratch_store_b64 off, v[51:52], off offset:176
.LBB24_18:
	s_or_b32 exec_lo, exec_lo, s3
	scratch_load_b64 v[51:52], off, off offset:168
	v_cmp_lt_u32_e64 s1, 21, v0
	s_waitcnt vmcnt(0)
	ds_store_b64 v54, v[51:52]
	s_waitcnt lgkmcnt(0)
	s_waitcnt_vscnt null, 0x0
	s_barrier
	buffer_gl0_inv
	s_and_saveexec_b32 s3, s1
	s_cbranch_execz .LBB24_28
; %bb.19:
	s_and_not1_b32 vcc_lo, exec_lo, s2
	s_cbranch_vccnz .LBB24_21
; %bb.20:
	scratch_load_b64 v[51:52], v55, off
	ds_load_b64 v[67:68], v54
	s_waitcnt vmcnt(0) lgkmcnt(0)
	v_mul_f64 v[51:52], v[51:52], v[67:68]
	s_cbranch_execz .LBB24_22
	s_branch .LBB24_23
.LBB24_21:
                                        ; implicit-def: $vgpr51_vgpr52
.LBB24_22:
	ds_load_b64 v[51:52], v54
.LBB24_23:
	s_and_saveexec_b32 s4, s0
	s_cbranch_execz .LBB24_27
; %bb.24:
	v_subrev_nc_u32_e32 v67, 22, v0
	s_movk_i32 s5, 0x180
	s_mov_b32 s0, 0
.LBB24_25:                              ; =>This Inner Loop Header: Depth=1
	scratch_load_b64 v[68:69], v66, off
	v_dual_mov_b32 v70, s5 :: v_dual_add_nc_u32 v67, -1, v67
	v_add_nc_u32_e32 v66, 8, v66
	s_add_i32 s5, s5, 8
	ds_load_b64 v[70:71], v70
	v_cmp_eq_u32_e32 vcc_lo, 0, v67
	s_or_b32 s0, vcc_lo, s0
	s_waitcnt vmcnt(0) lgkmcnt(0)
	v_fma_f64 v[51:52], v[68:69], v[70:71], v[51:52]
	s_and_not1_b32 exec_lo, exec_lo, s0
	s_cbranch_execnz .LBB24_25
; %bb.26:
	s_or_b32 exec_lo, exec_lo, s0
.LBB24_27:
	s_delay_alu instid0(SALU_CYCLE_1)
	s_or_b32 exec_lo, exec_lo, s4
	v_mov_b32_e32 v66, 0
	ds_load_b64 v[66:67], v66 offset:168
	s_waitcnt lgkmcnt(0)
	v_mul_f64 v[51:52], v[51:52], v[66:67]
	scratch_store_b64 off, v[51:52], off offset:168
.LBB24_28:
	s_or_b32 exec_lo, exec_lo, s3
	scratch_load_b64 v[51:52], off, off offset:160
	v_cmp_lt_u32_e64 s0, 20, v0
	s_waitcnt vmcnt(0)
	ds_store_b64 v54, v[51:52]
	s_waitcnt lgkmcnt(0)
	s_waitcnt_vscnt null, 0x0
	s_barrier
	buffer_gl0_inv
	s_and_saveexec_b32 s3, s0
	s_cbranch_execz .LBB24_38
; %bb.29:
	s_and_not1_b32 vcc_lo, exec_lo, s2
	s_cbranch_vccnz .LBB24_31
; %bb.30:
	scratch_load_b64 v[51:52], v55, off
	ds_load_b64 v[66:67], v54
	s_waitcnt vmcnt(0) lgkmcnt(0)
	v_mul_f64 v[51:52], v[51:52], v[66:67]
	s_cbranch_execz .LBB24_32
	s_branch .LBB24_33
.LBB24_31:
                                        ; implicit-def: $vgpr51_vgpr52
.LBB24_32:
	ds_load_b64 v[51:52], v54
.LBB24_33:
	s_and_saveexec_b32 s4, s1
	s_cbranch_execz .LBB24_37
; %bb.34:
	v_mov_b32_e32 v66, 0
	v_subrev_nc_u32_e32 v67, 21, v0
	s_movk_i32 s5, 0x178
	s_mov_b32 s1, 0
	s_delay_alu instid0(VALU_DEP_2)
	v_add_nc_u32_e32 v66, 0xa8, v66
.LBB24_35:                              ; =>This Inner Loop Header: Depth=1
	scratch_load_b64 v[68:69], v66, off
	v_dual_mov_b32 v70, s5 :: v_dual_add_nc_u32 v67, -1, v67
	v_add_nc_u32_e32 v66, 8, v66
	s_add_i32 s5, s5, 8
	ds_load_b64 v[70:71], v70
	v_cmp_eq_u32_e32 vcc_lo, 0, v67
	s_or_b32 s1, vcc_lo, s1
	s_waitcnt vmcnt(0) lgkmcnt(0)
	v_fma_f64 v[51:52], v[68:69], v[70:71], v[51:52]
	s_and_not1_b32 exec_lo, exec_lo, s1
	s_cbranch_execnz .LBB24_35
; %bb.36:
	s_or_b32 exec_lo, exec_lo, s1
.LBB24_37:
	s_delay_alu instid0(SALU_CYCLE_1)
	s_or_b32 exec_lo, exec_lo, s4
	v_mov_b32_e32 v66, 0
	ds_load_b64 v[66:67], v66 offset:160
	s_waitcnt lgkmcnt(0)
	v_mul_f64 v[51:52], v[51:52], v[66:67]
	scratch_store_b64 off, v[51:52], off offset:160
.LBB24_38:
	s_or_b32 exec_lo, exec_lo, s3
	scratch_load_b64 v[51:52], off, off offset:152
	v_cmp_lt_u32_e64 s1, 19, v0
	s_waitcnt vmcnt(0)
	ds_store_b64 v54, v[51:52]
	s_waitcnt lgkmcnt(0)
	s_waitcnt_vscnt null, 0x0
	s_barrier
	buffer_gl0_inv
	s_and_saveexec_b32 s3, s1
	s_cbranch_execz .LBB24_48
; %bb.39:
	s_and_not1_b32 vcc_lo, exec_lo, s2
	s_cbranch_vccnz .LBB24_41
; %bb.40:
	scratch_load_b64 v[51:52], v55, off
	ds_load_b64 v[66:67], v54
	s_waitcnt vmcnt(0) lgkmcnt(0)
	v_mul_f64 v[51:52], v[51:52], v[66:67]
	s_cbranch_execz .LBB24_42
	s_branch .LBB24_43
.LBB24_41:
                                        ; implicit-def: $vgpr51_vgpr52
.LBB24_42:
	ds_load_b64 v[51:52], v54
.LBB24_43:
	s_and_saveexec_b32 s4, s0
	s_cbranch_execz .LBB24_47
; %bb.44:
	v_subrev_nc_u32_e32 v66, 20, v0
	s_movk_i32 s5, 0x170
	s_mov_b32 s0, 0
.LBB24_45:                              ; =>This Inner Loop Header: Depth=1
	scratch_load_b64 v[67:68], v65, off
	v_dual_mov_b32 v69, s5 :: v_dual_add_nc_u32 v66, -1, v66
	v_add_nc_u32_e32 v65, 8, v65
	s_add_i32 s5, s5, 8
	ds_load_b64 v[69:70], v69
	v_cmp_eq_u32_e32 vcc_lo, 0, v66
	s_or_b32 s0, vcc_lo, s0
	s_waitcnt vmcnt(0) lgkmcnt(0)
	v_fma_f64 v[51:52], v[67:68], v[69:70], v[51:52]
	s_and_not1_b32 exec_lo, exec_lo, s0
	s_cbranch_execnz .LBB24_45
; %bb.46:
	s_or_b32 exec_lo, exec_lo, s0
.LBB24_47:
	s_delay_alu instid0(SALU_CYCLE_1)
	s_or_b32 exec_lo, exec_lo, s4
	v_mov_b32_e32 v65, 0
	ds_load_b64 v[65:66], v65 offset:152
	s_waitcnt lgkmcnt(0)
	v_mul_f64 v[51:52], v[51:52], v[65:66]
	scratch_store_b64 off, v[51:52], off offset:152
.LBB24_48:
	s_or_b32 exec_lo, exec_lo, s3
	scratch_load_b64 v[51:52], off, off offset:144
	v_cmp_lt_u32_e64 s0, 18, v0
	s_waitcnt vmcnt(0)
	ds_store_b64 v54, v[51:52]
	s_waitcnt lgkmcnt(0)
	s_waitcnt_vscnt null, 0x0
	s_barrier
	buffer_gl0_inv
	s_and_saveexec_b32 s3, s0
	s_cbranch_execz .LBB24_58
; %bb.49:
	s_and_not1_b32 vcc_lo, exec_lo, s2
	s_cbranch_vccnz .LBB24_51
; %bb.50:
	scratch_load_b64 v[51:52], v55, off
	ds_load_b64 v[65:66], v54
	s_waitcnt vmcnt(0) lgkmcnt(0)
	v_mul_f64 v[51:52], v[51:52], v[65:66]
	s_cbranch_execz .LBB24_52
	s_branch .LBB24_53
.LBB24_51:
                                        ; implicit-def: $vgpr51_vgpr52
.LBB24_52:
	ds_load_b64 v[51:52], v54
.LBB24_53:
	s_and_saveexec_b32 s4, s1
	s_cbranch_execz .LBB24_57
; %bb.54:
	v_mov_b32_e32 v65, 0
	v_subrev_nc_u32_e32 v66, 19, v0
	s_movk_i32 s5, 0x168
	s_mov_b32 s1, 0
	s_delay_alu instid0(VALU_DEP_2)
	v_add_nc_u32_e32 v65, 0x98, v65
.LBB24_55:                              ; =>This Inner Loop Header: Depth=1
	scratch_load_b64 v[67:68], v65, off
	v_dual_mov_b32 v69, s5 :: v_dual_add_nc_u32 v66, -1, v66
	v_add_nc_u32_e32 v65, 8, v65
	s_add_i32 s5, s5, 8
	ds_load_b64 v[69:70], v69
	v_cmp_eq_u32_e32 vcc_lo, 0, v66
	s_or_b32 s1, vcc_lo, s1
	s_waitcnt vmcnt(0) lgkmcnt(0)
	v_fma_f64 v[51:52], v[67:68], v[69:70], v[51:52]
	s_and_not1_b32 exec_lo, exec_lo, s1
	s_cbranch_execnz .LBB24_55
; %bb.56:
	s_or_b32 exec_lo, exec_lo, s1
.LBB24_57:
	s_delay_alu instid0(SALU_CYCLE_1)
	s_or_b32 exec_lo, exec_lo, s4
	v_mov_b32_e32 v65, 0
	ds_load_b64 v[65:66], v65 offset:144
	s_waitcnt lgkmcnt(0)
	v_mul_f64 v[51:52], v[51:52], v[65:66]
	scratch_store_b64 off, v[51:52], off offset:144
.LBB24_58:
	s_or_b32 exec_lo, exec_lo, s3
	scratch_load_b64 v[51:52], off, off offset:136
	v_cmp_lt_u32_e64 s1, 17, v0
	s_waitcnt vmcnt(0)
	ds_store_b64 v54, v[51:52]
	s_waitcnt lgkmcnt(0)
	s_waitcnt_vscnt null, 0x0
	s_barrier
	buffer_gl0_inv
	s_and_saveexec_b32 s3, s1
	s_cbranch_execz .LBB24_68
; %bb.59:
	s_and_not1_b32 vcc_lo, exec_lo, s2
	s_cbranch_vccnz .LBB24_61
; %bb.60:
	scratch_load_b64 v[51:52], v55, off
	ds_load_b64 v[65:66], v54
	s_waitcnt vmcnt(0) lgkmcnt(0)
	v_mul_f64 v[51:52], v[51:52], v[65:66]
	s_cbranch_execz .LBB24_62
	s_branch .LBB24_63
.LBB24_61:
                                        ; implicit-def: $vgpr51_vgpr52
.LBB24_62:
	ds_load_b64 v[51:52], v54
.LBB24_63:
	s_and_saveexec_b32 s4, s0
	s_cbranch_execz .LBB24_67
; %bb.64:
	v_subrev_nc_u32_e32 v65, 18, v0
	s_movk_i32 s5, 0x160
	s_mov_b32 s0, 0
.LBB24_65:                              ; =>This Inner Loop Header: Depth=1
	scratch_load_b64 v[66:67], v64, off
	v_dual_mov_b32 v68, s5 :: v_dual_add_nc_u32 v65, -1, v65
	v_add_nc_u32_e32 v64, 8, v64
	s_add_i32 s5, s5, 8
	ds_load_b64 v[68:69], v68
	v_cmp_eq_u32_e32 vcc_lo, 0, v65
	s_or_b32 s0, vcc_lo, s0
	s_waitcnt vmcnt(0) lgkmcnt(0)
	v_fma_f64 v[51:52], v[66:67], v[68:69], v[51:52]
	s_and_not1_b32 exec_lo, exec_lo, s0
	s_cbranch_execnz .LBB24_65
; %bb.66:
	s_or_b32 exec_lo, exec_lo, s0
.LBB24_67:
	s_delay_alu instid0(SALU_CYCLE_1)
	s_or_b32 exec_lo, exec_lo, s4
	v_mov_b32_e32 v64, 0
	ds_load_b64 v[64:65], v64 offset:136
	s_waitcnt lgkmcnt(0)
	v_mul_f64 v[51:52], v[51:52], v[64:65]
	scratch_store_b64 off, v[51:52], off offset:136
.LBB24_68:
	s_or_b32 exec_lo, exec_lo, s3
	scratch_load_b64 v[51:52], off, off offset:128
	v_cmp_lt_u32_e64 s0, 16, v0
	s_waitcnt vmcnt(0)
	ds_store_b64 v54, v[51:52]
	s_waitcnt lgkmcnt(0)
	s_waitcnt_vscnt null, 0x0
	s_barrier
	buffer_gl0_inv
	s_and_saveexec_b32 s3, s0
	s_cbranch_execz .LBB24_78
; %bb.69:
	s_and_not1_b32 vcc_lo, exec_lo, s2
	s_cbranch_vccnz .LBB24_71
; %bb.70:
	scratch_load_b64 v[51:52], v55, off
	ds_load_b64 v[64:65], v54
	s_waitcnt vmcnt(0) lgkmcnt(0)
	v_mul_f64 v[51:52], v[51:52], v[64:65]
	s_cbranch_execz .LBB24_72
	s_branch .LBB24_73
.LBB24_71:
                                        ; implicit-def: $vgpr51_vgpr52
.LBB24_72:
	ds_load_b64 v[51:52], v54
.LBB24_73:
	s_and_saveexec_b32 s4, s1
	s_cbranch_execz .LBB24_77
; %bb.74:
	v_mov_b32_e32 v64, 0
	v_subrev_nc_u32_e32 v65, 17, v0
	s_movk_i32 s5, 0x158
	s_mov_b32 s1, 0
	s_delay_alu instid0(VALU_DEP_2)
	v_add_nc_u32_e32 v64, 0x88, v64
.LBB24_75:                              ; =>This Inner Loop Header: Depth=1
	scratch_load_b64 v[66:67], v64, off
	v_dual_mov_b32 v68, s5 :: v_dual_add_nc_u32 v65, -1, v65
	v_add_nc_u32_e32 v64, 8, v64
	s_add_i32 s5, s5, 8
	ds_load_b64 v[68:69], v68
	v_cmp_eq_u32_e32 vcc_lo, 0, v65
	s_or_b32 s1, vcc_lo, s1
	s_waitcnt vmcnt(0) lgkmcnt(0)
	v_fma_f64 v[51:52], v[66:67], v[68:69], v[51:52]
	s_and_not1_b32 exec_lo, exec_lo, s1
	s_cbranch_execnz .LBB24_75
; %bb.76:
	s_or_b32 exec_lo, exec_lo, s1
.LBB24_77:
	s_delay_alu instid0(SALU_CYCLE_1)
	s_or_b32 exec_lo, exec_lo, s4
	v_mov_b32_e32 v64, 0
	ds_load_b64 v[64:65], v64 offset:128
	s_waitcnt lgkmcnt(0)
	v_mul_f64 v[51:52], v[51:52], v[64:65]
	scratch_store_b64 off, v[51:52], off offset:128
.LBB24_78:
	s_or_b32 exec_lo, exec_lo, s3
	scratch_load_b64 v[51:52], off, off offset:120
	v_cmp_lt_u32_e64 s1, 15, v0
	s_waitcnt vmcnt(0)
	ds_store_b64 v54, v[51:52]
	s_waitcnt lgkmcnt(0)
	s_waitcnt_vscnt null, 0x0
	s_barrier
	buffer_gl0_inv
	s_and_saveexec_b32 s3, s1
	s_cbranch_execz .LBB24_88
; %bb.79:
	s_and_not1_b32 vcc_lo, exec_lo, s2
	s_cbranch_vccnz .LBB24_81
; %bb.80:
	scratch_load_b64 v[51:52], v55, off
	ds_load_b64 v[64:65], v54
	s_waitcnt vmcnt(0) lgkmcnt(0)
	v_mul_f64 v[51:52], v[51:52], v[64:65]
	s_cbranch_execz .LBB24_82
	s_branch .LBB24_83
.LBB24_81:
                                        ; implicit-def: $vgpr51_vgpr52
.LBB24_82:
	ds_load_b64 v[51:52], v54
.LBB24_83:
	s_and_saveexec_b32 s4, s0
	s_cbranch_execz .LBB24_87
; %bb.84:
	v_add_nc_u32_e32 v64, -16, v0
	s_movk_i32 s5, 0x150
	s_mov_b32 s0, 0
.LBB24_85:                              ; =>This Inner Loop Header: Depth=1
	scratch_load_b64 v[65:66], v63, off
	v_dual_mov_b32 v67, s5 :: v_dual_add_nc_u32 v64, -1, v64
	v_add_nc_u32_e32 v63, 8, v63
	s_add_i32 s5, s5, 8
	ds_load_b64 v[67:68], v67
	v_cmp_eq_u32_e32 vcc_lo, 0, v64
	s_or_b32 s0, vcc_lo, s0
	s_waitcnt vmcnt(0) lgkmcnt(0)
	v_fma_f64 v[51:52], v[65:66], v[67:68], v[51:52]
	s_and_not1_b32 exec_lo, exec_lo, s0
	s_cbranch_execnz .LBB24_85
; %bb.86:
	s_or_b32 exec_lo, exec_lo, s0
.LBB24_87:
	s_delay_alu instid0(SALU_CYCLE_1)
	s_or_b32 exec_lo, exec_lo, s4
	v_mov_b32_e32 v63, 0
	ds_load_b64 v[63:64], v63 offset:120
	s_waitcnt lgkmcnt(0)
	v_mul_f64 v[51:52], v[51:52], v[63:64]
	scratch_store_b64 off, v[51:52], off offset:120
.LBB24_88:
	s_or_b32 exec_lo, exec_lo, s3
	scratch_load_b64 v[51:52], off, off offset:112
	v_cmp_lt_u32_e64 s0, 14, v0
	s_waitcnt vmcnt(0)
	ds_store_b64 v54, v[51:52]
	s_waitcnt lgkmcnt(0)
	s_waitcnt_vscnt null, 0x0
	s_barrier
	buffer_gl0_inv
	s_and_saveexec_b32 s3, s0
	s_cbranch_execz .LBB24_98
; %bb.89:
	s_and_not1_b32 vcc_lo, exec_lo, s2
	s_cbranch_vccnz .LBB24_91
; %bb.90:
	scratch_load_b64 v[51:52], v55, off
	ds_load_b64 v[63:64], v54
	s_waitcnt vmcnt(0) lgkmcnt(0)
	v_mul_f64 v[51:52], v[51:52], v[63:64]
	s_cbranch_execz .LBB24_92
	s_branch .LBB24_93
.LBB24_91:
                                        ; implicit-def: $vgpr51_vgpr52
.LBB24_92:
	ds_load_b64 v[51:52], v54
.LBB24_93:
	s_and_saveexec_b32 s4, s1
	s_cbranch_execz .LBB24_97
; %bb.94:
	v_dual_mov_b32 v63, 0 :: v_dual_add_nc_u32 v64, -15, v0
	s_movk_i32 s5, 0x148
	s_mov_b32 s1, 0
	s_delay_alu instid0(VALU_DEP_1)
	v_add_nc_u32_e32 v63, 0x78, v63
.LBB24_95:                              ; =>This Inner Loop Header: Depth=1
	scratch_load_b64 v[65:66], v63, off
	v_dual_mov_b32 v67, s5 :: v_dual_add_nc_u32 v64, -1, v64
	v_add_nc_u32_e32 v63, 8, v63
	s_add_i32 s5, s5, 8
	ds_load_b64 v[67:68], v67
	v_cmp_eq_u32_e32 vcc_lo, 0, v64
	s_or_b32 s1, vcc_lo, s1
	s_waitcnt vmcnt(0) lgkmcnt(0)
	v_fma_f64 v[51:52], v[65:66], v[67:68], v[51:52]
	s_and_not1_b32 exec_lo, exec_lo, s1
	s_cbranch_execnz .LBB24_95
; %bb.96:
	s_or_b32 exec_lo, exec_lo, s1
.LBB24_97:
	s_delay_alu instid0(SALU_CYCLE_1)
	s_or_b32 exec_lo, exec_lo, s4
	v_mov_b32_e32 v63, 0
	ds_load_b64 v[63:64], v63 offset:112
	s_waitcnt lgkmcnt(0)
	v_mul_f64 v[51:52], v[51:52], v[63:64]
	scratch_store_b64 off, v[51:52], off offset:112
.LBB24_98:
	s_or_b32 exec_lo, exec_lo, s3
	scratch_load_b64 v[51:52], off, off offset:104
	v_cmp_lt_u32_e64 s1, 13, v0
	s_waitcnt vmcnt(0)
	ds_store_b64 v54, v[51:52]
	s_waitcnt lgkmcnt(0)
	s_waitcnt_vscnt null, 0x0
	s_barrier
	buffer_gl0_inv
	s_and_saveexec_b32 s3, s1
	s_cbranch_execz .LBB24_108
; %bb.99:
	s_and_not1_b32 vcc_lo, exec_lo, s2
	s_cbranch_vccnz .LBB24_101
; %bb.100:
	scratch_load_b64 v[51:52], v55, off
	ds_load_b64 v[63:64], v54
	s_waitcnt vmcnt(0) lgkmcnt(0)
	v_mul_f64 v[51:52], v[51:52], v[63:64]
	s_cbranch_execz .LBB24_102
	s_branch .LBB24_103
.LBB24_101:
                                        ; implicit-def: $vgpr51_vgpr52
.LBB24_102:
	ds_load_b64 v[51:52], v54
.LBB24_103:
	s_and_saveexec_b32 s4, s0
	s_cbranch_execz .LBB24_107
; %bb.104:
	v_add_nc_u32_e32 v63, -14, v0
	s_movk_i32 s5, 0x140
	s_mov_b32 s0, 0
.LBB24_105:                             ; =>This Inner Loop Header: Depth=1
	scratch_load_b64 v[64:65], v62, off
	v_dual_mov_b32 v66, s5 :: v_dual_add_nc_u32 v63, -1, v63
	v_add_nc_u32_e32 v62, 8, v62
	s_add_i32 s5, s5, 8
	ds_load_b64 v[66:67], v66
	v_cmp_eq_u32_e32 vcc_lo, 0, v63
	s_or_b32 s0, vcc_lo, s0
	s_waitcnt vmcnt(0) lgkmcnt(0)
	v_fma_f64 v[51:52], v[64:65], v[66:67], v[51:52]
	s_and_not1_b32 exec_lo, exec_lo, s0
	s_cbranch_execnz .LBB24_105
; %bb.106:
	s_or_b32 exec_lo, exec_lo, s0
.LBB24_107:
	s_delay_alu instid0(SALU_CYCLE_1)
	s_or_b32 exec_lo, exec_lo, s4
	v_mov_b32_e32 v62, 0
	ds_load_b64 v[62:63], v62 offset:104
	s_waitcnt lgkmcnt(0)
	v_mul_f64 v[51:52], v[51:52], v[62:63]
	scratch_store_b64 off, v[51:52], off offset:104
.LBB24_108:
	s_or_b32 exec_lo, exec_lo, s3
	scratch_load_b64 v[51:52], off, off offset:96
	v_cmp_lt_u32_e64 s0, 12, v0
	s_waitcnt vmcnt(0)
	ds_store_b64 v54, v[51:52]
	s_waitcnt lgkmcnt(0)
	s_waitcnt_vscnt null, 0x0
	s_barrier
	buffer_gl0_inv
	s_and_saveexec_b32 s3, s0
	s_cbranch_execz .LBB24_118
; %bb.109:
	s_and_not1_b32 vcc_lo, exec_lo, s2
	s_cbranch_vccnz .LBB24_111
; %bb.110:
	scratch_load_b64 v[51:52], v55, off
	ds_load_b64 v[62:63], v54
	s_waitcnt vmcnt(0) lgkmcnt(0)
	v_mul_f64 v[51:52], v[51:52], v[62:63]
	s_cbranch_execz .LBB24_112
	s_branch .LBB24_113
.LBB24_111:
                                        ; implicit-def: $vgpr51_vgpr52
.LBB24_112:
	ds_load_b64 v[51:52], v54
.LBB24_113:
	s_and_saveexec_b32 s4, s1
	s_cbranch_execz .LBB24_117
; %bb.114:
	v_dual_mov_b32 v62, 0 :: v_dual_add_nc_u32 v63, -13, v0
	s_movk_i32 s5, 0x138
	s_mov_b32 s1, 0
	s_delay_alu instid0(VALU_DEP_1)
	v_add_nc_u32_e32 v62, 0x68, v62
.LBB24_115:                             ; =>This Inner Loop Header: Depth=1
	scratch_load_b64 v[64:65], v62, off
	v_dual_mov_b32 v66, s5 :: v_dual_add_nc_u32 v63, -1, v63
	v_add_nc_u32_e32 v62, 8, v62
	s_add_i32 s5, s5, 8
	ds_load_b64 v[66:67], v66
	v_cmp_eq_u32_e32 vcc_lo, 0, v63
	s_or_b32 s1, vcc_lo, s1
	s_waitcnt vmcnt(0) lgkmcnt(0)
	v_fma_f64 v[51:52], v[64:65], v[66:67], v[51:52]
	s_and_not1_b32 exec_lo, exec_lo, s1
	s_cbranch_execnz .LBB24_115
; %bb.116:
	s_or_b32 exec_lo, exec_lo, s1
.LBB24_117:
	s_delay_alu instid0(SALU_CYCLE_1)
	s_or_b32 exec_lo, exec_lo, s4
	v_mov_b32_e32 v62, 0
	ds_load_b64 v[62:63], v62 offset:96
	s_waitcnt lgkmcnt(0)
	v_mul_f64 v[51:52], v[51:52], v[62:63]
	scratch_store_b64 off, v[51:52], off offset:96
.LBB24_118:
	s_or_b32 exec_lo, exec_lo, s3
	scratch_load_b64 v[51:52], off, off offset:88
	v_cmp_lt_u32_e64 s1, 11, v0
	s_waitcnt vmcnt(0)
	ds_store_b64 v54, v[51:52]
	s_waitcnt lgkmcnt(0)
	s_waitcnt_vscnt null, 0x0
	s_barrier
	buffer_gl0_inv
	s_and_saveexec_b32 s3, s1
	s_cbranch_execz .LBB24_128
; %bb.119:
	s_and_not1_b32 vcc_lo, exec_lo, s2
	s_cbranch_vccnz .LBB24_121
; %bb.120:
	scratch_load_b64 v[51:52], v55, off
	ds_load_b64 v[62:63], v54
	s_waitcnt vmcnt(0) lgkmcnt(0)
	v_mul_f64 v[51:52], v[51:52], v[62:63]
	s_cbranch_execz .LBB24_122
	s_branch .LBB24_123
.LBB24_121:
                                        ; implicit-def: $vgpr51_vgpr52
.LBB24_122:
	ds_load_b64 v[51:52], v54
.LBB24_123:
	s_and_saveexec_b32 s4, s0
	s_cbranch_execz .LBB24_127
; %bb.124:
	v_add_nc_u32_e32 v62, -12, v0
	s_movk_i32 s5, 0x130
	s_mov_b32 s0, 0
.LBB24_125:                             ; =>This Inner Loop Header: Depth=1
	scratch_load_b64 v[63:64], v61, off
	v_dual_mov_b32 v65, s5 :: v_dual_add_nc_u32 v62, -1, v62
	v_add_nc_u32_e32 v61, 8, v61
	s_add_i32 s5, s5, 8
	ds_load_b64 v[65:66], v65
	v_cmp_eq_u32_e32 vcc_lo, 0, v62
	s_or_b32 s0, vcc_lo, s0
	s_waitcnt vmcnt(0) lgkmcnt(0)
	v_fma_f64 v[51:52], v[63:64], v[65:66], v[51:52]
	s_and_not1_b32 exec_lo, exec_lo, s0
	s_cbranch_execnz .LBB24_125
; %bb.126:
	s_or_b32 exec_lo, exec_lo, s0
.LBB24_127:
	s_delay_alu instid0(SALU_CYCLE_1)
	s_or_b32 exec_lo, exec_lo, s4
	v_mov_b32_e32 v61, 0
	ds_load_b64 v[61:62], v61 offset:88
	s_waitcnt lgkmcnt(0)
	v_mul_f64 v[51:52], v[51:52], v[61:62]
	scratch_store_b64 off, v[51:52], off offset:88
.LBB24_128:
	s_or_b32 exec_lo, exec_lo, s3
	scratch_load_b64 v[51:52], off, off offset:80
	v_cmp_lt_u32_e64 s0, 10, v0
	s_waitcnt vmcnt(0)
	ds_store_b64 v54, v[51:52]
	s_waitcnt lgkmcnt(0)
	s_waitcnt_vscnt null, 0x0
	s_barrier
	buffer_gl0_inv
	s_and_saveexec_b32 s3, s0
	s_cbranch_execz .LBB24_138
; %bb.129:
	s_and_not1_b32 vcc_lo, exec_lo, s2
	s_cbranch_vccnz .LBB24_131
; %bb.130:
	scratch_load_b64 v[51:52], v55, off
	ds_load_b64 v[61:62], v54
	s_waitcnt vmcnt(0) lgkmcnt(0)
	v_mul_f64 v[51:52], v[51:52], v[61:62]
	s_cbranch_execz .LBB24_132
	s_branch .LBB24_133
.LBB24_131:
                                        ; implicit-def: $vgpr51_vgpr52
.LBB24_132:
	ds_load_b64 v[51:52], v54
.LBB24_133:
	s_and_saveexec_b32 s4, s1
	s_cbranch_execz .LBB24_137
; %bb.134:
	v_dual_mov_b32 v61, 0 :: v_dual_add_nc_u32 v62, -11, v0
	s_movk_i32 s5, 0x128
	s_mov_b32 s1, 0
	s_delay_alu instid0(VALU_DEP_1)
	v_add_nc_u32_e32 v61, 0x58, v61
.LBB24_135:                             ; =>This Inner Loop Header: Depth=1
	scratch_load_b64 v[63:64], v61, off
	v_dual_mov_b32 v65, s5 :: v_dual_add_nc_u32 v62, -1, v62
	v_add_nc_u32_e32 v61, 8, v61
	s_add_i32 s5, s5, 8
	ds_load_b64 v[65:66], v65
	v_cmp_eq_u32_e32 vcc_lo, 0, v62
	s_or_b32 s1, vcc_lo, s1
	s_waitcnt vmcnt(0) lgkmcnt(0)
	v_fma_f64 v[51:52], v[63:64], v[65:66], v[51:52]
	s_and_not1_b32 exec_lo, exec_lo, s1
	s_cbranch_execnz .LBB24_135
; %bb.136:
	s_or_b32 exec_lo, exec_lo, s1
.LBB24_137:
	s_delay_alu instid0(SALU_CYCLE_1)
	s_or_b32 exec_lo, exec_lo, s4
	v_mov_b32_e32 v61, 0
	ds_load_b64 v[61:62], v61 offset:80
	s_waitcnt lgkmcnt(0)
	v_mul_f64 v[51:52], v[51:52], v[61:62]
	scratch_store_b64 off, v[51:52], off offset:80
.LBB24_138:
	s_or_b32 exec_lo, exec_lo, s3
	scratch_load_b64 v[51:52], off, off offset:72
	v_cmp_lt_u32_e64 s1, 9, v0
	s_waitcnt vmcnt(0)
	ds_store_b64 v54, v[51:52]
	s_waitcnt lgkmcnt(0)
	s_waitcnt_vscnt null, 0x0
	s_barrier
	buffer_gl0_inv
	s_and_saveexec_b32 s3, s1
	s_cbranch_execz .LBB24_148
; %bb.139:
	s_and_not1_b32 vcc_lo, exec_lo, s2
	s_cbranch_vccnz .LBB24_141
; %bb.140:
	scratch_load_b64 v[51:52], v55, off
	ds_load_b64 v[61:62], v54
	s_waitcnt vmcnt(0) lgkmcnt(0)
	v_mul_f64 v[51:52], v[51:52], v[61:62]
	s_cbranch_execz .LBB24_142
	s_branch .LBB24_143
.LBB24_141:
                                        ; implicit-def: $vgpr51_vgpr52
.LBB24_142:
	ds_load_b64 v[51:52], v54
.LBB24_143:
	s_and_saveexec_b32 s4, s0
	s_cbranch_execz .LBB24_147
; %bb.144:
	v_add_nc_u32_e32 v61, -10, v0
	s_movk_i32 s5, 0x120
	s_mov_b32 s0, 0
.LBB24_145:                             ; =>This Inner Loop Header: Depth=1
	scratch_load_b64 v[62:63], v60, off
	v_dual_mov_b32 v64, s5 :: v_dual_add_nc_u32 v61, -1, v61
	v_add_nc_u32_e32 v60, 8, v60
	s_add_i32 s5, s5, 8
	ds_load_b64 v[64:65], v64
	v_cmp_eq_u32_e32 vcc_lo, 0, v61
	s_or_b32 s0, vcc_lo, s0
	s_waitcnt vmcnt(0) lgkmcnt(0)
	v_fma_f64 v[51:52], v[62:63], v[64:65], v[51:52]
	s_and_not1_b32 exec_lo, exec_lo, s0
	s_cbranch_execnz .LBB24_145
; %bb.146:
	s_or_b32 exec_lo, exec_lo, s0
.LBB24_147:
	s_delay_alu instid0(SALU_CYCLE_1)
	s_or_b32 exec_lo, exec_lo, s4
	v_mov_b32_e32 v60, 0
	ds_load_b64 v[60:61], v60 offset:72
	s_waitcnt lgkmcnt(0)
	v_mul_f64 v[51:52], v[51:52], v[60:61]
	scratch_store_b64 off, v[51:52], off offset:72
.LBB24_148:
	s_or_b32 exec_lo, exec_lo, s3
	scratch_load_b64 v[51:52], off, off offset:64
	v_cmp_lt_u32_e64 s0, 8, v0
	s_waitcnt vmcnt(0)
	ds_store_b64 v54, v[51:52]
	s_waitcnt lgkmcnt(0)
	s_waitcnt_vscnt null, 0x0
	s_barrier
	buffer_gl0_inv
	s_and_saveexec_b32 s3, s0
	s_cbranch_execz .LBB24_158
; %bb.149:
	s_and_not1_b32 vcc_lo, exec_lo, s2
	s_cbranch_vccnz .LBB24_151
; %bb.150:
	scratch_load_b64 v[51:52], v55, off
	ds_load_b64 v[60:61], v54
	s_waitcnt vmcnt(0) lgkmcnt(0)
	v_mul_f64 v[51:52], v[51:52], v[60:61]
	s_cbranch_execz .LBB24_152
	s_branch .LBB24_153
.LBB24_151:
                                        ; implicit-def: $vgpr51_vgpr52
.LBB24_152:
	ds_load_b64 v[51:52], v54
.LBB24_153:
	s_and_saveexec_b32 s4, s1
	s_cbranch_execz .LBB24_157
; %bb.154:
	v_dual_mov_b32 v60, 0 :: v_dual_add_nc_u32 v61, -9, v0
	s_movk_i32 s5, 0x118
	s_mov_b32 s1, 0
	s_delay_alu instid0(VALU_DEP_1)
	v_add_nc_u32_e32 v60, 0x48, v60
.LBB24_155:                             ; =>This Inner Loop Header: Depth=1
	scratch_load_b64 v[62:63], v60, off
	v_dual_mov_b32 v64, s5 :: v_dual_add_nc_u32 v61, -1, v61
	v_add_nc_u32_e32 v60, 8, v60
	s_add_i32 s5, s5, 8
	ds_load_b64 v[64:65], v64
	v_cmp_eq_u32_e32 vcc_lo, 0, v61
	s_or_b32 s1, vcc_lo, s1
	s_waitcnt vmcnt(0) lgkmcnt(0)
	v_fma_f64 v[51:52], v[62:63], v[64:65], v[51:52]
	s_and_not1_b32 exec_lo, exec_lo, s1
	s_cbranch_execnz .LBB24_155
; %bb.156:
	s_or_b32 exec_lo, exec_lo, s1
.LBB24_157:
	s_delay_alu instid0(SALU_CYCLE_1)
	s_or_b32 exec_lo, exec_lo, s4
	v_mov_b32_e32 v60, 0
	ds_load_b64 v[60:61], v60 offset:64
	s_waitcnt lgkmcnt(0)
	v_mul_f64 v[51:52], v[51:52], v[60:61]
	scratch_store_b64 off, v[51:52], off offset:64
.LBB24_158:
	s_or_b32 exec_lo, exec_lo, s3
	scratch_load_b64 v[51:52], off, off offset:56
	v_cmp_lt_u32_e64 s1, 7, v0
	s_waitcnt vmcnt(0)
	ds_store_b64 v54, v[51:52]
	s_waitcnt lgkmcnt(0)
	s_waitcnt_vscnt null, 0x0
	s_barrier
	buffer_gl0_inv
	s_and_saveexec_b32 s3, s1
	s_cbranch_execz .LBB24_168
; %bb.159:
	s_and_not1_b32 vcc_lo, exec_lo, s2
	s_cbranch_vccnz .LBB24_161
; %bb.160:
	scratch_load_b64 v[51:52], v55, off
	ds_load_b64 v[60:61], v54
	s_waitcnt vmcnt(0) lgkmcnt(0)
	v_mul_f64 v[51:52], v[51:52], v[60:61]
	s_cbranch_execz .LBB24_162
	s_branch .LBB24_163
.LBB24_161:
                                        ; implicit-def: $vgpr51_vgpr52
.LBB24_162:
	ds_load_b64 v[51:52], v54
.LBB24_163:
	s_and_saveexec_b32 s4, s0
	s_cbranch_execz .LBB24_167
; %bb.164:
	v_add_nc_u32_e32 v60, -8, v0
	s_movk_i32 s5, 0x110
	s_mov_b32 s0, 0
.LBB24_165:                             ; =>This Inner Loop Header: Depth=1
	scratch_load_b64 v[61:62], v59, off
	v_dual_mov_b32 v63, s5 :: v_dual_add_nc_u32 v60, -1, v60
	v_add_nc_u32_e32 v59, 8, v59
	s_add_i32 s5, s5, 8
	ds_load_b64 v[63:64], v63
	v_cmp_eq_u32_e32 vcc_lo, 0, v60
	s_or_b32 s0, vcc_lo, s0
	s_waitcnt vmcnt(0) lgkmcnt(0)
	v_fma_f64 v[51:52], v[61:62], v[63:64], v[51:52]
	s_and_not1_b32 exec_lo, exec_lo, s0
	s_cbranch_execnz .LBB24_165
; %bb.166:
	s_or_b32 exec_lo, exec_lo, s0
.LBB24_167:
	s_delay_alu instid0(SALU_CYCLE_1)
	s_or_b32 exec_lo, exec_lo, s4
	v_mov_b32_e32 v59, 0
	ds_load_b64 v[59:60], v59 offset:56
	s_waitcnt lgkmcnt(0)
	v_mul_f64 v[51:52], v[51:52], v[59:60]
	scratch_store_b64 off, v[51:52], off offset:56
.LBB24_168:
	s_or_b32 exec_lo, exec_lo, s3
	scratch_load_b64 v[51:52], off, off offset:48
	v_cmp_lt_u32_e64 s0, 6, v0
	s_waitcnt vmcnt(0)
	ds_store_b64 v54, v[51:52]
	s_waitcnt lgkmcnt(0)
	s_waitcnt_vscnt null, 0x0
	s_barrier
	buffer_gl0_inv
	s_and_saveexec_b32 s3, s0
	s_cbranch_execz .LBB24_178
; %bb.169:
	s_and_not1_b32 vcc_lo, exec_lo, s2
	s_cbranch_vccnz .LBB24_171
; %bb.170:
	scratch_load_b64 v[51:52], v55, off
	ds_load_b64 v[59:60], v54
	s_waitcnt vmcnt(0) lgkmcnt(0)
	v_mul_f64 v[51:52], v[51:52], v[59:60]
	s_cbranch_execz .LBB24_172
	s_branch .LBB24_173
.LBB24_171:
                                        ; implicit-def: $vgpr51_vgpr52
.LBB24_172:
	ds_load_b64 v[51:52], v54
.LBB24_173:
	s_and_saveexec_b32 s4, s1
	s_cbranch_execz .LBB24_177
; %bb.174:
	v_add_nc_u32_e64 v59, 0, 56
	v_add_nc_u32_e32 v60, -7, v0
	s_movk_i32 s5, 0x108
	s_mov_b32 s1, 0
.LBB24_175:                             ; =>This Inner Loop Header: Depth=1
	scratch_load_b64 v[61:62], v59, off
	v_dual_mov_b32 v63, s5 :: v_dual_add_nc_u32 v60, -1, v60
	v_add_nc_u32_e32 v59, 8, v59
	s_add_i32 s5, s5, 8
	ds_load_b64 v[63:64], v63
	v_cmp_eq_u32_e32 vcc_lo, 0, v60
	s_or_b32 s1, vcc_lo, s1
	s_waitcnt vmcnt(0) lgkmcnt(0)
	v_fma_f64 v[51:52], v[61:62], v[63:64], v[51:52]
	s_and_not1_b32 exec_lo, exec_lo, s1
	s_cbranch_execnz .LBB24_175
; %bb.176:
	s_or_b32 exec_lo, exec_lo, s1
.LBB24_177:
	s_delay_alu instid0(SALU_CYCLE_1)
	s_or_b32 exec_lo, exec_lo, s4
	v_mov_b32_e32 v59, 0
	ds_load_b64 v[59:60], v59 offset:48
	s_waitcnt lgkmcnt(0)
	v_mul_f64 v[51:52], v[51:52], v[59:60]
	scratch_store_b64 off, v[51:52], off offset:48
.LBB24_178:
	s_or_b32 exec_lo, exec_lo, s3
	scratch_load_b64 v[51:52], off, off offset:40
	v_cmp_lt_u32_e64 s1, 5, v0
	s_waitcnt vmcnt(0)
	ds_store_b64 v54, v[51:52]
	s_waitcnt lgkmcnt(0)
	s_waitcnt_vscnt null, 0x0
	s_barrier
	buffer_gl0_inv
	s_and_saveexec_b32 s3, s1
	s_cbranch_execz .LBB24_188
; %bb.179:
	s_and_not1_b32 vcc_lo, exec_lo, s2
	s_cbranch_vccnz .LBB24_181
; %bb.180:
	scratch_load_b64 v[51:52], v55, off
	ds_load_b64 v[59:60], v54
	s_waitcnt vmcnt(0) lgkmcnt(0)
	v_mul_f64 v[51:52], v[51:52], v[59:60]
	s_cbranch_execz .LBB24_182
	s_branch .LBB24_183
.LBB24_181:
                                        ; implicit-def: $vgpr51_vgpr52
.LBB24_182:
	ds_load_b64 v[51:52], v54
.LBB24_183:
	s_and_saveexec_b32 s4, s0
	s_cbranch_execz .LBB24_187
; %bb.184:
	v_add_nc_u32_e32 v59, -6, v0
	s_movk_i32 s5, 0x100
	s_mov_b32 s0, 0
.LBB24_185:                             ; =>This Inner Loop Header: Depth=1
	scratch_load_b64 v[60:61], v58, off
	v_dual_mov_b32 v62, s5 :: v_dual_add_nc_u32 v59, -1, v59
	v_add_nc_u32_e32 v58, 8, v58
	s_add_i32 s5, s5, 8
	ds_load_b64 v[62:63], v62
	v_cmp_eq_u32_e32 vcc_lo, 0, v59
	s_or_b32 s0, vcc_lo, s0
	s_waitcnt vmcnt(0) lgkmcnt(0)
	v_fma_f64 v[51:52], v[60:61], v[62:63], v[51:52]
	s_and_not1_b32 exec_lo, exec_lo, s0
	s_cbranch_execnz .LBB24_185
; %bb.186:
	s_or_b32 exec_lo, exec_lo, s0
.LBB24_187:
	s_delay_alu instid0(SALU_CYCLE_1)
	s_or_b32 exec_lo, exec_lo, s4
	v_mov_b32_e32 v58, 0
	ds_load_b64 v[58:59], v58 offset:40
	s_waitcnt lgkmcnt(0)
	v_mul_f64 v[51:52], v[51:52], v[58:59]
	scratch_store_b64 off, v[51:52], off offset:40
.LBB24_188:
	s_or_b32 exec_lo, exec_lo, s3
	scratch_load_b64 v[51:52], off, off offset:32
	v_cmp_lt_u32_e64 s0, 4, v0
	s_waitcnt vmcnt(0)
	ds_store_b64 v54, v[51:52]
	s_waitcnt lgkmcnt(0)
	s_waitcnt_vscnt null, 0x0
	s_barrier
	buffer_gl0_inv
	s_and_saveexec_b32 s3, s0
	s_cbranch_execz .LBB24_198
; %bb.189:
	s_and_not1_b32 vcc_lo, exec_lo, s2
	s_cbranch_vccnz .LBB24_191
; %bb.190:
	scratch_load_b64 v[51:52], v55, off
	ds_load_b64 v[58:59], v54
	s_waitcnt vmcnt(0) lgkmcnt(0)
	v_mul_f64 v[51:52], v[51:52], v[58:59]
	s_cbranch_execz .LBB24_192
	s_branch .LBB24_193
.LBB24_191:
                                        ; implicit-def: $vgpr51_vgpr52
.LBB24_192:
	ds_load_b64 v[51:52], v54
.LBB24_193:
	s_and_saveexec_b32 s4, s1
	s_cbranch_execz .LBB24_197
; %bb.194:
	v_add_nc_u32_e64 v58, 0, 40
	v_add_nc_u32_e32 v59, -5, v0
	s_movk_i32 s5, 0xf8
	s_mov_b32 s1, 0
.LBB24_195:                             ; =>This Inner Loop Header: Depth=1
	scratch_load_b64 v[60:61], v58, off
	v_dual_mov_b32 v62, s5 :: v_dual_add_nc_u32 v59, -1, v59
	v_add_nc_u32_e32 v58, 8, v58
	s_add_i32 s5, s5, 8
	ds_load_b64 v[62:63], v62
	v_cmp_eq_u32_e32 vcc_lo, 0, v59
	s_or_b32 s1, vcc_lo, s1
	s_waitcnt vmcnt(0) lgkmcnt(0)
	v_fma_f64 v[51:52], v[60:61], v[62:63], v[51:52]
	s_and_not1_b32 exec_lo, exec_lo, s1
	s_cbranch_execnz .LBB24_195
; %bb.196:
	s_or_b32 exec_lo, exec_lo, s1
.LBB24_197:
	s_delay_alu instid0(SALU_CYCLE_1)
	s_or_b32 exec_lo, exec_lo, s4
	v_mov_b32_e32 v58, 0
	ds_load_b64 v[58:59], v58 offset:32
	s_waitcnt lgkmcnt(0)
	v_mul_f64 v[51:52], v[51:52], v[58:59]
	scratch_store_b64 off, v[51:52], off offset:32
.LBB24_198:
	s_or_b32 exec_lo, exec_lo, s3
	scratch_load_b64 v[51:52], off, off offset:24
	v_cmp_lt_u32_e64 s1, 3, v0
	s_waitcnt vmcnt(0)
	ds_store_b64 v54, v[51:52]
	s_waitcnt lgkmcnt(0)
	s_waitcnt_vscnt null, 0x0
	s_barrier
	buffer_gl0_inv
	s_and_saveexec_b32 s3, s1
	s_cbranch_execz .LBB24_208
; %bb.199:
	s_and_not1_b32 vcc_lo, exec_lo, s2
	s_cbranch_vccnz .LBB24_201
; %bb.200:
	scratch_load_b64 v[51:52], v55, off
	ds_load_b64 v[58:59], v54
	s_waitcnt vmcnt(0) lgkmcnt(0)
	v_mul_f64 v[51:52], v[51:52], v[58:59]
	s_cbranch_execz .LBB24_202
	s_branch .LBB24_203
.LBB24_201:
                                        ; implicit-def: $vgpr51_vgpr52
.LBB24_202:
	ds_load_b64 v[51:52], v54
.LBB24_203:
	s_and_saveexec_b32 s4, s0
	s_cbranch_execz .LBB24_207
; %bb.204:
	v_add_nc_u32_e32 v58, -4, v0
	s_movk_i32 s5, 0xf0
	s_mov_b32 s0, 0
.LBB24_205:                             ; =>This Inner Loop Header: Depth=1
	scratch_load_b64 v[59:60], v57, off
	v_dual_mov_b32 v61, s5 :: v_dual_add_nc_u32 v58, -1, v58
	v_add_nc_u32_e32 v57, 8, v57
	s_add_i32 s5, s5, 8
	ds_load_b64 v[61:62], v61
	v_cmp_eq_u32_e32 vcc_lo, 0, v58
	s_or_b32 s0, vcc_lo, s0
	s_waitcnt vmcnt(0) lgkmcnt(0)
	v_fma_f64 v[51:52], v[59:60], v[61:62], v[51:52]
	s_and_not1_b32 exec_lo, exec_lo, s0
	s_cbranch_execnz .LBB24_205
; %bb.206:
	s_or_b32 exec_lo, exec_lo, s0
.LBB24_207:
	s_delay_alu instid0(SALU_CYCLE_1)
	s_or_b32 exec_lo, exec_lo, s4
	v_mov_b32_e32 v57, 0
	ds_load_b64 v[57:58], v57 offset:24
	s_waitcnt lgkmcnt(0)
	v_mul_f64 v[51:52], v[51:52], v[57:58]
	scratch_store_b64 off, v[51:52], off offset:24
.LBB24_208:
	s_or_b32 exec_lo, exec_lo, s3
	scratch_load_b64 v[51:52], off, off offset:16
	v_cmp_lt_u32_e64 s0, 2, v0
	s_waitcnt vmcnt(0)
	ds_store_b64 v54, v[51:52]
	s_waitcnt lgkmcnt(0)
	s_waitcnt_vscnt null, 0x0
	s_barrier
	buffer_gl0_inv
	s_and_saveexec_b32 s3, s0
	s_cbranch_execz .LBB24_218
; %bb.209:
	s_and_not1_b32 vcc_lo, exec_lo, s2
	s_cbranch_vccnz .LBB24_211
; %bb.210:
	scratch_load_b64 v[51:52], v55, off
	ds_load_b64 v[57:58], v54
	s_waitcnt vmcnt(0) lgkmcnt(0)
	v_mul_f64 v[51:52], v[51:52], v[57:58]
	s_cbranch_execz .LBB24_212
	s_branch .LBB24_213
.LBB24_211:
                                        ; implicit-def: $vgpr51_vgpr52
.LBB24_212:
	ds_load_b64 v[51:52], v54
.LBB24_213:
	s_and_saveexec_b32 s4, s1
	s_cbranch_execz .LBB24_217
; %bb.214:
	v_add_nc_u32_e64 v57, 0, 24
	v_add_nc_u32_e32 v58, -3, v0
	s_movk_i32 s5, 0xe8
	s_mov_b32 s1, 0
.LBB24_215:                             ; =>This Inner Loop Header: Depth=1
	scratch_load_b64 v[59:60], v57, off
	v_dual_mov_b32 v61, s5 :: v_dual_add_nc_u32 v58, -1, v58
	v_add_nc_u32_e32 v57, 8, v57
	s_add_i32 s5, s5, 8
	ds_load_b64 v[61:62], v61
	v_cmp_eq_u32_e32 vcc_lo, 0, v58
	s_or_b32 s1, vcc_lo, s1
	s_waitcnt vmcnt(0) lgkmcnt(0)
	v_fma_f64 v[51:52], v[59:60], v[61:62], v[51:52]
	s_and_not1_b32 exec_lo, exec_lo, s1
	s_cbranch_execnz .LBB24_215
; %bb.216:
	s_or_b32 exec_lo, exec_lo, s1
.LBB24_217:
	s_delay_alu instid0(SALU_CYCLE_1)
	s_or_b32 exec_lo, exec_lo, s4
	v_mov_b32_e32 v57, 0
	ds_load_b64 v[57:58], v57 offset:16
	s_waitcnt lgkmcnt(0)
	v_mul_f64 v[51:52], v[51:52], v[57:58]
	scratch_store_b64 off, v[51:52], off offset:16
.LBB24_218:
	s_or_b32 exec_lo, exec_lo, s3
	scratch_load_b64 v[51:52], off, off offset:8
	v_cmp_lt_u32_e64 s1, 1, v0
	s_waitcnt vmcnt(0)
	ds_store_b64 v54, v[51:52]
	s_waitcnt lgkmcnt(0)
	s_waitcnt_vscnt null, 0x0
	s_barrier
	buffer_gl0_inv
	s_and_saveexec_b32 s3, s1
	s_cbranch_execz .LBB24_228
; %bb.219:
	s_and_not1_b32 vcc_lo, exec_lo, s2
	s_cbranch_vccnz .LBB24_221
; %bb.220:
	scratch_load_b64 v[51:52], v55, off
	ds_load_b64 v[57:58], v54
	s_waitcnt vmcnt(0) lgkmcnt(0)
	v_mul_f64 v[51:52], v[51:52], v[57:58]
	s_cbranch_execz .LBB24_222
	s_branch .LBB24_223
.LBB24_221:
                                        ; implicit-def: $vgpr51_vgpr52
.LBB24_222:
	ds_load_b64 v[51:52], v54
.LBB24_223:
	s_and_saveexec_b32 s4, s0
	s_cbranch_execz .LBB24_227
; %bb.224:
	v_add_nc_u32_e32 v57, -2, v0
	s_movk_i32 s5, 0xe0
	s_mov_b32 s0, 0
.LBB24_225:                             ; =>This Inner Loop Header: Depth=1
	scratch_load_b64 v[58:59], v56, off
	v_dual_mov_b32 v60, s5 :: v_dual_add_nc_u32 v57, -1, v57
	v_add_nc_u32_e32 v56, 8, v56
	s_add_i32 s5, s5, 8
	ds_load_b64 v[60:61], v60
	v_cmp_eq_u32_e32 vcc_lo, 0, v57
	s_or_b32 s0, vcc_lo, s0
	s_waitcnt vmcnt(0) lgkmcnt(0)
	v_fma_f64 v[51:52], v[58:59], v[60:61], v[51:52]
	s_and_not1_b32 exec_lo, exec_lo, s0
	s_cbranch_execnz .LBB24_225
; %bb.226:
	s_or_b32 exec_lo, exec_lo, s0
.LBB24_227:
	s_delay_alu instid0(SALU_CYCLE_1)
	s_or_b32 exec_lo, exec_lo, s4
	v_mov_b32_e32 v56, 0
	ds_load_b64 v[56:57], v56 offset:8
	s_waitcnt lgkmcnt(0)
	v_mul_f64 v[51:52], v[51:52], v[56:57]
	scratch_store_b64 off, v[51:52], off offset:8
.LBB24_228:
	s_or_b32 exec_lo, exec_lo, s3
	scratch_load_b64 v[51:52], off, off
	s_mov_b32 s0, 0
	s_mov_b32 s3, exec_lo
	s_waitcnt vmcnt(0)
	ds_store_b64 v54, v[51:52]
	s_waitcnt lgkmcnt(0)
	s_waitcnt_vscnt null, 0x0
	s_barrier
	buffer_gl0_inv
	v_cmpx_ne_u32_e32 0, v0
	s_cbranch_execz .LBB24_238
; %bb.229:
	s_and_not1_b32 vcc_lo, exec_lo, s2
	s_cbranch_vccnz .LBB24_231
; %bb.230:
	scratch_load_b64 v[51:52], v55, off
	ds_load_b64 v[56:57], v54
	s_waitcnt vmcnt(0) lgkmcnt(0)
	v_mul_f64 v[51:52], v[51:52], v[56:57]
	s_cbranch_execz .LBB24_232
	s_branch .LBB24_233
.LBB24_231:
                                        ; implicit-def: $vgpr51_vgpr52
.LBB24_232:
	ds_load_b64 v[51:52], v54
.LBB24_233:
	s_and_saveexec_b32 s4, s1
	s_cbranch_execz .LBB24_237
; %bb.234:
	v_or_b32_e64 v56, 0, 8
	v_add_nc_u32_e32 v57, -1, v0
	s_movk_i32 s5, 0xd8
	s_mov_b32 s1, 0
.LBB24_235:                             ; =>This Inner Loop Header: Depth=1
	scratch_load_b64 v[58:59], v56, off
	v_dual_mov_b32 v60, s5 :: v_dual_add_nc_u32 v57, -1, v57
	v_add_nc_u32_e32 v56, 8, v56
	s_add_i32 s5, s5, 8
	ds_load_b64 v[60:61], v60
	v_cmp_eq_u32_e32 vcc_lo, 0, v57
	s_or_b32 s1, vcc_lo, s1
	s_waitcnt vmcnt(0) lgkmcnt(0)
	v_fma_f64 v[51:52], v[58:59], v[60:61], v[51:52]
	s_and_not1_b32 exec_lo, exec_lo, s1
	s_cbranch_execnz .LBB24_235
; %bb.236:
	s_or_b32 exec_lo, exec_lo, s1
.LBB24_237:
	s_delay_alu instid0(SALU_CYCLE_1)
	s_or_b32 exec_lo, exec_lo, s4
	v_mov_b32_e32 v56, 0
	ds_load_b64 v[56:57], v56
	s_waitcnt lgkmcnt(0)
	v_mul_f64 v[51:52], v[51:52], v[56:57]
	scratch_store_b64 off, v[51:52], off
.LBB24_238:
	s_or_b32 exec_lo, exec_lo, s3
.LBB24_239:
	s_delay_alu instid0(SALU_CYCLE_1)
	s_and_b32 vcc_lo, exec_lo, s0
	s_cbranch_vccz .LBB24_475
; %bb.240:
	scratch_load_b64 v[51:52], off, off offset:8
	v_cmp_eq_u32_e64 s0, 0, v0
	s_waitcnt vmcnt(0)
	ds_store_b64 v54, v[51:52]
	s_waitcnt lgkmcnt(0)
	s_waitcnt_vscnt null, 0x0
	s_barrier
	buffer_gl0_inv
	s_and_saveexec_b32 s1, s0
	s_cbranch_execz .LBB24_246
; %bb.241:
	s_and_b32 vcc_lo, exec_lo, s2
	s_cbranch_vccz .LBB24_243
; %bb.242:
	scratch_load_b64 v[51:52], v55, off
	ds_load_b64 v[56:57], v54
	s_waitcnt vmcnt(0) lgkmcnt(0)
	v_mul_f64 v[51:52], v[51:52], v[56:57]
	s_cbranch_execz .LBB24_244
	s_branch .LBB24_245
.LBB24_243:
                                        ; implicit-def: $vgpr51_vgpr52
.LBB24_244:
	ds_load_b64 v[51:52], v54
.LBB24_245:
	v_mov_b32_e32 v56, 0
	ds_load_b64 v[56:57], v56 offset:8
	s_waitcnt lgkmcnt(0)
	v_mul_f64 v[51:52], v[51:52], v[56:57]
	scratch_store_b64 off, v[51:52], off offset:8
.LBB24_246:
	s_or_b32 exec_lo, exec_lo, s1
	scratch_load_b64 v[51:52], off, off offset:16
	v_cndmask_b32_e64 v56, 0, 1, s2
	s_mov_b32 s1, exec_lo
	s_waitcnt vmcnt(0)
	ds_store_b64 v54, v[51:52]
	s_waitcnt lgkmcnt(0)
	s_waitcnt_vscnt null, 0x0
	s_barrier
	buffer_gl0_inv
	v_cmpx_gt_u32_e32 2, v0
	s_cbranch_execz .LBB24_254
; %bb.247:
	s_and_not1_b32 vcc_lo, exec_lo, s2
	s_cbranch_vccnz .LBB24_249
; %bb.248:
	scratch_load_b64 v[51:52], v55, off
	ds_load_b64 v[57:58], v54
	s_waitcnt vmcnt(0) lgkmcnt(0)
	v_mul_f64 v[51:52], v[51:52], v[57:58]
	s_cbranch_execz .LBB24_250
	s_branch .LBB24_251
.LBB24_249:
                                        ; implicit-def: $vgpr51_vgpr52
.LBB24_250:
	ds_load_b64 v[51:52], v54
.LBB24_251:
	s_and_saveexec_b32 s2, s0
	s_cbranch_execz .LBB24_253
; %bb.252:
	scratch_load_b64 v[57:58], v55, off offset:8
	ds_load_b64 v[59:60], v54 offset:8
	s_waitcnt vmcnt(0) lgkmcnt(0)
	v_fma_f64 v[51:52], v[57:58], v[59:60], v[51:52]
.LBB24_253:
	s_or_b32 exec_lo, exec_lo, s2
	v_mov_b32_e32 v57, 0
	ds_load_b64 v[57:58], v57 offset:16
	s_waitcnt lgkmcnt(0)
	v_mul_f64 v[51:52], v[51:52], v[57:58]
	scratch_store_b64 off, v[51:52], off offset:16
.LBB24_254:
	s_or_b32 exec_lo, exec_lo, s1
	scratch_load_b64 v[51:52], off, off offset:24
	s_mov_b32 s1, exec_lo
	s_waitcnt vmcnt(0)
	ds_store_b64 v54, v[51:52]
	s_waitcnt lgkmcnt(0)
	s_waitcnt_vscnt null, 0x0
	s_barrier
	buffer_gl0_inv
	v_cmpx_gt_u32_e32 3, v0
	s_cbranch_execz .LBB24_264
; %bb.255:
	v_cmp_ne_u32_e32 vcc_lo, 1, v56
	s_cbranch_vccnz .LBB24_257
; %bb.256:
	scratch_load_b64 v[51:52], v55, off
	ds_load_b64 v[57:58], v54
	s_waitcnt vmcnt(0) lgkmcnt(0)
	v_mul_f64 v[51:52], v[51:52], v[57:58]
	s_cbranch_execz .LBB24_258
	s_branch .LBB24_259
.LBB24_257:
                                        ; implicit-def: $vgpr51_vgpr52
.LBB24_258:
	ds_load_b64 v[51:52], v54
.LBB24_259:
	s_mov_b32 s2, exec_lo
	v_cmpx_ne_u32_e32 2, v0
	s_cbranch_execz .LBB24_263
; %bb.260:
	scratch_load_b64 v[57:58], v55, off offset:8
	ds_load_b64 v[59:60], v54 offset:8
	s_waitcnt vmcnt(0) lgkmcnt(0)
	v_fma_f64 v[51:52], v[57:58], v[59:60], v[51:52]
	s_and_saveexec_b32 s3, s0
	s_cbranch_execz .LBB24_262
; %bb.261:
	scratch_load_b64 v[57:58], off, off offset:16
	v_mov_b32_e32 v59, 0
	ds_load_b64 v[59:60], v59 offset:224
	s_waitcnt vmcnt(0) lgkmcnt(0)
	v_fma_f64 v[51:52], v[57:58], v[59:60], v[51:52]
.LBB24_262:
	s_or_b32 exec_lo, exec_lo, s3
.LBB24_263:
	s_delay_alu instid0(SALU_CYCLE_1)
	s_or_b32 exec_lo, exec_lo, s2
	v_mov_b32_e32 v57, 0
	ds_load_b64 v[57:58], v57 offset:24
	s_waitcnt lgkmcnt(0)
	v_mul_f64 v[51:52], v[51:52], v[57:58]
	scratch_store_b64 off, v[51:52], off offset:24
.LBB24_264:
	s_or_b32 exec_lo, exec_lo, s1
	scratch_load_b64 v[51:52], off, off offset:32
	s_mov_b32 s0, exec_lo
	s_waitcnt vmcnt(0)
	ds_store_b64 v54, v[51:52]
	s_waitcnt lgkmcnt(0)
	s_waitcnt_vscnt null, 0x0
	s_barrier
	buffer_gl0_inv
	v_cmpx_gt_u32_e32 4, v0
	s_cbranch_execz .LBB24_274
; %bb.265:
	v_cmp_ne_u32_e32 vcc_lo, 1, v56
	s_cbranch_vccnz .LBB24_267
; %bb.266:
	scratch_load_b64 v[51:52], v55, off
	ds_load_b64 v[57:58], v54
	s_waitcnt vmcnt(0) lgkmcnt(0)
	v_mul_f64 v[51:52], v[51:52], v[57:58]
	s_cbranch_execz .LBB24_268
	s_branch .LBB24_269
.LBB24_267:
                                        ; implicit-def: $vgpr51_vgpr52
.LBB24_268:
	ds_load_b64 v[51:52], v54
.LBB24_269:
	s_mov_b32 s1, exec_lo
	v_cmpx_ne_u32_e32 3, v0
	s_cbranch_execz .LBB24_273
; %bb.270:
	v_add_nc_u32_e32 v57, 0xd8, v53
	v_add3_u32 v58, 0, v53, 8
	v_mov_b32_e32 v59, v0
	s_mov_b32 s2, 0
.LBB24_271:                             ; =>This Inner Loop Header: Depth=1
	scratch_load_b64 v[60:61], v58, off
	ds_load_b64 v[62:63], v57
	v_add_nc_u32_e32 v59, 1, v59
	v_add_nc_u32_e32 v57, 8, v57
	v_add_nc_u32_e32 v58, 8, v58
	s_delay_alu instid0(VALU_DEP_3)
	v_cmp_lt_u32_e32 vcc_lo, 2, v59
	s_or_b32 s2, vcc_lo, s2
	s_waitcnt vmcnt(0) lgkmcnt(0)
	v_fma_f64 v[51:52], v[60:61], v[62:63], v[51:52]
	s_and_not1_b32 exec_lo, exec_lo, s2
	s_cbranch_execnz .LBB24_271
; %bb.272:
	s_or_b32 exec_lo, exec_lo, s2
.LBB24_273:
	s_delay_alu instid0(SALU_CYCLE_1)
	s_or_b32 exec_lo, exec_lo, s1
	v_mov_b32_e32 v57, 0
	ds_load_b64 v[57:58], v57 offset:32
	s_waitcnt lgkmcnt(0)
	v_mul_f64 v[51:52], v[51:52], v[57:58]
	scratch_store_b64 off, v[51:52], off offset:32
.LBB24_274:
	s_or_b32 exec_lo, exec_lo, s0
	scratch_load_b64 v[51:52], off, off offset:40
	s_mov_b32 s0, exec_lo
	s_waitcnt vmcnt(0)
	ds_store_b64 v54, v[51:52]
	s_waitcnt lgkmcnt(0)
	s_waitcnt_vscnt null, 0x0
	s_barrier
	buffer_gl0_inv
	v_cmpx_gt_u32_e32 5, v0
	s_cbranch_execz .LBB24_284
; %bb.275:
	v_cmp_ne_u32_e32 vcc_lo, 1, v56
	s_cbranch_vccnz .LBB24_277
; %bb.276:
	scratch_load_b64 v[51:52], v55, off
	ds_load_b64 v[57:58], v54
	s_waitcnt vmcnt(0) lgkmcnt(0)
	v_mul_f64 v[51:52], v[51:52], v[57:58]
	s_cbranch_execz .LBB24_278
	s_branch .LBB24_279
.LBB24_277:
                                        ; implicit-def: $vgpr51_vgpr52
.LBB24_278:
	ds_load_b64 v[51:52], v54
.LBB24_279:
	s_mov_b32 s1, exec_lo
	v_cmpx_ne_u32_e32 4, v0
	s_cbranch_execz .LBB24_283
; %bb.280:
	v_add_nc_u32_e32 v57, 0xd8, v53
	v_add3_u32 v58, 0, v53, 8
	v_mov_b32_e32 v59, v0
	s_mov_b32 s2, 0
.LBB24_281:                             ; =>This Inner Loop Header: Depth=1
	scratch_load_b64 v[60:61], v58, off
	ds_load_b64 v[62:63], v57
	v_add_nc_u32_e32 v59, 1, v59
	v_add_nc_u32_e32 v57, 8, v57
	v_add_nc_u32_e32 v58, 8, v58
	s_delay_alu instid0(VALU_DEP_3)
	v_cmp_lt_u32_e32 vcc_lo, 3, v59
	s_or_b32 s2, vcc_lo, s2
	s_waitcnt vmcnt(0) lgkmcnt(0)
	v_fma_f64 v[51:52], v[60:61], v[62:63], v[51:52]
	s_and_not1_b32 exec_lo, exec_lo, s2
	s_cbranch_execnz .LBB24_281
; %bb.282:
	s_or_b32 exec_lo, exec_lo, s2
.LBB24_283:
	s_delay_alu instid0(SALU_CYCLE_1)
	s_or_b32 exec_lo, exec_lo, s1
	v_mov_b32_e32 v57, 0
	ds_load_b64 v[57:58], v57 offset:40
	s_waitcnt lgkmcnt(0)
	v_mul_f64 v[51:52], v[51:52], v[57:58]
	scratch_store_b64 off, v[51:52], off offset:40
.LBB24_284:
	;; [unrolled: 58-line block ×19, first 2 shown]
	s_or_b32 exec_lo, exec_lo, s0
	scratch_load_b64 v[51:52], off, off offset:184
	v_cmp_gt_u32_e64 s0, 23, v0
	s_waitcnt vmcnt(0)
	ds_store_b64 v54, v[51:52]
	s_waitcnt lgkmcnt(0)
	s_waitcnt_vscnt null, 0x0
	s_barrier
	buffer_gl0_inv
	s_and_saveexec_b32 s1, s0
	s_cbranch_execz .LBB24_464
; %bb.455:
	v_cmp_ne_u32_e32 vcc_lo, 1, v56
	s_cbranch_vccnz .LBB24_457
; %bb.456:
	scratch_load_b64 v[51:52], v55, off
	ds_load_b64 v[57:58], v54
	s_waitcnt vmcnt(0) lgkmcnt(0)
	v_mul_f64 v[51:52], v[51:52], v[57:58]
	s_cbranch_execz .LBB24_458
	s_branch .LBB24_459
.LBB24_457:
                                        ; implicit-def: $vgpr51_vgpr52
.LBB24_458:
	ds_load_b64 v[51:52], v54
.LBB24_459:
	s_mov_b32 s2, exec_lo
	v_cmpx_ne_u32_e32 22, v0
	s_cbranch_execz .LBB24_463
; %bb.460:
	v_add_nc_u32_e32 v57, 0xd8, v53
	v_add3_u32 v58, 0, v53, 8
	v_mov_b32_e32 v59, v0
	s_mov_b32 s3, 0
.LBB24_461:                             ; =>This Inner Loop Header: Depth=1
	scratch_load_b64 v[60:61], v58, off
	ds_load_b64 v[62:63], v57
	v_add_nc_u32_e32 v59, 1, v59
	v_add_nc_u32_e32 v57, 8, v57
	;; [unrolled: 1-line block ×3, first 2 shown]
	s_delay_alu instid0(VALU_DEP_3)
	v_cmp_lt_u32_e32 vcc_lo, 21, v59
	s_or_b32 s3, vcc_lo, s3
	s_waitcnt vmcnt(0) lgkmcnt(0)
	v_fma_f64 v[51:52], v[60:61], v[62:63], v[51:52]
	s_and_not1_b32 exec_lo, exec_lo, s3
	s_cbranch_execnz .LBB24_461
; %bb.462:
	s_or_b32 exec_lo, exec_lo, s3
.LBB24_463:
	s_delay_alu instid0(SALU_CYCLE_1)
	s_or_b32 exec_lo, exec_lo, s2
	v_mov_b32_e32 v57, 0
	ds_load_b64 v[57:58], v57 offset:184
	s_waitcnt lgkmcnt(0)
	v_mul_f64 v[51:52], v[51:52], v[57:58]
	scratch_store_b64 off, v[51:52], off offset:184
.LBB24_464:
	s_or_b32 exec_lo, exec_lo, s1
	scratch_load_b64 v[51:52], off, off offset:192
	s_mov_b32 s1, exec_lo
	s_waitcnt vmcnt(0)
	ds_store_b64 v54, v[51:52]
	s_waitcnt lgkmcnt(0)
	s_waitcnt_vscnt null, 0x0
	s_barrier
	buffer_gl0_inv
	v_cmpx_ne_u32_e32 24, v0
	s_cbranch_execz .LBB24_474
; %bb.465:
	v_cmp_ne_u32_e32 vcc_lo, 1, v56
	s_cbranch_vccnz .LBB24_467
; %bb.466:
	scratch_load_b64 v[51:52], v55, off
	ds_load_b64 v[55:56], v54
	s_waitcnt vmcnt(0) lgkmcnt(0)
	v_mul_f64 v[51:52], v[51:52], v[55:56]
	s_cbranch_execz .LBB24_468
	s_branch .LBB24_469
.LBB24_467:
                                        ; implicit-def: $vgpr51_vgpr52
.LBB24_468:
	ds_load_b64 v[51:52], v54
.LBB24_469:
	s_and_saveexec_b32 s2, s0
	s_cbranch_execz .LBB24_473
; %bb.470:
	v_add_nc_u32_e32 v54, 0xd8, v53
	v_add3_u32 v53, 0, v53, 8
	s_mov_b32 s0, 0
.LBB24_471:                             ; =>This Inner Loop Header: Depth=1
	scratch_load_b64 v[55:56], v53, off
	ds_load_b64 v[57:58], v54
	v_add_nc_u32_e32 v0, 1, v0
	v_add_nc_u32_e32 v54, 8, v54
	;; [unrolled: 1-line block ×3, first 2 shown]
	s_delay_alu instid0(VALU_DEP_3)
	v_cmp_lt_u32_e32 vcc_lo, 22, v0
	s_or_b32 s0, vcc_lo, s0
	s_waitcnt vmcnt(0) lgkmcnt(0)
	v_fma_f64 v[51:52], v[55:56], v[57:58], v[51:52]
	s_and_not1_b32 exec_lo, exec_lo, s0
	s_cbranch_execnz .LBB24_471
; %bb.472:
	s_or_b32 exec_lo, exec_lo, s0
.LBB24_473:
	s_delay_alu instid0(SALU_CYCLE_1)
	s_or_b32 exec_lo, exec_lo, s2
	v_mov_b32_e32 v0, 0
	ds_load_b64 v[53:54], v0 offset:192
	s_waitcnt lgkmcnt(0)
	v_mul_f64 v[51:52], v[51:52], v[53:54]
	scratch_store_b64 off, v[51:52], off offset:192
.LBB24_474:
	s_or_b32 exec_lo, exec_lo, s1
.LBB24_475:
	s_clause 0xa
	scratch_load_b128 v[51:54], off, off
	scratch_load_b128 v[55:58], off, off offset:16
	scratch_load_b128 v[59:62], off, off offset:32
	;; [unrolled: 1-line block ×10, first 2 shown]
	s_waitcnt vmcnt(10)
	s_clause 0x1
	global_store_b64 v[9:10], v[51:52], off
	global_store_b64 v[11:12], v[53:54], off
	s_clause 0x1
	scratch_load_b128 v[9:12], off, off offset:176
	scratch_load_b64 v[51:52], off, off offset:192
	s_waitcnt vmcnt(11)
	s_clause 0x1
	global_store_b64 v[1:2], v[55:56], off
	global_store_b64 v[3:4], v[57:58], off
	s_waitcnt vmcnt(10)
	s_clause 0x1
	global_store_b64 v[5:6], v[59:60], off
	global_store_b64 v[7:8], v[61:62], off
	;; [unrolled: 4-line block ×11, first 2 shown]
	s_waitcnt vmcnt(0)
	global_store_b64 v[49:50], v[51:52], off
.LBB24_476:
	s_endpgm
	.section	.rodata,"a",@progbits
	.p2align	6, 0x0
	.amdhsa_kernel _ZN9rocsolver6v33100L18trti2_kernel_smallILi25EdPdEEv13rocblas_fill_17rocblas_diagonal_T1_iil
		.amdhsa_group_segment_fixed_size 408
		.amdhsa_private_segment_fixed_size 208
		.amdhsa_kernarg_size 32
		.amdhsa_user_sgpr_count 15
		.amdhsa_user_sgpr_dispatch_ptr 0
		.amdhsa_user_sgpr_queue_ptr 0
		.amdhsa_user_sgpr_kernarg_segment_ptr 1
		.amdhsa_user_sgpr_dispatch_id 0
		.amdhsa_user_sgpr_private_segment_size 0
		.amdhsa_wavefront_size32 1
		.amdhsa_uses_dynamic_stack 0
		.amdhsa_enable_private_segment 1
		.amdhsa_system_sgpr_workgroup_id_x 1
		.amdhsa_system_sgpr_workgroup_id_y 0
		.amdhsa_system_sgpr_workgroup_id_z 0
		.amdhsa_system_sgpr_workgroup_info 0
		.amdhsa_system_vgpr_workitem_id 0
		.amdhsa_next_free_vgpr 95
		.amdhsa_next_free_sgpr 16
		.amdhsa_reserve_vcc 1
		.amdhsa_float_round_mode_32 0
		.amdhsa_float_round_mode_16_64 0
		.amdhsa_float_denorm_mode_32 3
		.amdhsa_float_denorm_mode_16_64 3
		.amdhsa_dx10_clamp 1
		.amdhsa_ieee_mode 1
		.amdhsa_fp16_overflow 0
		.amdhsa_workgroup_processor_mode 1
		.amdhsa_memory_ordered 1
		.amdhsa_forward_progress 0
		.amdhsa_shared_vgpr_count 0
		.amdhsa_exception_fp_ieee_invalid_op 0
		.amdhsa_exception_fp_denorm_src 0
		.amdhsa_exception_fp_ieee_div_zero 0
		.amdhsa_exception_fp_ieee_overflow 0
		.amdhsa_exception_fp_ieee_underflow 0
		.amdhsa_exception_fp_ieee_inexact 0
		.amdhsa_exception_int_div_zero 0
	.end_amdhsa_kernel
	.section	.text._ZN9rocsolver6v33100L18trti2_kernel_smallILi25EdPdEEv13rocblas_fill_17rocblas_diagonal_T1_iil,"axG",@progbits,_ZN9rocsolver6v33100L18trti2_kernel_smallILi25EdPdEEv13rocblas_fill_17rocblas_diagonal_T1_iil,comdat
.Lfunc_end24:
	.size	_ZN9rocsolver6v33100L18trti2_kernel_smallILi25EdPdEEv13rocblas_fill_17rocblas_diagonal_T1_iil, .Lfunc_end24-_ZN9rocsolver6v33100L18trti2_kernel_smallILi25EdPdEEv13rocblas_fill_17rocblas_diagonal_T1_iil
                                        ; -- End function
	.section	.AMDGPU.csdata,"",@progbits
; Kernel info:
; codeLenInByte = 13364
; NumSgprs: 18
; NumVgprs: 95
; ScratchSize: 208
; MemoryBound: 0
; FloatMode: 240
; IeeeMode: 1
; LDSByteSize: 408 bytes/workgroup (compile time only)
; SGPRBlocks: 2
; VGPRBlocks: 11
; NumSGPRsForWavesPerEU: 18
; NumVGPRsForWavesPerEU: 95
; Occupancy: 16
; WaveLimiterHint : 0
; COMPUTE_PGM_RSRC2:SCRATCH_EN: 1
; COMPUTE_PGM_RSRC2:USER_SGPR: 15
; COMPUTE_PGM_RSRC2:TRAP_HANDLER: 0
; COMPUTE_PGM_RSRC2:TGID_X_EN: 1
; COMPUTE_PGM_RSRC2:TGID_Y_EN: 0
; COMPUTE_PGM_RSRC2:TGID_Z_EN: 0
; COMPUTE_PGM_RSRC2:TIDIG_COMP_CNT: 0
	.section	.text._ZN9rocsolver6v33100L18trti2_kernel_smallILi26EdPdEEv13rocblas_fill_17rocblas_diagonal_T1_iil,"axG",@progbits,_ZN9rocsolver6v33100L18trti2_kernel_smallILi26EdPdEEv13rocblas_fill_17rocblas_diagonal_T1_iil,comdat
	.globl	_ZN9rocsolver6v33100L18trti2_kernel_smallILi26EdPdEEv13rocblas_fill_17rocblas_diagonal_T1_iil ; -- Begin function _ZN9rocsolver6v33100L18trti2_kernel_smallILi26EdPdEEv13rocblas_fill_17rocblas_diagonal_T1_iil
	.p2align	8
	.type	_ZN9rocsolver6v33100L18trti2_kernel_smallILi26EdPdEEv13rocblas_fill_17rocblas_diagonal_T1_iil,@function
_ZN9rocsolver6v33100L18trti2_kernel_smallILi26EdPdEEv13rocblas_fill_17rocblas_diagonal_T1_iil: ; @_ZN9rocsolver6v33100L18trti2_kernel_smallILi26EdPdEEv13rocblas_fill_17rocblas_diagonal_T1_iil
; %bb.0:
	s_mov_b32 s2, exec_lo
	v_cmpx_gt_u32_e32 26, v0
	s_cbranch_execz .LBB25_496
; %bb.1:
	s_load_b256 s[0:7], s[0:1], 0x0
	s_ashr_i32 s10, s15, 31
	v_lshlrev_b32_e32 v55, 3, v0
	s_waitcnt lgkmcnt(0)
	s_ashr_i32 s9, s4, 31
	s_mov_b32 s8, s4
	s_mul_i32 s4, s15, s7
	s_mul_hi_u32 s7, s15, s6
	v_add3_u32 v5, s5, s5, v0
	s_mul_i32 s10, s10, s6
	s_add_i32 s4, s7, s4
	s_mul_i32 s6, s15, s6
	s_add_i32 s7, s4, s10
	v_add_nc_u32_e32 v7, s5, v5
	s_lshl_b64 s[6:7], s[6:7], 3
	v_ashrrev_i32_e32 v6, 31, v5
	s_add_u32 s4, s2, s6
	s_addc_u32 s6, s3, s7
	s_lshl_b64 s[2:3], s[8:9], 3
	v_add_nc_u32_e32 v11, s5, v7
	s_add_u32 s2, s4, s2
	s_addc_u32 s3, s6, s3
	v_add_co_u32 v1, s4, s2, v55
	v_ashrrev_i32_e32 v8, 31, v7
	s_mov_b32 s10, s5
	s_ashr_i32 s11, s5, 31
	v_add_co_ci_u32_e64 v2, null, s3, 0, s4
	v_lshlrev_b64 v[5:6], 3, v[5:6]
	s_lshl_b64 s[6:7], s[10:11], 3
	v_add_nc_u32_e32 v13, s5, v11
	v_add_co_u32 v3, vcc_lo, v1, s6
	v_lshlrev_b64 v[7:8], 3, v[7:8]
	v_ashrrev_i32_e32 v12, 31, v11
	v_add_co_ci_u32_e32 v4, vcc_lo, s7, v2, vcc_lo
	v_add_co_u32 v9, vcc_lo, s2, v5
	v_ashrrev_i32_e32 v14, 31, v13
	v_add_co_ci_u32_e32 v10, vcc_lo, s3, v6, vcc_lo
	v_lshlrev_b64 v[5:6], 3, v[11:12]
	v_add_co_u32 v11, vcc_lo, s2, v7
	s_clause 0x1
	global_load_b64 v[37:38], v55, s[2:3]
	global_load_b64 v[39:40], v[3:4], off
	v_add_co_ci_u32_e32 v12, vcc_lo, s3, v8, vcc_lo
	v_lshlrev_b64 v[7:8], 3, v[13:14]
	v_add_nc_u32_e32 v13, s5, v13
	v_add_co_u32 v5, vcc_lo, s2, v5
	v_add_co_ci_u32_e32 v6, vcc_lo, s3, v6, vcc_lo
	s_delay_alu instid0(VALU_DEP_3) | instskip(SKIP_3) | instid1(VALU_DEP_4)
	v_add_nc_u32_e32 v17, s5, v13
	v_ashrrev_i32_e32 v14, 31, v13
	v_add_co_u32 v7, vcc_lo, s2, v7
	v_add_co_ci_u32_e32 v8, vcc_lo, s3, v8, vcc_lo
	v_ashrrev_i32_e32 v18, 31, v17
	s_delay_alu instid0(VALU_DEP_4)
	v_lshlrev_b64 v[13:14], 3, v[13:14]
	s_clause 0x3
	global_load_b64 v[45:46], v[9:10], off
	global_load_b64 v[47:48], v[11:12], off
	global_load_b64 v[49:50], v[5:6], off
	global_load_b64 v[51:52], v[7:8], off
	s_cmpk_lg_i32 s1, 0x84
	v_lshlrev_b64 v[15:16], 3, v[17:18]
	v_add_nc_u32_e32 v17, s5, v17
	v_add_co_u32 v13, vcc_lo, s2, v13
	v_add_co_ci_u32_e32 v14, vcc_lo, s3, v14, vcc_lo
	s_delay_alu instid0(VALU_DEP_4)
	v_add_co_u32 v15, vcc_lo, s2, v15
	v_add_co_ci_u32_e32 v16, vcc_lo, s3, v16, vcc_lo
	s_clause 0x1
	global_load_b64 v[56:57], v[13:14], off
	global_load_b64 v[58:59], v[15:16], off
	v_add_nc_u32_e32 v19, s5, v17
	v_ashrrev_i32_e32 v18, 31, v17
	s_delay_alu instid0(VALU_DEP_2) | instskip(SKIP_1) | instid1(VALU_DEP_3)
	v_add_nc_u32_e32 v21, s5, v19
	v_ashrrev_i32_e32 v20, 31, v19
	v_lshlrev_b64 v[17:18], 3, v[17:18]
	s_delay_alu instid0(VALU_DEP_3) | instskip(SKIP_1) | instid1(VALU_DEP_4)
	v_add_nc_u32_e32 v23, s5, v21
	v_ashrrev_i32_e32 v22, 31, v21
	v_lshlrev_b64 v[19:20], 3, v[19:20]
	s_delay_alu instid0(VALU_DEP_4) | instskip(NEXT) | instid1(VALU_DEP_4)
	v_add_co_u32 v17, vcc_lo, s2, v17
	v_add_nc_u32_e32 v25, s5, v23
	v_ashrrev_i32_e32 v24, 31, v23
	v_lshlrev_b64 v[21:22], 3, v[21:22]
	v_add_co_ci_u32_e32 v18, vcc_lo, s3, v18, vcc_lo
	s_delay_alu instid0(VALU_DEP_4) | instskip(SKIP_3) | instid1(VALU_DEP_4)
	v_add_nc_u32_e32 v27, s5, v25
	v_ashrrev_i32_e32 v26, 31, v25
	v_add_co_u32 v19, vcc_lo, s2, v19
	v_lshlrev_b64 v[23:24], 3, v[23:24]
	v_add_nc_u32_e32 v29, s5, v27
	v_ashrrev_i32_e32 v28, 31, v27
	v_add_co_ci_u32_e32 v20, vcc_lo, s3, v20, vcc_lo
	v_add_co_u32 v21, vcc_lo, s2, v21
	s_delay_alu instid0(VALU_DEP_4) | instskip(SKIP_3) | instid1(VALU_DEP_4)
	v_add_nc_u32_e32 v31, s5, v29
	v_lshlrev_b64 v[25:26], 3, v[25:26]
	v_add_co_ci_u32_e32 v22, vcc_lo, s3, v22, vcc_lo
	v_add_co_u32 v23, vcc_lo, s2, v23
	v_add_nc_u32_e32 v33, s5, v31
	v_lshlrev_b64 v[27:28], 3, v[27:28]
	v_ashrrev_i32_e32 v30, 31, v29
	v_add_co_ci_u32_e32 v24, vcc_lo, s3, v24, vcc_lo
	s_delay_alu instid0(VALU_DEP_4) | instskip(SKIP_3) | instid1(VALU_DEP_4)
	v_add_nc_u32_e32 v35, s5, v33
	v_add_co_u32 v25, vcc_lo, s2, v25
	v_ashrrev_i32_e32 v32, 31, v31
	v_add_co_ci_u32_e32 v26, vcc_lo, s3, v26, vcc_lo
	v_add_nc_u32_e32 v41, s5, v35
	v_lshlrev_b64 v[70:71], 3, v[29:30]
	v_add_co_u32 v29, vcc_lo, s2, v27
	v_add_co_ci_u32_e32 v30, vcc_lo, s3, v28, vcc_lo
	s_delay_alu instid0(VALU_DEP_4) | instskip(SKIP_3) | instid1(VALU_DEP_4)
	v_add_nc_u32_e32 v43, s5, v41
	v_lshlrev_b64 v[27:28], 3, v[31:32]
	v_ashrrev_i32_e32 v34, 31, v33
	v_add_co_u32 v31, vcc_lo, s2, v70
	v_add_nc_u32_e32 v53, s5, v43
	v_ashrrev_i32_e32 v36, 31, v35
	v_add_co_ci_u32_e32 v32, vcc_lo, s3, v71, vcc_lo
	v_lshlrev_b64 v[70:71], 3, v[33:34]
	s_delay_alu instid0(VALU_DEP_4) | instskip(SKIP_3) | instid1(VALU_DEP_4)
	v_add_nc_u32_e32 v72, s5, v53
	v_add_co_u32 v33, vcc_lo, s2, v27
	v_ashrrev_i32_e32 v42, 31, v41
	v_add_co_ci_u32_e32 v34, vcc_lo, s3, v28, vcc_lo
	v_add_nc_u32_e32 v82, s5, v72
	v_lshlrev_b64 v[83:84], 3, v[35:36]
	v_ashrrev_i32_e32 v44, 31, v43
	v_lshlrev_b64 v[41:42], 3, v[41:42]
	v_ashrrev_i32_e32 v54, 31, v53
	v_add_nc_u32_e32 v90, s5, v82
	s_clause 0x4
	global_load_b64 v[60:61], v[17:18], off
	global_load_b64 v[62:63], v[19:20], off
	global_load_b64 v[64:65], v[21:22], off
	global_load_b64 v[66:67], v[23:24], off
	global_load_b64 v[68:69], v[25:26], off
	v_lshlrev_b64 v[43:44], 3, v[43:44]
	v_lshlrev_b64 v[53:54], 3, v[53:54]
	v_add_nc_u32_e32 v92, s5, v90
	v_ashrrev_i32_e32 v91, 31, v90
	s_delay_alu instid0(VALU_DEP_2) | instskip(SKIP_1) | instid1(VALU_DEP_2)
	v_add_nc_u32_e32 v73, s5, v92
	v_ashrrev_i32_e32 v93, 31, v92
	v_ashrrev_i32_e32 v74, 31, v73
	s_delay_alu instid0(VALU_DEP_1) | instskip(NEXT) | instid1(VALU_DEP_1)
	v_lshlrev_b64 v[73:74], 3, v[73:74]
	v_add_co_u32 v27, vcc_lo, s2, v73
	s_delay_alu instid0(VALU_DEP_2)
	v_add_co_ci_u32_e32 v28, vcc_lo, s3, v74, vcc_lo
	v_add_co_u32 v35, vcc_lo, s2, v70
	v_add_co_ci_u32_e32 v36, vcc_lo, s3, v71, vcc_lo
	v_ashrrev_i32_e32 v73, 31, v72
	global_load_b64 v[74:75], v[27:28], off
	v_lshlrev_b64 v[72:73], 3, v[72:73]
	s_waitcnt vmcnt(12)
	scratch_store_b128 off, v[37:40], off
	v_add_co_u32 v37, vcc_lo, s2, v83
	v_add_co_ci_u32_e32 v38, vcc_lo, s3, v84, vcc_lo
	v_add_co_u32 v39, vcc_lo, s2, v41
	v_add_co_ci_u32_e32 v40, vcc_lo, s3, v42, vcc_lo
	v_add_co_u32 v41, vcc_lo, s2, v43
	v_ashrrev_i32_e32 v83, 31, v82
	v_add_co_ci_u32_e32 v42, vcc_lo, s3, v44, vcc_lo
	v_add_co_u32 v43, vcc_lo, s2, v53
	v_add_co_ci_u32_e32 v44, vcc_lo, s3, v54, vcc_lo
	s_delay_alu instid0(VALU_DEP_4)
	v_lshlrev_b64 v[53:54], 3, v[82:83]
	s_clause 0x3
	global_load_b64 v[70:71], v[29:30], off
	global_load_b64 v[76:77], v[31:32], off
	;; [unrolled: 1-line block ×4, first 2 shown]
	s_waitcnt vmcnt(14)
	scratch_store_b128 off, v[45:48], off offset:16
	s_waitcnt vmcnt(12)
	scratch_store_b128 off, v[49:52], off offset:32
	v_add_co_u32 v47, vcc_lo, s2, v72
	v_add_co_ci_u32_e32 v48, vcc_lo, s3, v73, vcc_lo
	v_lshlrev_b64 v[45:46], 3, v[90:91]
	v_add_co_u32 v49, vcc_lo, s2, v53
	v_add_co_ci_u32_e32 v50, vcc_lo, s3, v54, vcc_lo
	v_lshlrev_b64 v[53:54], 3, v[92:93]
	s_delay_alu instid0(VALU_DEP_4)
	v_add_co_u32 v51, vcc_lo, s2, v45
	v_add_co_ci_u32_e32 v52, vcc_lo, s3, v46, vcc_lo
	s_clause 0x3
	global_load_b64 v[82:83], v[37:38], off
	global_load_b64 v[84:85], v[39:40], off
	;; [unrolled: 1-line block ×4, first 2 shown]
	v_add_co_u32 v45, vcc_lo, s2, v53
	v_add_co_ci_u32_e32 v46, vcc_lo, s3, v54, vcc_lo
	v_mov_b32_e32 v53, 0
	s_waitcnt vmcnt(14)
	scratch_store_b128 off, v[56:59], off offset:48
	s_clause 0x3
	global_load_b64 v[90:91], v[47:48], off
	global_load_b64 v[56:57], v[49:50], off
	;; [unrolled: 1-line block ×4, first 2 shown]
	v_mov_b32_e32 v54, 0xbff00000
	s_cselect_b32 s2, -1, 0
	s_cmpk_eq_i32 s1, 0x84
	s_waitcnt vmcnt(16)
	scratch_store_b128 off, v[60:63], off offset:64
	s_waitcnt vmcnt(14)
	scratch_store_b128 off, v[64:67], off offset:80
	;; [unrolled: 2-line block ×9, first 2 shown]
	s_cbranch_scc1 .LBB25_3
; %bb.2:
	scratch_load_b64 v[53:54], v55, off
	s_waitcnt vmcnt(0)
	v_div_scale_f64 v[56:57], null, v[53:54], v[53:54], 1.0
	v_div_scale_f64 v[62:63], vcc_lo, 1.0, v[53:54], 1.0
	s_delay_alu instid0(VALU_DEP_2) | instskip(SKIP_2) | instid1(VALU_DEP_1)
	v_rcp_f64_e32 v[58:59], v[56:57]
	s_waitcnt_depctr 0xfff
	v_fma_f64 v[60:61], -v[56:57], v[58:59], 1.0
	v_fma_f64 v[58:59], v[58:59], v[60:61], v[58:59]
	s_delay_alu instid0(VALU_DEP_1) | instskip(NEXT) | instid1(VALU_DEP_1)
	v_fma_f64 v[60:61], -v[56:57], v[58:59], 1.0
	v_fma_f64 v[58:59], v[58:59], v[60:61], v[58:59]
	s_delay_alu instid0(VALU_DEP_1) | instskip(NEXT) | instid1(VALU_DEP_1)
	v_mul_f64 v[60:61], v[62:63], v[58:59]
	v_fma_f64 v[56:57], -v[56:57], v[60:61], v[62:63]
	s_delay_alu instid0(VALU_DEP_1) | instskip(NEXT) | instid1(VALU_DEP_1)
	v_div_fmas_f64 v[56:57], v[56:57], v[58:59], v[60:61]
	v_div_fixup_f64 v[53:54], v[56:57], v[53:54], 1.0
	scratch_store_b64 v55, v[53:54], off
	v_xor_b32_e32 v54, 0x80000000, v54
.LBB25_3:
	v_add_nc_u32_e32 v56, 0xd0, v55
	v_add_nc_u32_e32 v57, 0, v55
	s_cmpk_eq_i32 s0, 0x79
	s_mov_b32 s0, -1
	ds_store_b64 v55, v[53:54]
	s_cbranch_scc1 .LBB25_249
; %bb.4:
	scratch_load_b64 v[53:54], off, off offset:192
	v_cmp_eq_u32_e64 s0, 25, v0
	s_movk_i32 s1, 0x50
	s_movk_i32 s3, 0x60
	;; [unrolled: 1-line block ×7, first 2 shown]
	s_waitcnt vmcnt(0)
	ds_store_b64 v56, v[53:54]
	s_waitcnt lgkmcnt(0)
	s_waitcnt_vscnt null, 0x0
	s_barrier
	buffer_gl0_inv
	s_and_saveexec_b32 s9, s0
	s_cbranch_execz .LBB25_10
; %bb.5:
	s_and_b32 vcc_lo, exec_lo, s2
	s_cbranch_vccz .LBB25_7
; %bb.6:
	scratch_load_b64 v[53:54], v57, off
	ds_load_b64 v[58:59], v56
	s_waitcnt vmcnt(0) lgkmcnt(0)
	v_mul_f64 v[53:54], v[53:54], v[58:59]
	s_cbranch_execz .LBB25_8
	s_branch .LBB25_9
.LBB25_7:
                                        ; implicit-def: $vgpr53_vgpr54
.LBB25_8:
	ds_load_b64 v[53:54], v56
.LBB25_9:
	v_mov_b32_e32 v58, 0
	ds_load_b64 v[58:59], v58 offset:192
	s_waitcnt lgkmcnt(0)
	v_mul_f64 v[53:54], v[53:54], v[58:59]
	scratch_store_b64 off, v[53:54], off offset:192
.LBB25_10:
	s_or_b32 exec_lo, exec_lo, s9
	scratch_load_b64 v[53:54], off, off offset:184
	v_add_nc_u32_e64 v58, 0, 16
	v_add_nc_u32_e64 v59, 0, 32
	;; [unrolled: 1-line block ×11, first 2 shown]
	v_cmp_lt_u32_e64 s1, 23, v0
	s_waitcnt vmcnt(0)
	ds_store_b64 v56, v[53:54]
	s_waitcnt lgkmcnt(0)
	s_waitcnt_vscnt null, 0x0
	s_barrier
	buffer_gl0_inv
	s_and_saveexec_b32 s3, s1
	s_cbranch_execz .LBB25_18
; %bb.11:
	s_and_not1_b32 vcc_lo, exec_lo, s2
	s_cbranch_vccnz .LBB25_13
; %bb.12:
	scratch_load_b64 v[53:54], v57, off
	ds_load_b64 v[69:70], v56
	s_waitcnt vmcnt(0) lgkmcnt(0)
	v_mul_f64 v[53:54], v[53:54], v[69:70]
	s_cbranch_execz .LBB25_14
	s_branch .LBB25_15
.LBB25_13:
                                        ; implicit-def: $vgpr53_vgpr54
.LBB25_14:
	ds_load_b64 v[53:54], v56
.LBB25_15:
	s_and_saveexec_b32 s4, s0
	s_cbranch_execz .LBB25_17
; %bb.16:
	scratch_load_b64 v[69:70], off, off offset:192
	v_mov_b32_e32 v71, 0
	ds_load_b64 v[71:72], v71 offset:400
	s_waitcnt vmcnt(0) lgkmcnt(0)
	v_fma_f64 v[53:54], v[69:70], v[71:72], v[53:54]
.LBB25_17:
	s_or_b32 exec_lo, exec_lo, s4
	v_mov_b32_e32 v69, 0
	ds_load_b64 v[69:70], v69 offset:184
	s_waitcnt lgkmcnt(0)
	v_mul_f64 v[53:54], v[53:54], v[69:70]
	scratch_store_b64 off, v[53:54], off offset:184
.LBB25_18:
	s_or_b32 exec_lo, exec_lo, s3
	scratch_load_b64 v[53:54], off, off offset:176
	v_cmp_lt_u32_e64 s0, 22, v0
	s_waitcnt vmcnt(0)
	ds_store_b64 v56, v[53:54]
	s_waitcnt lgkmcnt(0)
	s_waitcnt_vscnt null, 0x0
	s_barrier
	buffer_gl0_inv
	s_and_saveexec_b32 s3, s0
	s_cbranch_execz .LBB25_28
; %bb.19:
	s_and_not1_b32 vcc_lo, exec_lo, s2
	s_cbranch_vccnz .LBB25_21
; %bb.20:
	scratch_load_b64 v[53:54], v57, off
	ds_load_b64 v[69:70], v56
	s_waitcnt vmcnt(0) lgkmcnt(0)
	v_mul_f64 v[53:54], v[53:54], v[69:70]
	s_cbranch_execz .LBB25_22
	s_branch .LBB25_23
.LBB25_21:
                                        ; implicit-def: $vgpr53_vgpr54
.LBB25_22:
	ds_load_b64 v[53:54], v56
.LBB25_23:
	s_and_saveexec_b32 s4, s1
	s_cbranch_execz .LBB25_27
; %bb.24:
	v_mov_b32_e32 v69, 0
	v_subrev_nc_u32_e32 v70, 23, v0
	s_movk_i32 s5, 0x188
	s_mov_b32 s1, 0
	s_delay_alu instid0(VALU_DEP_2)
	v_add_nc_u32_e32 v69, 0xb8, v69
.LBB25_25:                              ; =>This Inner Loop Header: Depth=1
	scratch_load_b64 v[71:72], v69, off
	v_dual_mov_b32 v73, s5 :: v_dual_add_nc_u32 v70, -1, v70
	v_add_nc_u32_e32 v69, 8, v69
	s_add_i32 s5, s5, 8
	ds_load_b64 v[73:74], v73
	v_cmp_eq_u32_e32 vcc_lo, 0, v70
	s_or_b32 s1, vcc_lo, s1
	s_waitcnt vmcnt(0) lgkmcnt(0)
	v_fma_f64 v[53:54], v[71:72], v[73:74], v[53:54]
	s_and_not1_b32 exec_lo, exec_lo, s1
	s_cbranch_execnz .LBB25_25
; %bb.26:
	s_or_b32 exec_lo, exec_lo, s1
.LBB25_27:
	s_delay_alu instid0(SALU_CYCLE_1)
	s_or_b32 exec_lo, exec_lo, s4
	v_mov_b32_e32 v69, 0
	ds_load_b64 v[69:70], v69 offset:176
	s_waitcnt lgkmcnt(0)
	v_mul_f64 v[53:54], v[53:54], v[69:70]
	scratch_store_b64 off, v[53:54], off offset:176
.LBB25_28:
	s_or_b32 exec_lo, exec_lo, s3
	scratch_load_b64 v[53:54], off, off offset:168
	v_cmp_lt_u32_e64 s1, 21, v0
	s_waitcnt vmcnt(0)
	ds_store_b64 v56, v[53:54]
	s_waitcnt lgkmcnt(0)
	s_waitcnt_vscnt null, 0x0
	s_barrier
	buffer_gl0_inv
	s_and_saveexec_b32 s3, s1
	s_cbranch_execz .LBB25_38
; %bb.29:
	s_and_not1_b32 vcc_lo, exec_lo, s2
	s_cbranch_vccnz .LBB25_31
; %bb.30:
	scratch_load_b64 v[53:54], v57, off
	ds_load_b64 v[69:70], v56
	s_waitcnt vmcnt(0) lgkmcnt(0)
	v_mul_f64 v[53:54], v[53:54], v[69:70]
	s_cbranch_execz .LBB25_32
	s_branch .LBB25_33
.LBB25_31:
                                        ; implicit-def: $vgpr53_vgpr54
.LBB25_32:
	ds_load_b64 v[53:54], v56
.LBB25_33:
	s_and_saveexec_b32 s4, s0
	s_cbranch_execz .LBB25_37
; %bb.34:
	v_subrev_nc_u32_e32 v69, 22, v0
	s_movk_i32 s5, 0x180
	s_mov_b32 s0, 0
.LBB25_35:                              ; =>This Inner Loop Header: Depth=1
	scratch_load_b64 v[70:71], v68, off
	v_dual_mov_b32 v72, s5 :: v_dual_add_nc_u32 v69, -1, v69
	v_add_nc_u32_e32 v68, 8, v68
	s_add_i32 s5, s5, 8
	ds_load_b64 v[72:73], v72
	v_cmp_eq_u32_e32 vcc_lo, 0, v69
	s_or_b32 s0, vcc_lo, s0
	s_waitcnt vmcnt(0) lgkmcnt(0)
	v_fma_f64 v[53:54], v[70:71], v[72:73], v[53:54]
	s_and_not1_b32 exec_lo, exec_lo, s0
	s_cbranch_execnz .LBB25_35
; %bb.36:
	s_or_b32 exec_lo, exec_lo, s0
.LBB25_37:
	s_delay_alu instid0(SALU_CYCLE_1)
	s_or_b32 exec_lo, exec_lo, s4
	v_mov_b32_e32 v68, 0
	ds_load_b64 v[68:69], v68 offset:168
	s_waitcnt lgkmcnt(0)
	v_mul_f64 v[53:54], v[53:54], v[68:69]
	scratch_store_b64 off, v[53:54], off offset:168
.LBB25_38:
	s_or_b32 exec_lo, exec_lo, s3
	scratch_load_b64 v[53:54], off, off offset:160
	v_cmp_lt_u32_e64 s0, 20, v0
	s_waitcnt vmcnt(0)
	ds_store_b64 v56, v[53:54]
	s_waitcnt lgkmcnt(0)
	s_waitcnt_vscnt null, 0x0
	s_barrier
	buffer_gl0_inv
	s_and_saveexec_b32 s3, s0
	s_cbranch_execz .LBB25_48
; %bb.39:
	s_and_not1_b32 vcc_lo, exec_lo, s2
	s_cbranch_vccnz .LBB25_41
; %bb.40:
	scratch_load_b64 v[53:54], v57, off
	ds_load_b64 v[68:69], v56
	s_waitcnt vmcnt(0) lgkmcnt(0)
	v_mul_f64 v[53:54], v[53:54], v[68:69]
	s_cbranch_execz .LBB25_42
	s_branch .LBB25_43
.LBB25_41:
                                        ; implicit-def: $vgpr53_vgpr54
.LBB25_42:
	ds_load_b64 v[53:54], v56
.LBB25_43:
	s_and_saveexec_b32 s4, s1
	s_cbranch_execz .LBB25_47
; %bb.44:
	v_mov_b32_e32 v68, 0
	v_subrev_nc_u32_e32 v69, 21, v0
	s_movk_i32 s5, 0x178
	s_mov_b32 s1, 0
	s_delay_alu instid0(VALU_DEP_2)
	v_add_nc_u32_e32 v68, 0xa8, v68
.LBB25_45:                              ; =>This Inner Loop Header: Depth=1
	scratch_load_b64 v[70:71], v68, off
	v_dual_mov_b32 v72, s5 :: v_dual_add_nc_u32 v69, -1, v69
	v_add_nc_u32_e32 v68, 8, v68
	s_add_i32 s5, s5, 8
	ds_load_b64 v[72:73], v72
	v_cmp_eq_u32_e32 vcc_lo, 0, v69
	s_or_b32 s1, vcc_lo, s1
	s_waitcnt vmcnt(0) lgkmcnt(0)
	v_fma_f64 v[53:54], v[70:71], v[72:73], v[53:54]
	s_and_not1_b32 exec_lo, exec_lo, s1
	s_cbranch_execnz .LBB25_45
; %bb.46:
	s_or_b32 exec_lo, exec_lo, s1
.LBB25_47:
	s_delay_alu instid0(SALU_CYCLE_1)
	s_or_b32 exec_lo, exec_lo, s4
	v_mov_b32_e32 v68, 0
	ds_load_b64 v[68:69], v68 offset:160
	s_waitcnt lgkmcnt(0)
	v_mul_f64 v[53:54], v[53:54], v[68:69]
	scratch_store_b64 off, v[53:54], off offset:160
.LBB25_48:
	s_or_b32 exec_lo, exec_lo, s3
	scratch_load_b64 v[53:54], off, off offset:152
	v_cmp_lt_u32_e64 s1, 19, v0
	s_waitcnt vmcnt(0)
	ds_store_b64 v56, v[53:54]
	s_waitcnt lgkmcnt(0)
	s_waitcnt_vscnt null, 0x0
	s_barrier
	buffer_gl0_inv
	s_and_saveexec_b32 s3, s1
	s_cbranch_execz .LBB25_58
; %bb.49:
	s_and_not1_b32 vcc_lo, exec_lo, s2
	s_cbranch_vccnz .LBB25_51
; %bb.50:
	scratch_load_b64 v[53:54], v57, off
	ds_load_b64 v[68:69], v56
	s_waitcnt vmcnt(0) lgkmcnt(0)
	v_mul_f64 v[53:54], v[53:54], v[68:69]
	s_cbranch_execz .LBB25_52
	s_branch .LBB25_53
.LBB25_51:
                                        ; implicit-def: $vgpr53_vgpr54
.LBB25_52:
	ds_load_b64 v[53:54], v56
.LBB25_53:
	s_and_saveexec_b32 s4, s0
	s_cbranch_execz .LBB25_57
; %bb.54:
	v_subrev_nc_u32_e32 v68, 20, v0
	s_movk_i32 s5, 0x170
	s_mov_b32 s0, 0
.LBB25_55:                              ; =>This Inner Loop Header: Depth=1
	scratch_load_b64 v[69:70], v67, off
	v_dual_mov_b32 v71, s5 :: v_dual_add_nc_u32 v68, -1, v68
	v_add_nc_u32_e32 v67, 8, v67
	s_add_i32 s5, s5, 8
	ds_load_b64 v[71:72], v71
	v_cmp_eq_u32_e32 vcc_lo, 0, v68
	s_or_b32 s0, vcc_lo, s0
	s_waitcnt vmcnt(0) lgkmcnt(0)
	v_fma_f64 v[53:54], v[69:70], v[71:72], v[53:54]
	s_and_not1_b32 exec_lo, exec_lo, s0
	s_cbranch_execnz .LBB25_55
; %bb.56:
	s_or_b32 exec_lo, exec_lo, s0
.LBB25_57:
	s_delay_alu instid0(SALU_CYCLE_1)
	s_or_b32 exec_lo, exec_lo, s4
	v_mov_b32_e32 v67, 0
	ds_load_b64 v[67:68], v67 offset:152
	s_waitcnt lgkmcnt(0)
	v_mul_f64 v[53:54], v[53:54], v[67:68]
	scratch_store_b64 off, v[53:54], off offset:152
.LBB25_58:
	s_or_b32 exec_lo, exec_lo, s3
	scratch_load_b64 v[53:54], off, off offset:144
	v_cmp_lt_u32_e64 s0, 18, v0
	s_waitcnt vmcnt(0)
	ds_store_b64 v56, v[53:54]
	s_waitcnt lgkmcnt(0)
	s_waitcnt_vscnt null, 0x0
	s_barrier
	buffer_gl0_inv
	s_and_saveexec_b32 s3, s0
	s_cbranch_execz .LBB25_68
; %bb.59:
	s_and_not1_b32 vcc_lo, exec_lo, s2
	s_cbranch_vccnz .LBB25_61
; %bb.60:
	scratch_load_b64 v[53:54], v57, off
	ds_load_b64 v[67:68], v56
	s_waitcnt vmcnt(0) lgkmcnt(0)
	v_mul_f64 v[53:54], v[53:54], v[67:68]
	s_cbranch_execz .LBB25_62
	s_branch .LBB25_63
.LBB25_61:
                                        ; implicit-def: $vgpr53_vgpr54
.LBB25_62:
	ds_load_b64 v[53:54], v56
.LBB25_63:
	s_and_saveexec_b32 s4, s1
	s_cbranch_execz .LBB25_67
; %bb.64:
	v_mov_b32_e32 v67, 0
	v_subrev_nc_u32_e32 v68, 19, v0
	s_movk_i32 s5, 0x168
	s_mov_b32 s1, 0
	s_delay_alu instid0(VALU_DEP_2)
	v_add_nc_u32_e32 v67, 0x98, v67
.LBB25_65:                              ; =>This Inner Loop Header: Depth=1
	scratch_load_b64 v[69:70], v67, off
	v_dual_mov_b32 v71, s5 :: v_dual_add_nc_u32 v68, -1, v68
	v_add_nc_u32_e32 v67, 8, v67
	s_add_i32 s5, s5, 8
	ds_load_b64 v[71:72], v71
	v_cmp_eq_u32_e32 vcc_lo, 0, v68
	s_or_b32 s1, vcc_lo, s1
	s_waitcnt vmcnt(0) lgkmcnt(0)
	v_fma_f64 v[53:54], v[69:70], v[71:72], v[53:54]
	s_and_not1_b32 exec_lo, exec_lo, s1
	s_cbranch_execnz .LBB25_65
; %bb.66:
	s_or_b32 exec_lo, exec_lo, s1
.LBB25_67:
	s_delay_alu instid0(SALU_CYCLE_1)
	s_or_b32 exec_lo, exec_lo, s4
	v_mov_b32_e32 v67, 0
	ds_load_b64 v[67:68], v67 offset:144
	s_waitcnt lgkmcnt(0)
	v_mul_f64 v[53:54], v[53:54], v[67:68]
	scratch_store_b64 off, v[53:54], off offset:144
.LBB25_68:
	s_or_b32 exec_lo, exec_lo, s3
	scratch_load_b64 v[53:54], off, off offset:136
	v_cmp_lt_u32_e64 s1, 17, v0
	s_waitcnt vmcnt(0)
	ds_store_b64 v56, v[53:54]
	s_waitcnt lgkmcnt(0)
	s_waitcnt_vscnt null, 0x0
	s_barrier
	buffer_gl0_inv
	s_and_saveexec_b32 s3, s1
	s_cbranch_execz .LBB25_78
; %bb.69:
	s_and_not1_b32 vcc_lo, exec_lo, s2
	s_cbranch_vccnz .LBB25_71
; %bb.70:
	scratch_load_b64 v[53:54], v57, off
	ds_load_b64 v[67:68], v56
	s_waitcnt vmcnt(0) lgkmcnt(0)
	v_mul_f64 v[53:54], v[53:54], v[67:68]
	s_cbranch_execz .LBB25_72
	s_branch .LBB25_73
.LBB25_71:
                                        ; implicit-def: $vgpr53_vgpr54
.LBB25_72:
	ds_load_b64 v[53:54], v56
.LBB25_73:
	s_and_saveexec_b32 s4, s0
	s_cbranch_execz .LBB25_77
; %bb.74:
	v_subrev_nc_u32_e32 v67, 18, v0
	s_movk_i32 s5, 0x160
	s_mov_b32 s0, 0
.LBB25_75:                              ; =>This Inner Loop Header: Depth=1
	scratch_load_b64 v[68:69], v66, off
	v_dual_mov_b32 v70, s5 :: v_dual_add_nc_u32 v67, -1, v67
	v_add_nc_u32_e32 v66, 8, v66
	s_add_i32 s5, s5, 8
	ds_load_b64 v[70:71], v70
	v_cmp_eq_u32_e32 vcc_lo, 0, v67
	s_or_b32 s0, vcc_lo, s0
	s_waitcnt vmcnt(0) lgkmcnt(0)
	v_fma_f64 v[53:54], v[68:69], v[70:71], v[53:54]
	s_and_not1_b32 exec_lo, exec_lo, s0
	s_cbranch_execnz .LBB25_75
; %bb.76:
	s_or_b32 exec_lo, exec_lo, s0
.LBB25_77:
	s_delay_alu instid0(SALU_CYCLE_1)
	s_or_b32 exec_lo, exec_lo, s4
	v_mov_b32_e32 v66, 0
	ds_load_b64 v[66:67], v66 offset:136
	s_waitcnt lgkmcnt(0)
	v_mul_f64 v[53:54], v[53:54], v[66:67]
	scratch_store_b64 off, v[53:54], off offset:136
.LBB25_78:
	s_or_b32 exec_lo, exec_lo, s3
	scratch_load_b64 v[53:54], off, off offset:128
	v_cmp_lt_u32_e64 s0, 16, v0
	s_waitcnt vmcnt(0)
	ds_store_b64 v56, v[53:54]
	s_waitcnt lgkmcnt(0)
	s_waitcnt_vscnt null, 0x0
	s_barrier
	buffer_gl0_inv
	s_and_saveexec_b32 s3, s0
	s_cbranch_execz .LBB25_88
; %bb.79:
	s_and_not1_b32 vcc_lo, exec_lo, s2
	s_cbranch_vccnz .LBB25_81
; %bb.80:
	scratch_load_b64 v[53:54], v57, off
	ds_load_b64 v[66:67], v56
	s_waitcnt vmcnt(0) lgkmcnt(0)
	v_mul_f64 v[53:54], v[53:54], v[66:67]
	s_cbranch_execz .LBB25_82
	s_branch .LBB25_83
.LBB25_81:
                                        ; implicit-def: $vgpr53_vgpr54
.LBB25_82:
	ds_load_b64 v[53:54], v56
.LBB25_83:
	s_and_saveexec_b32 s4, s1
	s_cbranch_execz .LBB25_87
; %bb.84:
	v_mov_b32_e32 v66, 0
	v_subrev_nc_u32_e32 v67, 17, v0
	s_movk_i32 s5, 0x158
	s_mov_b32 s1, 0
	s_delay_alu instid0(VALU_DEP_2)
	v_add_nc_u32_e32 v66, 0x88, v66
.LBB25_85:                              ; =>This Inner Loop Header: Depth=1
	scratch_load_b64 v[68:69], v66, off
	v_dual_mov_b32 v70, s5 :: v_dual_add_nc_u32 v67, -1, v67
	v_add_nc_u32_e32 v66, 8, v66
	s_add_i32 s5, s5, 8
	ds_load_b64 v[70:71], v70
	v_cmp_eq_u32_e32 vcc_lo, 0, v67
	s_or_b32 s1, vcc_lo, s1
	s_waitcnt vmcnt(0) lgkmcnt(0)
	v_fma_f64 v[53:54], v[68:69], v[70:71], v[53:54]
	s_and_not1_b32 exec_lo, exec_lo, s1
	s_cbranch_execnz .LBB25_85
; %bb.86:
	s_or_b32 exec_lo, exec_lo, s1
.LBB25_87:
	s_delay_alu instid0(SALU_CYCLE_1)
	s_or_b32 exec_lo, exec_lo, s4
	v_mov_b32_e32 v66, 0
	ds_load_b64 v[66:67], v66 offset:128
	s_waitcnt lgkmcnt(0)
	v_mul_f64 v[53:54], v[53:54], v[66:67]
	scratch_store_b64 off, v[53:54], off offset:128
.LBB25_88:
	s_or_b32 exec_lo, exec_lo, s3
	scratch_load_b64 v[53:54], off, off offset:120
	v_cmp_lt_u32_e64 s1, 15, v0
	s_waitcnt vmcnt(0)
	ds_store_b64 v56, v[53:54]
	s_waitcnt lgkmcnt(0)
	s_waitcnt_vscnt null, 0x0
	s_barrier
	buffer_gl0_inv
	s_and_saveexec_b32 s3, s1
	s_cbranch_execz .LBB25_98
; %bb.89:
	s_and_not1_b32 vcc_lo, exec_lo, s2
	s_cbranch_vccnz .LBB25_91
; %bb.90:
	scratch_load_b64 v[53:54], v57, off
	ds_load_b64 v[66:67], v56
	s_waitcnt vmcnt(0) lgkmcnt(0)
	v_mul_f64 v[53:54], v[53:54], v[66:67]
	s_cbranch_execz .LBB25_92
	s_branch .LBB25_93
.LBB25_91:
                                        ; implicit-def: $vgpr53_vgpr54
.LBB25_92:
	ds_load_b64 v[53:54], v56
.LBB25_93:
	s_and_saveexec_b32 s4, s0
	s_cbranch_execz .LBB25_97
; %bb.94:
	v_add_nc_u32_e32 v66, -16, v0
	s_movk_i32 s5, 0x150
	s_mov_b32 s0, 0
.LBB25_95:                              ; =>This Inner Loop Header: Depth=1
	scratch_load_b64 v[67:68], v65, off
	v_dual_mov_b32 v69, s5 :: v_dual_add_nc_u32 v66, -1, v66
	v_add_nc_u32_e32 v65, 8, v65
	s_add_i32 s5, s5, 8
	ds_load_b64 v[69:70], v69
	v_cmp_eq_u32_e32 vcc_lo, 0, v66
	s_or_b32 s0, vcc_lo, s0
	s_waitcnt vmcnt(0) lgkmcnt(0)
	v_fma_f64 v[53:54], v[67:68], v[69:70], v[53:54]
	s_and_not1_b32 exec_lo, exec_lo, s0
	s_cbranch_execnz .LBB25_95
; %bb.96:
	s_or_b32 exec_lo, exec_lo, s0
.LBB25_97:
	s_delay_alu instid0(SALU_CYCLE_1)
	s_or_b32 exec_lo, exec_lo, s4
	v_mov_b32_e32 v65, 0
	ds_load_b64 v[65:66], v65 offset:120
	s_waitcnt lgkmcnt(0)
	v_mul_f64 v[53:54], v[53:54], v[65:66]
	scratch_store_b64 off, v[53:54], off offset:120
.LBB25_98:
	s_or_b32 exec_lo, exec_lo, s3
	scratch_load_b64 v[53:54], off, off offset:112
	v_cmp_lt_u32_e64 s0, 14, v0
	s_waitcnt vmcnt(0)
	ds_store_b64 v56, v[53:54]
	s_waitcnt lgkmcnt(0)
	s_waitcnt_vscnt null, 0x0
	s_barrier
	buffer_gl0_inv
	s_and_saveexec_b32 s3, s0
	s_cbranch_execz .LBB25_108
; %bb.99:
	s_and_not1_b32 vcc_lo, exec_lo, s2
	s_cbranch_vccnz .LBB25_101
; %bb.100:
	scratch_load_b64 v[53:54], v57, off
	ds_load_b64 v[65:66], v56
	s_waitcnt vmcnt(0) lgkmcnt(0)
	v_mul_f64 v[53:54], v[53:54], v[65:66]
	s_cbranch_execz .LBB25_102
	s_branch .LBB25_103
.LBB25_101:
                                        ; implicit-def: $vgpr53_vgpr54
.LBB25_102:
	ds_load_b64 v[53:54], v56
.LBB25_103:
	s_and_saveexec_b32 s4, s1
	s_cbranch_execz .LBB25_107
; %bb.104:
	v_dual_mov_b32 v65, 0 :: v_dual_add_nc_u32 v66, -15, v0
	s_movk_i32 s5, 0x148
	s_mov_b32 s1, 0
	s_delay_alu instid0(VALU_DEP_1)
	v_add_nc_u32_e32 v65, 0x78, v65
.LBB25_105:                             ; =>This Inner Loop Header: Depth=1
	scratch_load_b64 v[67:68], v65, off
	v_dual_mov_b32 v69, s5 :: v_dual_add_nc_u32 v66, -1, v66
	v_add_nc_u32_e32 v65, 8, v65
	s_add_i32 s5, s5, 8
	ds_load_b64 v[69:70], v69
	v_cmp_eq_u32_e32 vcc_lo, 0, v66
	s_or_b32 s1, vcc_lo, s1
	s_waitcnt vmcnt(0) lgkmcnt(0)
	v_fma_f64 v[53:54], v[67:68], v[69:70], v[53:54]
	s_and_not1_b32 exec_lo, exec_lo, s1
	s_cbranch_execnz .LBB25_105
; %bb.106:
	s_or_b32 exec_lo, exec_lo, s1
.LBB25_107:
	s_delay_alu instid0(SALU_CYCLE_1)
	s_or_b32 exec_lo, exec_lo, s4
	v_mov_b32_e32 v65, 0
	ds_load_b64 v[65:66], v65 offset:112
	s_waitcnt lgkmcnt(0)
	v_mul_f64 v[53:54], v[53:54], v[65:66]
	scratch_store_b64 off, v[53:54], off offset:112
.LBB25_108:
	s_or_b32 exec_lo, exec_lo, s3
	scratch_load_b64 v[53:54], off, off offset:104
	v_cmp_lt_u32_e64 s1, 13, v0
	s_waitcnt vmcnt(0)
	ds_store_b64 v56, v[53:54]
	s_waitcnt lgkmcnt(0)
	s_waitcnt_vscnt null, 0x0
	s_barrier
	buffer_gl0_inv
	s_and_saveexec_b32 s3, s1
	s_cbranch_execz .LBB25_118
; %bb.109:
	s_and_not1_b32 vcc_lo, exec_lo, s2
	s_cbranch_vccnz .LBB25_111
; %bb.110:
	scratch_load_b64 v[53:54], v57, off
	ds_load_b64 v[65:66], v56
	s_waitcnt vmcnt(0) lgkmcnt(0)
	v_mul_f64 v[53:54], v[53:54], v[65:66]
	s_cbranch_execz .LBB25_112
	s_branch .LBB25_113
.LBB25_111:
                                        ; implicit-def: $vgpr53_vgpr54
.LBB25_112:
	ds_load_b64 v[53:54], v56
.LBB25_113:
	s_and_saveexec_b32 s4, s0
	s_cbranch_execz .LBB25_117
; %bb.114:
	v_add_nc_u32_e32 v65, -14, v0
	s_movk_i32 s5, 0x140
	s_mov_b32 s0, 0
.LBB25_115:                             ; =>This Inner Loop Header: Depth=1
	scratch_load_b64 v[66:67], v64, off
	v_dual_mov_b32 v68, s5 :: v_dual_add_nc_u32 v65, -1, v65
	v_add_nc_u32_e32 v64, 8, v64
	s_add_i32 s5, s5, 8
	ds_load_b64 v[68:69], v68
	v_cmp_eq_u32_e32 vcc_lo, 0, v65
	s_or_b32 s0, vcc_lo, s0
	s_waitcnt vmcnt(0) lgkmcnt(0)
	v_fma_f64 v[53:54], v[66:67], v[68:69], v[53:54]
	s_and_not1_b32 exec_lo, exec_lo, s0
	s_cbranch_execnz .LBB25_115
; %bb.116:
	s_or_b32 exec_lo, exec_lo, s0
.LBB25_117:
	s_delay_alu instid0(SALU_CYCLE_1)
	s_or_b32 exec_lo, exec_lo, s4
	v_mov_b32_e32 v64, 0
	ds_load_b64 v[64:65], v64 offset:104
	s_waitcnt lgkmcnt(0)
	v_mul_f64 v[53:54], v[53:54], v[64:65]
	scratch_store_b64 off, v[53:54], off offset:104
.LBB25_118:
	s_or_b32 exec_lo, exec_lo, s3
	scratch_load_b64 v[53:54], off, off offset:96
	v_cmp_lt_u32_e64 s0, 12, v0
	s_waitcnt vmcnt(0)
	ds_store_b64 v56, v[53:54]
	s_waitcnt lgkmcnt(0)
	s_waitcnt_vscnt null, 0x0
	s_barrier
	buffer_gl0_inv
	s_and_saveexec_b32 s3, s0
	s_cbranch_execz .LBB25_128
; %bb.119:
	s_and_not1_b32 vcc_lo, exec_lo, s2
	s_cbranch_vccnz .LBB25_121
; %bb.120:
	scratch_load_b64 v[53:54], v57, off
	ds_load_b64 v[64:65], v56
	s_waitcnt vmcnt(0) lgkmcnt(0)
	v_mul_f64 v[53:54], v[53:54], v[64:65]
	s_cbranch_execz .LBB25_122
	s_branch .LBB25_123
.LBB25_121:
                                        ; implicit-def: $vgpr53_vgpr54
.LBB25_122:
	ds_load_b64 v[53:54], v56
.LBB25_123:
	s_and_saveexec_b32 s4, s1
	s_cbranch_execz .LBB25_127
; %bb.124:
	v_dual_mov_b32 v64, 0 :: v_dual_add_nc_u32 v65, -13, v0
	s_movk_i32 s5, 0x138
	s_mov_b32 s1, 0
	s_delay_alu instid0(VALU_DEP_1)
	v_add_nc_u32_e32 v64, 0x68, v64
.LBB25_125:                             ; =>This Inner Loop Header: Depth=1
	scratch_load_b64 v[66:67], v64, off
	v_dual_mov_b32 v68, s5 :: v_dual_add_nc_u32 v65, -1, v65
	v_add_nc_u32_e32 v64, 8, v64
	s_add_i32 s5, s5, 8
	ds_load_b64 v[68:69], v68
	v_cmp_eq_u32_e32 vcc_lo, 0, v65
	s_or_b32 s1, vcc_lo, s1
	s_waitcnt vmcnt(0) lgkmcnt(0)
	v_fma_f64 v[53:54], v[66:67], v[68:69], v[53:54]
	s_and_not1_b32 exec_lo, exec_lo, s1
	s_cbranch_execnz .LBB25_125
; %bb.126:
	s_or_b32 exec_lo, exec_lo, s1
.LBB25_127:
	s_delay_alu instid0(SALU_CYCLE_1)
	s_or_b32 exec_lo, exec_lo, s4
	v_mov_b32_e32 v64, 0
	ds_load_b64 v[64:65], v64 offset:96
	s_waitcnt lgkmcnt(0)
	v_mul_f64 v[53:54], v[53:54], v[64:65]
	scratch_store_b64 off, v[53:54], off offset:96
.LBB25_128:
	s_or_b32 exec_lo, exec_lo, s3
	scratch_load_b64 v[53:54], off, off offset:88
	v_cmp_lt_u32_e64 s1, 11, v0
	s_waitcnt vmcnt(0)
	ds_store_b64 v56, v[53:54]
	s_waitcnt lgkmcnt(0)
	s_waitcnt_vscnt null, 0x0
	s_barrier
	buffer_gl0_inv
	s_and_saveexec_b32 s3, s1
	s_cbranch_execz .LBB25_138
; %bb.129:
	s_and_not1_b32 vcc_lo, exec_lo, s2
	s_cbranch_vccnz .LBB25_131
; %bb.130:
	scratch_load_b64 v[53:54], v57, off
	ds_load_b64 v[64:65], v56
	s_waitcnt vmcnt(0) lgkmcnt(0)
	v_mul_f64 v[53:54], v[53:54], v[64:65]
	s_cbranch_execz .LBB25_132
	s_branch .LBB25_133
.LBB25_131:
                                        ; implicit-def: $vgpr53_vgpr54
.LBB25_132:
	ds_load_b64 v[53:54], v56
.LBB25_133:
	s_and_saveexec_b32 s4, s0
	s_cbranch_execz .LBB25_137
; %bb.134:
	v_add_nc_u32_e32 v64, -12, v0
	s_movk_i32 s5, 0x130
	s_mov_b32 s0, 0
.LBB25_135:                             ; =>This Inner Loop Header: Depth=1
	scratch_load_b64 v[65:66], v63, off
	v_dual_mov_b32 v67, s5 :: v_dual_add_nc_u32 v64, -1, v64
	v_add_nc_u32_e32 v63, 8, v63
	s_add_i32 s5, s5, 8
	ds_load_b64 v[67:68], v67
	v_cmp_eq_u32_e32 vcc_lo, 0, v64
	s_or_b32 s0, vcc_lo, s0
	s_waitcnt vmcnt(0) lgkmcnt(0)
	v_fma_f64 v[53:54], v[65:66], v[67:68], v[53:54]
	s_and_not1_b32 exec_lo, exec_lo, s0
	s_cbranch_execnz .LBB25_135
; %bb.136:
	s_or_b32 exec_lo, exec_lo, s0
.LBB25_137:
	s_delay_alu instid0(SALU_CYCLE_1)
	s_or_b32 exec_lo, exec_lo, s4
	v_mov_b32_e32 v63, 0
	ds_load_b64 v[63:64], v63 offset:88
	s_waitcnt lgkmcnt(0)
	v_mul_f64 v[53:54], v[53:54], v[63:64]
	scratch_store_b64 off, v[53:54], off offset:88
.LBB25_138:
	s_or_b32 exec_lo, exec_lo, s3
	scratch_load_b64 v[53:54], off, off offset:80
	v_cmp_lt_u32_e64 s0, 10, v0
	s_waitcnt vmcnt(0)
	ds_store_b64 v56, v[53:54]
	s_waitcnt lgkmcnt(0)
	s_waitcnt_vscnt null, 0x0
	s_barrier
	buffer_gl0_inv
	s_and_saveexec_b32 s3, s0
	s_cbranch_execz .LBB25_148
; %bb.139:
	s_and_not1_b32 vcc_lo, exec_lo, s2
	s_cbranch_vccnz .LBB25_141
; %bb.140:
	scratch_load_b64 v[53:54], v57, off
	ds_load_b64 v[63:64], v56
	s_waitcnt vmcnt(0) lgkmcnt(0)
	v_mul_f64 v[53:54], v[53:54], v[63:64]
	s_cbranch_execz .LBB25_142
	s_branch .LBB25_143
.LBB25_141:
                                        ; implicit-def: $vgpr53_vgpr54
.LBB25_142:
	ds_load_b64 v[53:54], v56
.LBB25_143:
	s_and_saveexec_b32 s4, s1
	s_cbranch_execz .LBB25_147
; %bb.144:
	v_dual_mov_b32 v63, 0 :: v_dual_add_nc_u32 v64, -11, v0
	s_movk_i32 s5, 0x128
	s_mov_b32 s1, 0
	s_delay_alu instid0(VALU_DEP_1)
	v_add_nc_u32_e32 v63, 0x58, v63
.LBB25_145:                             ; =>This Inner Loop Header: Depth=1
	scratch_load_b64 v[65:66], v63, off
	v_dual_mov_b32 v67, s5 :: v_dual_add_nc_u32 v64, -1, v64
	v_add_nc_u32_e32 v63, 8, v63
	s_add_i32 s5, s5, 8
	ds_load_b64 v[67:68], v67
	v_cmp_eq_u32_e32 vcc_lo, 0, v64
	s_or_b32 s1, vcc_lo, s1
	s_waitcnt vmcnt(0) lgkmcnt(0)
	v_fma_f64 v[53:54], v[65:66], v[67:68], v[53:54]
	s_and_not1_b32 exec_lo, exec_lo, s1
	s_cbranch_execnz .LBB25_145
; %bb.146:
	s_or_b32 exec_lo, exec_lo, s1
.LBB25_147:
	s_delay_alu instid0(SALU_CYCLE_1)
	s_or_b32 exec_lo, exec_lo, s4
	v_mov_b32_e32 v63, 0
	ds_load_b64 v[63:64], v63 offset:80
	s_waitcnt lgkmcnt(0)
	v_mul_f64 v[53:54], v[53:54], v[63:64]
	scratch_store_b64 off, v[53:54], off offset:80
.LBB25_148:
	s_or_b32 exec_lo, exec_lo, s3
	scratch_load_b64 v[53:54], off, off offset:72
	v_cmp_lt_u32_e64 s1, 9, v0
	s_waitcnt vmcnt(0)
	ds_store_b64 v56, v[53:54]
	s_waitcnt lgkmcnt(0)
	s_waitcnt_vscnt null, 0x0
	s_barrier
	buffer_gl0_inv
	s_and_saveexec_b32 s3, s1
	s_cbranch_execz .LBB25_158
; %bb.149:
	s_and_not1_b32 vcc_lo, exec_lo, s2
	s_cbranch_vccnz .LBB25_151
; %bb.150:
	scratch_load_b64 v[53:54], v57, off
	ds_load_b64 v[63:64], v56
	s_waitcnt vmcnt(0) lgkmcnt(0)
	v_mul_f64 v[53:54], v[53:54], v[63:64]
	s_cbranch_execz .LBB25_152
	s_branch .LBB25_153
.LBB25_151:
                                        ; implicit-def: $vgpr53_vgpr54
.LBB25_152:
	ds_load_b64 v[53:54], v56
.LBB25_153:
	s_and_saveexec_b32 s4, s0
	s_cbranch_execz .LBB25_157
; %bb.154:
	v_add_nc_u32_e32 v63, -10, v0
	s_movk_i32 s5, 0x120
	s_mov_b32 s0, 0
.LBB25_155:                             ; =>This Inner Loop Header: Depth=1
	scratch_load_b64 v[64:65], v62, off
	v_dual_mov_b32 v66, s5 :: v_dual_add_nc_u32 v63, -1, v63
	v_add_nc_u32_e32 v62, 8, v62
	s_add_i32 s5, s5, 8
	ds_load_b64 v[66:67], v66
	v_cmp_eq_u32_e32 vcc_lo, 0, v63
	s_or_b32 s0, vcc_lo, s0
	s_waitcnt vmcnt(0) lgkmcnt(0)
	v_fma_f64 v[53:54], v[64:65], v[66:67], v[53:54]
	s_and_not1_b32 exec_lo, exec_lo, s0
	s_cbranch_execnz .LBB25_155
; %bb.156:
	s_or_b32 exec_lo, exec_lo, s0
.LBB25_157:
	s_delay_alu instid0(SALU_CYCLE_1)
	s_or_b32 exec_lo, exec_lo, s4
	v_mov_b32_e32 v62, 0
	ds_load_b64 v[62:63], v62 offset:72
	s_waitcnt lgkmcnt(0)
	v_mul_f64 v[53:54], v[53:54], v[62:63]
	scratch_store_b64 off, v[53:54], off offset:72
.LBB25_158:
	s_or_b32 exec_lo, exec_lo, s3
	scratch_load_b64 v[53:54], off, off offset:64
	v_cmp_lt_u32_e64 s0, 8, v0
	s_waitcnt vmcnt(0)
	ds_store_b64 v56, v[53:54]
	s_waitcnt lgkmcnt(0)
	s_waitcnt_vscnt null, 0x0
	s_barrier
	buffer_gl0_inv
	s_and_saveexec_b32 s3, s0
	s_cbranch_execz .LBB25_168
; %bb.159:
	s_and_not1_b32 vcc_lo, exec_lo, s2
	s_cbranch_vccnz .LBB25_161
; %bb.160:
	scratch_load_b64 v[53:54], v57, off
	ds_load_b64 v[62:63], v56
	s_waitcnt vmcnt(0) lgkmcnt(0)
	v_mul_f64 v[53:54], v[53:54], v[62:63]
	s_cbranch_execz .LBB25_162
	s_branch .LBB25_163
.LBB25_161:
                                        ; implicit-def: $vgpr53_vgpr54
.LBB25_162:
	ds_load_b64 v[53:54], v56
.LBB25_163:
	s_and_saveexec_b32 s4, s1
	s_cbranch_execz .LBB25_167
; %bb.164:
	v_dual_mov_b32 v62, 0 :: v_dual_add_nc_u32 v63, -9, v0
	s_movk_i32 s5, 0x118
	s_mov_b32 s1, 0
	s_delay_alu instid0(VALU_DEP_1)
	v_add_nc_u32_e32 v62, 0x48, v62
.LBB25_165:                             ; =>This Inner Loop Header: Depth=1
	scratch_load_b64 v[64:65], v62, off
	v_dual_mov_b32 v66, s5 :: v_dual_add_nc_u32 v63, -1, v63
	v_add_nc_u32_e32 v62, 8, v62
	s_add_i32 s5, s5, 8
	ds_load_b64 v[66:67], v66
	v_cmp_eq_u32_e32 vcc_lo, 0, v63
	s_or_b32 s1, vcc_lo, s1
	s_waitcnt vmcnt(0) lgkmcnt(0)
	v_fma_f64 v[53:54], v[64:65], v[66:67], v[53:54]
	s_and_not1_b32 exec_lo, exec_lo, s1
	s_cbranch_execnz .LBB25_165
; %bb.166:
	s_or_b32 exec_lo, exec_lo, s1
.LBB25_167:
	s_delay_alu instid0(SALU_CYCLE_1)
	s_or_b32 exec_lo, exec_lo, s4
	v_mov_b32_e32 v62, 0
	ds_load_b64 v[62:63], v62 offset:64
	s_waitcnt lgkmcnt(0)
	v_mul_f64 v[53:54], v[53:54], v[62:63]
	scratch_store_b64 off, v[53:54], off offset:64
.LBB25_168:
	s_or_b32 exec_lo, exec_lo, s3
	scratch_load_b64 v[53:54], off, off offset:56
	v_cmp_lt_u32_e64 s1, 7, v0
	s_waitcnt vmcnt(0)
	ds_store_b64 v56, v[53:54]
	s_waitcnt lgkmcnt(0)
	s_waitcnt_vscnt null, 0x0
	s_barrier
	buffer_gl0_inv
	s_and_saveexec_b32 s3, s1
	s_cbranch_execz .LBB25_178
; %bb.169:
	s_and_not1_b32 vcc_lo, exec_lo, s2
	s_cbranch_vccnz .LBB25_171
; %bb.170:
	scratch_load_b64 v[53:54], v57, off
	ds_load_b64 v[62:63], v56
	s_waitcnt vmcnt(0) lgkmcnt(0)
	v_mul_f64 v[53:54], v[53:54], v[62:63]
	s_cbranch_execz .LBB25_172
	s_branch .LBB25_173
.LBB25_171:
                                        ; implicit-def: $vgpr53_vgpr54
.LBB25_172:
	ds_load_b64 v[53:54], v56
.LBB25_173:
	s_and_saveexec_b32 s4, s0
	s_cbranch_execz .LBB25_177
; %bb.174:
	v_add_nc_u32_e32 v62, -8, v0
	s_movk_i32 s5, 0x110
	s_mov_b32 s0, 0
.LBB25_175:                             ; =>This Inner Loop Header: Depth=1
	scratch_load_b64 v[63:64], v61, off
	v_dual_mov_b32 v65, s5 :: v_dual_add_nc_u32 v62, -1, v62
	v_add_nc_u32_e32 v61, 8, v61
	s_add_i32 s5, s5, 8
	ds_load_b64 v[65:66], v65
	v_cmp_eq_u32_e32 vcc_lo, 0, v62
	s_or_b32 s0, vcc_lo, s0
	s_waitcnt vmcnt(0) lgkmcnt(0)
	v_fma_f64 v[53:54], v[63:64], v[65:66], v[53:54]
	s_and_not1_b32 exec_lo, exec_lo, s0
	s_cbranch_execnz .LBB25_175
; %bb.176:
	s_or_b32 exec_lo, exec_lo, s0
.LBB25_177:
	s_delay_alu instid0(SALU_CYCLE_1)
	s_or_b32 exec_lo, exec_lo, s4
	v_mov_b32_e32 v61, 0
	ds_load_b64 v[61:62], v61 offset:56
	s_waitcnt lgkmcnt(0)
	v_mul_f64 v[53:54], v[53:54], v[61:62]
	scratch_store_b64 off, v[53:54], off offset:56
.LBB25_178:
	s_or_b32 exec_lo, exec_lo, s3
	scratch_load_b64 v[53:54], off, off offset:48
	v_cmp_lt_u32_e64 s0, 6, v0
	s_waitcnt vmcnt(0)
	ds_store_b64 v56, v[53:54]
	s_waitcnt lgkmcnt(0)
	s_waitcnt_vscnt null, 0x0
	s_barrier
	buffer_gl0_inv
	s_and_saveexec_b32 s3, s0
	s_cbranch_execz .LBB25_188
; %bb.179:
	s_and_not1_b32 vcc_lo, exec_lo, s2
	s_cbranch_vccnz .LBB25_181
; %bb.180:
	scratch_load_b64 v[53:54], v57, off
	ds_load_b64 v[61:62], v56
	s_waitcnt vmcnt(0) lgkmcnt(0)
	v_mul_f64 v[53:54], v[53:54], v[61:62]
	s_cbranch_execz .LBB25_182
	s_branch .LBB25_183
.LBB25_181:
                                        ; implicit-def: $vgpr53_vgpr54
.LBB25_182:
	ds_load_b64 v[53:54], v56
.LBB25_183:
	s_and_saveexec_b32 s4, s1
	s_cbranch_execz .LBB25_187
; %bb.184:
	v_add_nc_u32_e64 v61, 0, 56
	v_add_nc_u32_e32 v62, -7, v0
	s_movk_i32 s5, 0x108
	s_mov_b32 s1, 0
.LBB25_185:                             ; =>This Inner Loop Header: Depth=1
	scratch_load_b64 v[63:64], v61, off
	v_dual_mov_b32 v65, s5 :: v_dual_add_nc_u32 v62, -1, v62
	v_add_nc_u32_e32 v61, 8, v61
	s_add_i32 s5, s5, 8
	ds_load_b64 v[65:66], v65
	v_cmp_eq_u32_e32 vcc_lo, 0, v62
	s_or_b32 s1, vcc_lo, s1
	s_waitcnt vmcnt(0) lgkmcnt(0)
	v_fma_f64 v[53:54], v[63:64], v[65:66], v[53:54]
	s_and_not1_b32 exec_lo, exec_lo, s1
	s_cbranch_execnz .LBB25_185
; %bb.186:
	s_or_b32 exec_lo, exec_lo, s1
.LBB25_187:
	s_delay_alu instid0(SALU_CYCLE_1)
	s_or_b32 exec_lo, exec_lo, s4
	v_mov_b32_e32 v61, 0
	ds_load_b64 v[61:62], v61 offset:48
	s_waitcnt lgkmcnt(0)
	v_mul_f64 v[53:54], v[53:54], v[61:62]
	scratch_store_b64 off, v[53:54], off offset:48
.LBB25_188:
	s_or_b32 exec_lo, exec_lo, s3
	scratch_load_b64 v[53:54], off, off offset:40
	v_cmp_lt_u32_e64 s1, 5, v0
	s_waitcnt vmcnt(0)
	ds_store_b64 v56, v[53:54]
	s_waitcnt lgkmcnt(0)
	s_waitcnt_vscnt null, 0x0
	s_barrier
	buffer_gl0_inv
	s_and_saveexec_b32 s3, s1
	s_cbranch_execz .LBB25_198
; %bb.189:
	s_and_not1_b32 vcc_lo, exec_lo, s2
	s_cbranch_vccnz .LBB25_191
; %bb.190:
	scratch_load_b64 v[53:54], v57, off
	ds_load_b64 v[61:62], v56
	s_waitcnt vmcnt(0) lgkmcnt(0)
	v_mul_f64 v[53:54], v[53:54], v[61:62]
	s_cbranch_execz .LBB25_192
	s_branch .LBB25_193
.LBB25_191:
                                        ; implicit-def: $vgpr53_vgpr54
.LBB25_192:
	ds_load_b64 v[53:54], v56
.LBB25_193:
	s_and_saveexec_b32 s4, s0
	s_cbranch_execz .LBB25_197
; %bb.194:
	v_add_nc_u32_e32 v61, -6, v0
	s_movk_i32 s5, 0x100
	s_mov_b32 s0, 0
.LBB25_195:                             ; =>This Inner Loop Header: Depth=1
	scratch_load_b64 v[62:63], v60, off
	v_dual_mov_b32 v64, s5 :: v_dual_add_nc_u32 v61, -1, v61
	v_add_nc_u32_e32 v60, 8, v60
	s_add_i32 s5, s5, 8
	ds_load_b64 v[64:65], v64
	v_cmp_eq_u32_e32 vcc_lo, 0, v61
	s_or_b32 s0, vcc_lo, s0
	s_waitcnt vmcnt(0) lgkmcnt(0)
	v_fma_f64 v[53:54], v[62:63], v[64:65], v[53:54]
	s_and_not1_b32 exec_lo, exec_lo, s0
	s_cbranch_execnz .LBB25_195
; %bb.196:
	s_or_b32 exec_lo, exec_lo, s0
.LBB25_197:
	s_delay_alu instid0(SALU_CYCLE_1)
	s_or_b32 exec_lo, exec_lo, s4
	v_mov_b32_e32 v60, 0
	ds_load_b64 v[60:61], v60 offset:40
	s_waitcnt lgkmcnt(0)
	v_mul_f64 v[53:54], v[53:54], v[60:61]
	scratch_store_b64 off, v[53:54], off offset:40
.LBB25_198:
	s_or_b32 exec_lo, exec_lo, s3
	scratch_load_b64 v[53:54], off, off offset:32
	v_cmp_lt_u32_e64 s0, 4, v0
	s_waitcnt vmcnt(0)
	ds_store_b64 v56, v[53:54]
	s_waitcnt lgkmcnt(0)
	s_waitcnt_vscnt null, 0x0
	s_barrier
	buffer_gl0_inv
	s_and_saveexec_b32 s3, s0
	s_cbranch_execz .LBB25_208
; %bb.199:
	s_and_not1_b32 vcc_lo, exec_lo, s2
	s_cbranch_vccnz .LBB25_201
; %bb.200:
	scratch_load_b64 v[53:54], v57, off
	ds_load_b64 v[60:61], v56
	s_waitcnt vmcnt(0) lgkmcnt(0)
	v_mul_f64 v[53:54], v[53:54], v[60:61]
	s_cbranch_execz .LBB25_202
	s_branch .LBB25_203
.LBB25_201:
                                        ; implicit-def: $vgpr53_vgpr54
.LBB25_202:
	ds_load_b64 v[53:54], v56
.LBB25_203:
	s_and_saveexec_b32 s4, s1
	s_cbranch_execz .LBB25_207
; %bb.204:
	v_add_nc_u32_e64 v60, 0, 40
	v_add_nc_u32_e32 v61, -5, v0
	s_movk_i32 s5, 0xf8
	s_mov_b32 s1, 0
.LBB25_205:                             ; =>This Inner Loop Header: Depth=1
	scratch_load_b64 v[62:63], v60, off
	v_dual_mov_b32 v64, s5 :: v_dual_add_nc_u32 v61, -1, v61
	v_add_nc_u32_e32 v60, 8, v60
	s_add_i32 s5, s5, 8
	ds_load_b64 v[64:65], v64
	v_cmp_eq_u32_e32 vcc_lo, 0, v61
	s_or_b32 s1, vcc_lo, s1
	s_waitcnt vmcnt(0) lgkmcnt(0)
	v_fma_f64 v[53:54], v[62:63], v[64:65], v[53:54]
	s_and_not1_b32 exec_lo, exec_lo, s1
	s_cbranch_execnz .LBB25_205
; %bb.206:
	s_or_b32 exec_lo, exec_lo, s1
.LBB25_207:
	s_delay_alu instid0(SALU_CYCLE_1)
	s_or_b32 exec_lo, exec_lo, s4
	v_mov_b32_e32 v60, 0
	ds_load_b64 v[60:61], v60 offset:32
	s_waitcnt lgkmcnt(0)
	v_mul_f64 v[53:54], v[53:54], v[60:61]
	scratch_store_b64 off, v[53:54], off offset:32
.LBB25_208:
	s_or_b32 exec_lo, exec_lo, s3
	scratch_load_b64 v[53:54], off, off offset:24
	v_cmp_lt_u32_e64 s1, 3, v0
	s_waitcnt vmcnt(0)
	ds_store_b64 v56, v[53:54]
	s_waitcnt lgkmcnt(0)
	s_waitcnt_vscnt null, 0x0
	s_barrier
	buffer_gl0_inv
	s_and_saveexec_b32 s3, s1
	s_cbranch_execz .LBB25_218
; %bb.209:
	s_and_not1_b32 vcc_lo, exec_lo, s2
	s_cbranch_vccnz .LBB25_211
; %bb.210:
	scratch_load_b64 v[53:54], v57, off
	ds_load_b64 v[60:61], v56
	s_waitcnt vmcnt(0) lgkmcnt(0)
	v_mul_f64 v[53:54], v[53:54], v[60:61]
	s_cbranch_execz .LBB25_212
	s_branch .LBB25_213
.LBB25_211:
                                        ; implicit-def: $vgpr53_vgpr54
.LBB25_212:
	ds_load_b64 v[53:54], v56
.LBB25_213:
	s_and_saveexec_b32 s4, s0
	s_cbranch_execz .LBB25_217
; %bb.214:
	v_add_nc_u32_e32 v60, -4, v0
	s_movk_i32 s5, 0xf0
	s_mov_b32 s0, 0
.LBB25_215:                             ; =>This Inner Loop Header: Depth=1
	scratch_load_b64 v[61:62], v59, off
	v_dual_mov_b32 v63, s5 :: v_dual_add_nc_u32 v60, -1, v60
	v_add_nc_u32_e32 v59, 8, v59
	s_add_i32 s5, s5, 8
	ds_load_b64 v[63:64], v63
	v_cmp_eq_u32_e32 vcc_lo, 0, v60
	s_or_b32 s0, vcc_lo, s0
	s_waitcnt vmcnt(0) lgkmcnt(0)
	v_fma_f64 v[53:54], v[61:62], v[63:64], v[53:54]
	s_and_not1_b32 exec_lo, exec_lo, s0
	s_cbranch_execnz .LBB25_215
; %bb.216:
	s_or_b32 exec_lo, exec_lo, s0
.LBB25_217:
	s_delay_alu instid0(SALU_CYCLE_1)
	s_or_b32 exec_lo, exec_lo, s4
	v_mov_b32_e32 v59, 0
	ds_load_b64 v[59:60], v59 offset:24
	s_waitcnt lgkmcnt(0)
	v_mul_f64 v[53:54], v[53:54], v[59:60]
	scratch_store_b64 off, v[53:54], off offset:24
.LBB25_218:
	s_or_b32 exec_lo, exec_lo, s3
	scratch_load_b64 v[53:54], off, off offset:16
	v_cmp_lt_u32_e64 s0, 2, v0
	s_waitcnt vmcnt(0)
	ds_store_b64 v56, v[53:54]
	s_waitcnt lgkmcnt(0)
	s_waitcnt_vscnt null, 0x0
	s_barrier
	buffer_gl0_inv
	s_and_saveexec_b32 s3, s0
	s_cbranch_execz .LBB25_228
; %bb.219:
	s_and_not1_b32 vcc_lo, exec_lo, s2
	s_cbranch_vccnz .LBB25_221
; %bb.220:
	scratch_load_b64 v[53:54], v57, off
	ds_load_b64 v[59:60], v56
	s_waitcnt vmcnt(0) lgkmcnt(0)
	v_mul_f64 v[53:54], v[53:54], v[59:60]
	s_cbranch_execz .LBB25_222
	s_branch .LBB25_223
.LBB25_221:
                                        ; implicit-def: $vgpr53_vgpr54
.LBB25_222:
	ds_load_b64 v[53:54], v56
.LBB25_223:
	s_and_saveexec_b32 s4, s1
	s_cbranch_execz .LBB25_227
; %bb.224:
	v_add_nc_u32_e64 v59, 0, 24
	v_add_nc_u32_e32 v60, -3, v0
	s_movk_i32 s5, 0xe8
	s_mov_b32 s1, 0
.LBB25_225:                             ; =>This Inner Loop Header: Depth=1
	scratch_load_b64 v[61:62], v59, off
	v_dual_mov_b32 v63, s5 :: v_dual_add_nc_u32 v60, -1, v60
	v_add_nc_u32_e32 v59, 8, v59
	s_add_i32 s5, s5, 8
	ds_load_b64 v[63:64], v63
	v_cmp_eq_u32_e32 vcc_lo, 0, v60
	s_or_b32 s1, vcc_lo, s1
	s_waitcnt vmcnt(0) lgkmcnt(0)
	v_fma_f64 v[53:54], v[61:62], v[63:64], v[53:54]
	s_and_not1_b32 exec_lo, exec_lo, s1
	s_cbranch_execnz .LBB25_225
; %bb.226:
	s_or_b32 exec_lo, exec_lo, s1
.LBB25_227:
	s_delay_alu instid0(SALU_CYCLE_1)
	s_or_b32 exec_lo, exec_lo, s4
	v_mov_b32_e32 v59, 0
	ds_load_b64 v[59:60], v59 offset:16
	s_waitcnt lgkmcnt(0)
	v_mul_f64 v[53:54], v[53:54], v[59:60]
	scratch_store_b64 off, v[53:54], off offset:16
.LBB25_228:
	s_or_b32 exec_lo, exec_lo, s3
	scratch_load_b64 v[53:54], off, off offset:8
	v_cmp_lt_u32_e64 s1, 1, v0
	s_waitcnt vmcnt(0)
	ds_store_b64 v56, v[53:54]
	s_waitcnt lgkmcnt(0)
	s_waitcnt_vscnt null, 0x0
	s_barrier
	buffer_gl0_inv
	s_and_saveexec_b32 s3, s1
	s_cbranch_execz .LBB25_238
; %bb.229:
	s_and_not1_b32 vcc_lo, exec_lo, s2
	s_cbranch_vccnz .LBB25_231
; %bb.230:
	scratch_load_b64 v[53:54], v57, off
	ds_load_b64 v[59:60], v56
	s_waitcnt vmcnt(0) lgkmcnt(0)
	v_mul_f64 v[53:54], v[53:54], v[59:60]
	s_cbranch_execz .LBB25_232
	s_branch .LBB25_233
.LBB25_231:
                                        ; implicit-def: $vgpr53_vgpr54
.LBB25_232:
	ds_load_b64 v[53:54], v56
.LBB25_233:
	s_and_saveexec_b32 s4, s0
	s_cbranch_execz .LBB25_237
; %bb.234:
	v_add_nc_u32_e32 v59, -2, v0
	s_movk_i32 s5, 0xe0
	s_mov_b32 s0, 0
.LBB25_235:                             ; =>This Inner Loop Header: Depth=1
	scratch_load_b64 v[60:61], v58, off
	v_dual_mov_b32 v62, s5 :: v_dual_add_nc_u32 v59, -1, v59
	v_add_nc_u32_e32 v58, 8, v58
	s_add_i32 s5, s5, 8
	ds_load_b64 v[62:63], v62
	v_cmp_eq_u32_e32 vcc_lo, 0, v59
	s_or_b32 s0, vcc_lo, s0
	s_waitcnt vmcnt(0) lgkmcnt(0)
	v_fma_f64 v[53:54], v[60:61], v[62:63], v[53:54]
	s_and_not1_b32 exec_lo, exec_lo, s0
	s_cbranch_execnz .LBB25_235
; %bb.236:
	s_or_b32 exec_lo, exec_lo, s0
.LBB25_237:
	s_delay_alu instid0(SALU_CYCLE_1)
	s_or_b32 exec_lo, exec_lo, s4
	v_mov_b32_e32 v58, 0
	ds_load_b64 v[58:59], v58 offset:8
	s_waitcnt lgkmcnt(0)
	v_mul_f64 v[53:54], v[53:54], v[58:59]
	scratch_store_b64 off, v[53:54], off offset:8
.LBB25_238:
	s_or_b32 exec_lo, exec_lo, s3
	scratch_load_b64 v[53:54], off, off
	s_mov_b32 s0, 0
	s_mov_b32 s3, exec_lo
	s_waitcnt vmcnt(0)
	ds_store_b64 v56, v[53:54]
	s_waitcnt lgkmcnt(0)
	s_waitcnt_vscnt null, 0x0
	s_barrier
	buffer_gl0_inv
	v_cmpx_ne_u32_e32 0, v0
	s_cbranch_execz .LBB25_248
; %bb.239:
	s_and_not1_b32 vcc_lo, exec_lo, s2
	s_cbranch_vccnz .LBB25_241
; %bb.240:
	scratch_load_b64 v[53:54], v57, off
	ds_load_b64 v[58:59], v56
	s_waitcnt vmcnt(0) lgkmcnt(0)
	v_mul_f64 v[53:54], v[53:54], v[58:59]
	s_cbranch_execz .LBB25_242
	s_branch .LBB25_243
.LBB25_241:
                                        ; implicit-def: $vgpr53_vgpr54
.LBB25_242:
	ds_load_b64 v[53:54], v56
.LBB25_243:
	s_and_saveexec_b32 s4, s1
	s_cbranch_execz .LBB25_247
; %bb.244:
	v_or_b32_e64 v58, 0, 8
	v_add_nc_u32_e32 v59, -1, v0
	s_movk_i32 s5, 0xd8
	s_mov_b32 s1, 0
.LBB25_245:                             ; =>This Inner Loop Header: Depth=1
	scratch_load_b64 v[60:61], v58, off
	v_dual_mov_b32 v62, s5 :: v_dual_add_nc_u32 v59, -1, v59
	v_add_nc_u32_e32 v58, 8, v58
	s_add_i32 s5, s5, 8
	ds_load_b64 v[62:63], v62
	v_cmp_eq_u32_e32 vcc_lo, 0, v59
	s_or_b32 s1, vcc_lo, s1
	s_waitcnt vmcnt(0) lgkmcnt(0)
	v_fma_f64 v[53:54], v[60:61], v[62:63], v[53:54]
	s_and_not1_b32 exec_lo, exec_lo, s1
	s_cbranch_execnz .LBB25_245
; %bb.246:
	s_or_b32 exec_lo, exec_lo, s1
.LBB25_247:
	s_delay_alu instid0(SALU_CYCLE_1)
	s_or_b32 exec_lo, exec_lo, s4
	v_mov_b32_e32 v58, 0
	ds_load_b64 v[58:59], v58
	s_waitcnt lgkmcnt(0)
	v_mul_f64 v[53:54], v[53:54], v[58:59]
	scratch_store_b64 off, v[53:54], off
.LBB25_248:
	s_or_b32 exec_lo, exec_lo, s3
.LBB25_249:
	s_delay_alu instid0(SALU_CYCLE_1)
	s_and_b32 vcc_lo, exec_lo, s0
	s_cbranch_vccz .LBB25_495
; %bb.250:
	scratch_load_b64 v[53:54], off, off offset:8
	v_cmp_eq_u32_e64 s0, 0, v0
	s_waitcnt vmcnt(0)
	ds_store_b64 v56, v[53:54]
	s_waitcnt lgkmcnt(0)
	s_waitcnt_vscnt null, 0x0
	s_barrier
	buffer_gl0_inv
	s_and_saveexec_b32 s1, s0
	s_cbranch_execz .LBB25_256
; %bb.251:
	s_and_b32 vcc_lo, exec_lo, s2
	s_cbranch_vccz .LBB25_253
; %bb.252:
	scratch_load_b64 v[53:54], v57, off
	ds_load_b64 v[58:59], v56
	s_waitcnt vmcnt(0) lgkmcnt(0)
	v_mul_f64 v[53:54], v[53:54], v[58:59]
	s_cbranch_execz .LBB25_254
	s_branch .LBB25_255
.LBB25_253:
                                        ; implicit-def: $vgpr53_vgpr54
.LBB25_254:
	ds_load_b64 v[53:54], v56
.LBB25_255:
	v_mov_b32_e32 v58, 0
	ds_load_b64 v[58:59], v58 offset:8
	s_waitcnt lgkmcnt(0)
	v_mul_f64 v[53:54], v[53:54], v[58:59]
	scratch_store_b64 off, v[53:54], off offset:8
.LBB25_256:
	s_or_b32 exec_lo, exec_lo, s1
	scratch_load_b64 v[53:54], off, off offset:16
	v_cndmask_b32_e64 v58, 0, 1, s2
	s_mov_b32 s1, exec_lo
	s_waitcnt vmcnt(0)
	ds_store_b64 v56, v[53:54]
	s_waitcnt lgkmcnt(0)
	s_waitcnt_vscnt null, 0x0
	s_barrier
	buffer_gl0_inv
	v_cmpx_gt_u32_e32 2, v0
	s_cbranch_execz .LBB25_264
; %bb.257:
	s_and_not1_b32 vcc_lo, exec_lo, s2
	s_cbranch_vccnz .LBB25_259
; %bb.258:
	scratch_load_b64 v[53:54], v57, off
	ds_load_b64 v[59:60], v56
	s_waitcnt vmcnt(0) lgkmcnt(0)
	v_mul_f64 v[53:54], v[53:54], v[59:60]
	s_cbranch_execz .LBB25_260
	s_branch .LBB25_261
.LBB25_259:
                                        ; implicit-def: $vgpr53_vgpr54
.LBB25_260:
	ds_load_b64 v[53:54], v56
.LBB25_261:
	s_and_saveexec_b32 s2, s0
	s_cbranch_execz .LBB25_263
; %bb.262:
	scratch_load_b64 v[59:60], v57, off offset:8
	ds_load_b64 v[61:62], v56 offset:8
	s_waitcnt vmcnt(0) lgkmcnt(0)
	v_fma_f64 v[53:54], v[59:60], v[61:62], v[53:54]
.LBB25_263:
	s_or_b32 exec_lo, exec_lo, s2
	v_mov_b32_e32 v59, 0
	ds_load_b64 v[59:60], v59 offset:16
	s_waitcnt lgkmcnt(0)
	v_mul_f64 v[53:54], v[53:54], v[59:60]
	scratch_store_b64 off, v[53:54], off offset:16
.LBB25_264:
	s_or_b32 exec_lo, exec_lo, s1
	scratch_load_b64 v[53:54], off, off offset:24
	s_mov_b32 s1, exec_lo
	s_waitcnt vmcnt(0)
	ds_store_b64 v56, v[53:54]
	s_waitcnt lgkmcnt(0)
	s_waitcnt_vscnt null, 0x0
	s_barrier
	buffer_gl0_inv
	v_cmpx_gt_u32_e32 3, v0
	s_cbranch_execz .LBB25_274
; %bb.265:
	v_cmp_ne_u32_e32 vcc_lo, 1, v58
	s_cbranch_vccnz .LBB25_267
; %bb.266:
	scratch_load_b64 v[53:54], v57, off
	ds_load_b64 v[59:60], v56
	s_waitcnt vmcnt(0) lgkmcnt(0)
	v_mul_f64 v[53:54], v[53:54], v[59:60]
	s_cbranch_execz .LBB25_268
	s_branch .LBB25_269
.LBB25_267:
                                        ; implicit-def: $vgpr53_vgpr54
.LBB25_268:
	ds_load_b64 v[53:54], v56
.LBB25_269:
	s_mov_b32 s2, exec_lo
	v_cmpx_ne_u32_e32 2, v0
	s_cbranch_execz .LBB25_273
; %bb.270:
	scratch_load_b64 v[59:60], v57, off offset:8
	ds_load_b64 v[61:62], v56 offset:8
	s_waitcnt vmcnt(0) lgkmcnt(0)
	v_fma_f64 v[53:54], v[59:60], v[61:62], v[53:54]
	s_and_saveexec_b32 s3, s0
	s_cbranch_execz .LBB25_272
; %bb.271:
	scratch_load_b64 v[59:60], off, off offset:16
	v_mov_b32_e32 v61, 0
	ds_load_b64 v[61:62], v61 offset:224
	s_waitcnt vmcnt(0) lgkmcnt(0)
	v_fma_f64 v[53:54], v[59:60], v[61:62], v[53:54]
.LBB25_272:
	s_or_b32 exec_lo, exec_lo, s3
.LBB25_273:
	s_delay_alu instid0(SALU_CYCLE_1)
	s_or_b32 exec_lo, exec_lo, s2
	v_mov_b32_e32 v59, 0
	ds_load_b64 v[59:60], v59 offset:24
	s_waitcnt lgkmcnt(0)
	v_mul_f64 v[53:54], v[53:54], v[59:60]
	scratch_store_b64 off, v[53:54], off offset:24
.LBB25_274:
	s_or_b32 exec_lo, exec_lo, s1
	scratch_load_b64 v[53:54], off, off offset:32
	s_mov_b32 s0, exec_lo
	s_waitcnt vmcnt(0)
	ds_store_b64 v56, v[53:54]
	s_waitcnt lgkmcnt(0)
	s_waitcnt_vscnt null, 0x0
	s_barrier
	buffer_gl0_inv
	v_cmpx_gt_u32_e32 4, v0
	s_cbranch_execz .LBB25_284
; %bb.275:
	v_cmp_ne_u32_e32 vcc_lo, 1, v58
	s_cbranch_vccnz .LBB25_277
; %bb.276:
	scratch_load_b64 v[53:54], v57, off
	ds_load_b64 v[59:60], v56
	s_waitcnt vmcnt(0) lgkmcnt(0)
	v_mul_f64 v[53:54], v[53:54], v[59:60]
	s_cbranch_execz .LBB25_278
	s_branch .LBB25_279
.LBB25_277:
                                        ; implicit-def: $vgpr53_vgpr54
.LBB25_278:
	ds_load_b64 v[53:54], v56
.LBB25_279:
	s_mov_b32 s1, exec_lo
	v_cmpx_ne_u32_e32 3, v0
	s_cbranch_execz .LBB25_283
; %bb.280:
	v_add_nc_u32_e32 v59, 0xd8, v55
	v_add3_u32 v60, 0, v55, 8
	v_mov_b32_e32 v61, v0
	s_mov_b32 s2, 0
.LBB25_281:                             ; =>This Inner Loop Header: Depth=1
	scratch_load_b64 v[62:63], v60, off
	ds_load_b64 v[64:65], v59
	v_add_nc_u32_e32 v61, 1, v61
	v_add_nc_u32_e32 v59, 8, v59
	v_add_nc_u32_e32 v60, 8, v60
	s_delay_alu instid0(VALU_DEP_3)
	v_cmp_lt_u32_e32 vcc_lo, 2, v61
	s_or_b32 s2, vcc_lo, s2
	s_waitcnt vmcnt(0) lgkmcnt(0)
	v_fma_f64 v[53:54], v[62:63], v[64:65], v[53:54]
	s_and_not1_b32 exec_lo, exec_lo, s2
	s_cbranch_execnz .LBB25_281
; %bb.282:
	s_or_b32 exec_lo, exec_lo, s2
.LBB25_283:
	s_delay_alu instid0(SALU_CYCLE_1)
	s_or_b32 exec_lo, exec_lo, s1
	v_mov_b32_e32 v59, 0
	ds_load_b64 v[59:60], v59 offset:32
	s_waitcnt lgkmcnt(0)
	v_mul_f64 v[53:54], v[53:54], v[59:60]
	scratch_store_b64 off, v[53:54], off offset:32
.LBB25_284:
	s_or_b32 exec_lo, exec_lo, s0
	scratch_load_b64 v[53:54], off, off offset:40
	s_mov_b32 s0, exec_lo
	s_waitcnt vmcnt(0)
	ds_store_b64 v56, v[53:54]
	s_waitcnt lgkmcnt(0)
	s_waitcnt_vscnt null, 0x0
	s_barrier
	buffer_gl0_inv
	v_cmpx_gt_u32_e32 5, v0
	s_cbranch_execz .LBB25_294
; %bb.285:
	v_cmp_ne_u32_e32 vcc_lo, 1, v58
	s_cbranch_vccnz .LBB25_287
; %bb.286:
	scratch_load_b64 v[53:54], v57, off
	ds_load_b64 v[59:60], v56
	s_waitcnt vmcnt(0) lgkmcnt(0)
	v_mul_f64 v[53:54], v[53:54], v[59:60]
	s_cbranch_execz .LBB25_288
	s_branch .LBB25_289
.LBB25_287:
                                        ; implicit-def: $vgpr53_vgpr54
.LBB25_288:
	ds_load_b64 v[53:54], v56
.LBB25_289:
	s_mov_b32 s1, exec_lo
	v_cmpx_ne_u32_e32 4, v0
	s_cbranch_execz .LBB25_293
; %bb.290:
	v_add_nc_u32_e32 v59, 0xd8, v55
	v_add3_u32 v60, 0, v55, 8
	v_mov_b32_e32 v61, v0
	s_mov_b32 s2, 0
.LBB25_291:                             ; =>This Inner Loop Header: Depth=1
	scratch_load_b64 v[62:63], v60, off
	ds_load_b64 v[64:65], v59
	v_add_nc_u32_e32 v61, 1, v61
	v_add_nc_u32_e32 v59, 8, v59
	v_add_nc_u32_e32 v60, 8, v60
	s_delay_alu instid0(VALU_DEP_3)
	v_cmp_lt_u32_e32 vcc_lo, 3, v61
	s_or_b32 s2, vcc_lo, s2
	s_waitcnt vmcnt(0) lgkmcnt(0)
	v_fma_f64 v[53:54], v[62:63], v[64:65], v[53:54]
	s_and_not1_b32 exec_lo, exec_lo, s2
	s_cbranch_execnz .LBB25_291
; %bb.292:
	s_or_b32 exec_lo, exec_lo, s2
.LBB25_293:
	s_delay_alu instid0(SALU_CYCLE_1)
	s_or_b32 exec_lo, exec_lo, s1
	v_mov_b32_e32 v59, 0
	ds_load_b64 v[59:60], v59 offset:40
	s_waitcnt lgkmcnt(0)
	v_mul_f64 v[53:54], v[53:54], v[59:60]
	scratch_store_b64 off, v[53:54], off offset:40
.LBB25_294:
	;; [unrolled: 58-line block ×20, first 2 shown]
	s_or_b32 exec_lo, exec_lo, s0
	scratch_load_b64 v[53:54], off, off offset:192
	v_cmp_gt_u32_e64 s0, 24, v0
	s_waitcnt vmcnt(0)
	ds_store_b64 v56, v[53:54]
	s_waitcnt lgkmcnt(0)
	s_waitcnt_vscnt null, 0x0
	s_barrier
	buffer_gl0_inv
	s_and_saveexec_b32 s1, s0
	s_cbranch_execz .LBB25_484
; %bb.475:
	v_cmp_ne_u32_e32 vcc_lo, 1, v58
	s_cbranch_vccnz .LBB25_477
; %bb.476:
	scratch_load_b64 v[53:54], v57, off
	ds_load_b64 v[59:60], v56
	s_waitcnt vmcnt(0) lgkmcnt(0)
	v_mul_f64 v[53:54], v[53:54], v[59:60]
	s_cbranch_execz .LBB25_478
	s_branch .LBB25_479
.LBB25_477:
                                        ; implicit-def: $vgpr53_vgpr54
.LBB25_478:
	ds_load_b64 v[53:54], v56
.LBB25_479:
	s_mov_b32 s2, exec_lo
	v_cmpx_ne_u32_e32 23, v0
	s_cbranch_execz .LBB25_483
; %bb.480:
	v_add_nc_u32_e32 v59, 0xd8, v55
	v_add3_u32 v60, 0, v55, 8
	v_mov_b32_e32 v61, v0
	s_mov_b32 s3, 0
.LBB25_481:                             ; =>This Inner Loop Header: Depth=1
	scratch_load_b64 v[62:63], v60, off
	ds_load_b64 v[64:65], v59
	v_add_nc_u32_e32 v61, 1, v61
	v_add_nc_u32_e32 v59, 8, v59
	;; [unrolled: 1-line block ×3, first 2 shown]
	s_delay_alu instid0(VALU_DEP_3)
	v_cmp_lt_u32_e32 vcc_lo, 22, v61
	s_or_b32 s3, vcc_lo, s3
	s_waitcnt vmcnt(0) lgkmcnt(0)
	v_fma_f64 v[53:54], v[62:63], v[64:65], v[53:54]
	s_and_not1_b32 exec_lo, exec_lo, s3
	s_cbranch_execnz .LBB25_481
; %bb.482:
	s_or_b32 exec_lo, exec_lo, s3
.LBB25_483:
	s_delay_alu instid0(SALU_CYCLE_1)
	s_or_b32 exec_lo, exec_lo, s2
	v_mov_b32_e32 v59, 0
	ds_load_b64 v[59:60], v59 offset:192
	s_waitcnt lgkmcnt(0)
	v_mul_f64 v[53:54], v[53:54], v[59:60]
	scratch_store_b64 off, v[53:54], off offset:192
.LBB25_484:
	s_or_b32 exec_lo, exec_lo, s1
	scratch_load_b64 v[53:54], off, off offset:200
	s_mov_b32 s1, exec_lo
	s_waitcnt vmcnt(0)
	ds_store_b64 v56, v[53:54]
	s_waitcnt lgkmcnt(0)
	s_waitcnt_vscnt null, 0x0
	s_barrier
	buffer_gl0_inv
	v_cmpx_ne_u32_e32 25, v0
	s_cbranch_execz .LBB25_494
; %bb.485:
	v_cmp_ne_u32_e32 vcc_lo, 1, v58
	s_cbranch_vccnz .LBB25_487
; %bb.486:
	scratch_load_b64 v[53:54], v57, off
	ds_load_b64 v[57:58], v56
	s_waitcnt vmcnt(0) lgkmcnt(0)
	v_mul_f64 v[53:54], v[53:54], v[57:58]
	s_cbranch_execz .LBB25_488
	s_branch .LBB25_489
.LBB25_487:
                                        ; implicit-def: $vgpr53_vgpr54
.LBB25_488:
	ds_load_b64 v[53:54], v56
.LBB25_489:
	s_and_saveexec_b32 s2, s0
	s_cbranch_execz .LBB25_493
; %bb.490:
	v_add_nc_u32_e32 v56, 0xd8, v55
	v_add3_u32 v55, 0, v55, 8
	s_mov_b32 s0, 0
.LBB25_491:                             ; =>This Inner Loop Header: Depth=1
	scratch_load_b64 v[57:58], v55, off
	ds_load_b64 v[59:60], v56
	v_add_nc_u32_e32 v0, 1, v0
	v_add_nc_u32_e32 v56, 8, v56
	;; [unrolled: 1-line block ×3, first 2 shown]
	s_delay_alu instid0(VALU_DEP_3)
	v_cmp_lt_u32_e32 vcc_lo, 23, v0
	s_or_b32 s0, vcc_lo, s0
	s_waitcnt vmcnt(0) lgkmcnt(0)
	v_fma_f64 v[53:54], v[57:58], v[59:60], v[53:54]
	s_and_not1_b32 exec_lo, exec_lo, s0
	s_cbranch_execnz .LBB25_491
; %bb.492:
	s_or_b32 exec_lo, exec_lo, s0
.LBB25_493:
	s_delay_alu instid0(SALU_CYCLE_1)
	s_or_b32 exec_lo, exec_lo, s2
	v_mov_b32_e32 v0, 0
	ds_load_b64 v[55:56], v0 offset:200
	s_waitcnt lgkmcnt(0)
	v_mul_f64 v[53:54], v[53:54], v[55:56]
	scratch_store_b64 off, v[53:54], off offset:200
.LBB25_494:
	s_or_b32 exec_lo, exec_lo, s1
.LBB25_495:
	s_clause 0x9
	scratch_load_b128 v[53:56], off, off
	scratch_load_b128 v[57:60], off, off offset:16
	scratch_load_b128 v[61:64], off, off offset:32
	;; [unrolled: 1-line block ×9, first 2 shown]
	s_waitcnt vmcnt(9)
	s_clause 0x1
	global_store_b64 v[1:2], v[53:54], off
	global_store_b64 v[3:4], v[55:56], off
	s_clause 0x1
	scratch_load_b128 v[0:3], off, off offset:160
	scratch_load_b128 v[53:56], off, off offset:176
	s_waitcnt vmcnt(10)
	s_clause 0x1
	global_store_b64 v[9:10], v[57:58], off
	global_store_b64 v[11:12], v[59:60], off
	scratch_load_b128 v[9:12], off, off offset:192
	s_waitcnt vmcnt(10)
	s_clause 0x1
	global_store_b64 v[5:6], v[61:62], off
	global_store_b64 v[7:8], v[63:64], off
	s_waitcnt vmcnt(9)
	s_clause 0x1
	global_store_b64 v[13:14], v[65:66], off
	global_store_b64 v[15:16], v[67:68], off
	;; [unrolled: 4-line block ×11, first 2 shown]
.LBB25_496:
	s_endpgm
	.section	.rodata,"a",@progbits
	.p2align	6, 0x0
	.amdhsa_kernel _ZN9rocsolver6v33100L18trti2_kernel_smallILi26EdPdEEv13rocblas_fill_17rocblas_diagonal_T1_iil
		.amdhsa_group_segment_fixed_size 416
		.amdhsa_private_segment_fixed_size 224
		.amdhsa_kernarg_size 32
		.amdhsa_user_sgpr_count 15
		.amdhsa_user_sgpr_dispatch_ptr 0
		.amdhsa_user_sgpr_queue_ptr 0
		.amdhsa_user_sgpr_kernarg_segment_ptr 1
		.amdhsa_user_sgpr_dispatch_id 0
		.amdhsa_user_sgpr_private_segment_size 0
		.amdhsa_wavefront_size32 1
		.amdhsa_uses_dynamic_stack 0
		.amdhsa_enable_private_segment 1
		.amdhsa_system_sgpr_workgroup_id_x 1
		.amdhsa_system_sgpr_workgroup_id_y 0
		.amdhsa_system_sgpr_workgroup_id_z 0
		.amdhsa_system_sgpr_workgroup_info 0
		.amdhsa_system_vgpr_workitem_id 0
		.amdhsa_next_free_vgpr 94
		.amdhsa_next_free_sgpr 16
		.amdhsa_reserve_vcc 1
		.amdhsa_float_round_mode_32 0
		.amdhsa_float_round_mode_16_64 0
		.amdhsa_float_denorm_mode_32 3
		.amdhsa_float_denorm_mode_16_64 3
		.amdhsa_dx10_clamp 1
		.amdhsa_ieee_mode 1
		.amdhsa_fp16_overflow 0
		.amdhsa_workgroup_processor_mode 1
		.amdhsa_memory_ordered 1
		.amdhsa_forward_progress 0
		.amdhsa_shared_vgpr_count 0
		.amdhsa_exception_fp_ieee_invalid_op 0
		.amdhsa_exception_fp_denorm_src 0
		.amdhsa_exception_fp_ieee_div_zero 0
		.amdhsa_exception_fp_ieee_overflow 0
		.amdhsa_exception_fp_ieee_underflow 0
		.amdhsa_exception_fp_ieee_inexact 0
		.amdhsa_exception_int_div_zero 0
	.end_amdhsa_kernel
	.section	.text._ZN9rocsolver6v33100L18trti2_kernel_smallILi26EdPdEEv13rocblas_fill_17rocblas_diagonal_T1_iil,"axG",@progbits,_ZN9rocsolver6v33100L18trti2_kernel_smallILi26EdPdEEv13rocblas_fill_17rocblas_diagonal_T1_iil,comdat
.Lfunc_end25:
	.size	_ZN9rocsolver6v33100L18trti2_kernel_smallILi26EdPdEEv13rocblas_fill_17rocblas_diagonal_T1_iil, .Lfunc_end25-_ZN9rocsolver6v33100L18trti2_kernel_smallILi26EdPdEEv13rocblas_fill_17rocblas_diagonal_T1_iil
                                        ; -- End function
	.section	.AMDGPU.csdata,"",@progbits
; Kernel info:
; codeLenInByte = 13944
; NumSgprs: 18
; NumVgprs: 94
; ScratchSize: 224
; MemoryBound: 0
; FloatMode: 240
; IeeeMode: 1
; LDSByteSize: 416 bytes/workgroup (compile time only)
; SGPRBlocks: 2
; VGPRBlocks: 11
; NumSGPRsForWavesPerEU: 18
; NumVGPRsForWavesPerEU: 94
; Occupancy: 16
; WaveLimiterHint : 0
; COMPUTE_PGM_RSRC2:SCRATCH_EN: 1
; COMPUTE_PGM_RSRC2:USER_SGPR: 15
; COMPUTE_PGM_RSRC2:TRAP_HANDLER: 0
; COMPUTE_PGM_RSRC2:TGID_X_EN: 1
; COMPUTE_PGM_RSRC2:TGID_Y_EN: 0
; COMPUTE_PGM_RSRC2:TGID_Z_EN: 0
; COMPUTE_PGM_RSRC2:TIDIG_COMP_CNT: 0
	.section	.text._ZN9rocsolver6v33100L18trti2_kernel_smallILi27EdPdEEv13rocblas_fill_17rocblas_diagonal_T1_iil,"axG",@progbits,_ZN9rocsolver6v33100L18trti2_kernel_smallILi27EdPdEEv13rocblas_fill_17rocblas_diagonal_T1_iil,comdat
	.globl	_ZN9rocsolver6v33100L18trti2_kernel_smallILi27EdPdEEv13rocblas_fill_17rocblas_diagonal_T1_iil ; -- Begin function _ZN9rocsolver6v33100L18trti2_kernel_smallILi27EdPdEEv13rocblas_fill_17rocblas_diagonal_T1_iil
	.p2align	8
	.type	_ZN9rocsolver6v33100L18trti2_kernel_smallILi27EdPdEEv13rocblas_fill_17rocblas_diagonal_T1_iil,@function
_ZN9rocsolver6v33100L18trti2_kernel_smallILi27EdPdEEv13rocblas_fill_17rocblas_diagonal_T1_iil: ; @_ZN9rocsolver6v33100L18trti2_kernel_smallILi27EdPdEEv13rocblas_fill_17rocblas_diagonal_T1_iil
; %bb.0:
	s_mov_b32 s2, exec_lo
	v_cmpx_gt_u32_e32 27, v0
	s_cbranch_execz .LBB26_516
; %bb.1:
	s_load_b256 s[0:7], s[0:1], 0x0
	s_ashr_i32 s10, s15, 31
	v_lshlrev_b32_e32 v57, 3, v0
	s_waitcnt lgkmcnt(0)
	s_ashr_i32 s9, s4, 31
	s_mov_b32 s8, s4
	s_mul_i32 s4, s15, s7
	s_mul_hi_u32 s7, s15, s6
	v_add3_u32 v5, s5, s5, v0
	s_mul_i32 s10, s10, s6
	s_add_i32 s4, s7, s4
	s_mul_i32 s6, s15, s6
	s_add_i32 s7, s4, s10
	v_add_nc_u32_e32 v7, s5, v5
	s_lshl_b64 s[6:7], s[6:7], 3
	v_ashrrev_i32_e32 v6, 31, v5
	s_add_u32 s4, s2, s6
	s_addc_u32 s6, s3, s7
	s_lshl_b64 s[2:3], s[8:9], 3
	v_add_nc_u32_e32 v11, s5, v7
	s_add_u32 s2, s4, s2
	s_addc_u32 s3, s6, s3
	v_add_co_u32 v3, s4, s2, v57
	v_ashrrev_i32_e32 v8, 31, v7
	s_mov_b32 s10, s5
	s_ashr_i32 s11, s5, 31
	v_add_co_ci_u32_e64 v4, null, s3, 0, s4
	v_lshlrev_b64 v[5:6], 3, v[5:6]
	s_lshl_b64 s[6:7], s[10:11], 3
	v_add_nc_u32_e32 v13, s5, v11
	v_add_co_u32 v1, vcc_lo, v3, s6
	v_lshlrev_b64 v[7:8], 3, v[7:8]
	v_ashrrev_i32_e32 v12, 31, v11
	v_add_co_ci_u32_e32 v2, vcc_lo, s7, v4, vcc_lo
	v_add_co_u32 v9, vcc_lo, s2, v5
	v_ashrrev_i32_e32 v14, 31, v13
	v_add_co_ci_u32_e32 v10, vcc_lo, s3, v6, vcc_lo
	v_lshlrev_b64 v[5:6], 3, v[11:12]
	s_clause 0x1
	global_load_b64 v[37:38], v57, s[2:3]
	global_load_b64 v[39:40], v[1:2], off
	v_add_co_u32 v11, vcc_lo, s2, v7
	v_add_co_ci_u32_e32 v12, vcc_lo, s3, v8, vcc_lo
	v_lshlrev_b64 v[7:8], 3, v[13:14]
	v_add_nc_u32_e32 v15, s5, v13
	v_add_co_u32 v5, vcc_lo, s2, v5
	v_add_co_ci_u32_e32 v6, vcc_lo, s3, v6, vcc_lo
	s_delay_alu instid0(VALU_DEP_4)
	v_add_co_u32 v7, vcc_lo, s2, v7
	v_add_co_ci_u32_e32 v8, vcc_lo, s3, v8, vcc_lo
	v_add_nc_u32_e32 v13, s5, v15
	s_clause 0x3
	global_load_b64 v[45:46], v[9:10], off
	global_load_b64 v[47:48], v[11:12], off
	;; [unrolled: 1-line block ×4, first 2 shown]
	v_ashrrev_i32_e32 v16, 31, v15
	s_cmpk_lg_i32 s1, 0x84
	v_add_nc_u32_e32 v17, s5, v13
	v_ashrrev_i32_e32 v14, 31, v13
	s_delay_alu instid0(VALU_DEP_3) | instskip(NEXT) | instid1(VALU_DEP_3)
	v_lshlrev_b64 v[15:16], 3, v[15:16]
	v_add_nc_u32_e32 v21, s5, v17
	s_delay_alu instid0(VALU_DEP_3) | instskip(SKIP_1) | instid1(VALU_DEP_4)
	v_lshlrev_b64 v[19:20], 3, v[13:14]
	v_ashrrev_i32_e32 v18, 31, v17
	v_add_co_u32 v13, vcc_lo, s2, v15
	s_delay_alu instid0(VALU_DEP_4) | instskip(SKIP_1) | instid1(VALU_DEP_4)
	v_ashrrev_i32_e32 v22, 31, v21
	v_add_co_ci_u32_e32 v14, vcc_lo, s3, v16, vcc_lo
	v_lshlrev_b64 v[17:18], 3, v[17:18]
	v_add_co_u32 v15, vcc_lo, s2, v19
	v_add_co_ci_u32_e32 v16, vcc_lo, s3, v20, vcc_lo
	v_lshlrev_b64 v[19:20], 3, v[21:22]
	s_delay_alu instid0(VALU_DEP_4) | instskip(SKIP_2) | instid1(VALU_DEP_4)
	v_add_co_u32 v17, vcc_lo, s2, v17
	v_add_co_ci_u32_e32 v18, vcc_lo, s3, v18, vcc_lo
	v_add_nc_u32_e32 v21, s5, v21
	v_add_co_u32 v19, vcc_lo, s2, v19
	v_add_co_ci_u32_e32 v20, vcc_lo, s3, v20, vcc_lo
	s_clause 0x3
	global_load_b64 v[58:59], v[13:14], off
	global_load_b64 v[60:61], v[15:16], off
	;; [unrolled: 1-line block ×4, first 2 shown]
	v_add_nc_u32_e32 v23, s5, v21
	v_ashrrev_i32_e32 v22, 31, v21
	s_delay_alu instid0(VALU_DEP_2) | instskip(SKIP_1) | instid1(VALU_DEP_3)
	v_add_nc_u32_e32 v25, s5, v23
	v_ashrrev_i32_e32 v24, 31, v23
	v_lshlrev_b64 v[21:22], 3, v[21:22]
	s_delay_alu instid0(VALU_DEP_3) | instskip(SKIP_1) | instid1(VALU_DEP_4)
	v_add_nc_u32_e32 v27, s5, v25
	v_ashrrev_i32_e32 v26, 31, v25
	v_lshlrev_b64 v[23:24], 3, v[23:24]
	s_delay_alu instid0(VALU_DEP_4) | instskip(NEXT) | instid1(VALU_DEP_4)
	v_add_co_u32 v21, vcc_lo, s2, v21
	v_add_nc_u32_e32 v29, s5, v27
	v_ashrrev_i32_e32 v28, 31, v27
	v_lshlrev_b64 v[25:26], 3, v[25:26]
	v_add_co_ci_u32_e32 v22, vcc_lo, s3, v22, vcc_lo
	s_delay_alu instid0(VALU_DEP_4) | instskip(SKIP_3) | instid1(VALU_DEP_4)
	v_add_nc_u32_e32 v31, s5, v29
	v_ashrrev_i32_e32 v30, 31, v29
	v_add_co_u32 v23, vcc_lo, s2, v23
	v_lshlrev_b64 v[27:28], 3, v[27:28]
	v_add_nc_u32_e32 v33, s5, v31
	v_add_co_ci_u32_e32 v24, vcc_lo, s3, v24, vcc_lo
	v_add_co_u32 v25, vcc_lo, s2, v25
	s_delay_alu instid0(VALU_DEP_3) | instskip(SKIP_3) | instid1(VALU_DEP_4)
	v_add_nc_u32_e32 v35, s5, v33
	v_lshlrev_b64 v[29:30], 3, v[29:30]
	v_ashrrev_i32_e32 v32, 31, v31
	v_add_co_ci_u32_e32 v26, vcc_lo, s3, v26, vcc_lo
	v_add_nc_u32_e32 v41, s5, v35
	v_add_co_u32 v27, vcc_lo, s2, v27
	v_add_co_ci_u32_e32 v28, vcc_lo, s3, v28, vcc_lo
	s_delay_alu instid0(VALU_DEP_3) | instskip(SKIP_3) | instid1(VALU_DEP_4)
	v_add_nc_u32_e32 v43, s5, v41
	v_lshlrev_b64 v[74:75], 3, v[31:32]
	v_ashrrev_i32_e32 v34, 31, v33
	v_add_co_u32 v31, vcc_lo, s2, v29
	v_add_nc_u32_e32 v53, s5, v43
	v_add_co_ci_u32_e32 v32, vcc_lo, s3, v30, vcc_lo
	v_ashrrev_i32_e32 v36, 31, v35
	v_lshlrev_b64 v[76:77], 3, v[33:34]
	s_delay_alu instid0(VALU_DEP_4) | instskip(SKIP_3) | instid1(VALU_DEP_4)
	v_add_nc_u32_e32 v55, s5, v53
	v_add_co_u32 v33, vcc_lo, s2, v74
	v_ashrrev_i32_e32 v42, 31, v41
	v_add_co_ci_u32_e32 v34, vcc_lo, s3, v75, vcc_lo
	v_add_nc_u32_e32 v80, s5, v55
	v_lshlrev_b64 v[81:82], 3, v[35:36]
	v_ashrrev_i32_e32 v44, 31, v43
	v_lshlrev_b64 v[41:42], 3, v[41:42]
	v_ashrrev_i32_e32 v54, 31, v53
	v_add_nc_u32_e32 v88, s5, v80
	s_clause 0x2
	global_load_b64 v[66:67], v[21:22], off
	global_load_b64 v[68:69], v[23:24], off
	;; [unrolled: 1-line block ×3, first 2 shown]
	v_lshlrev_b64 v[43:44], 3, v[43:44]
	v_ashrrev_i32_e32 v56, 31, v55
	v_lshlrev_b64 v[53:54], 3, v[53:54]
	v_add_nc_u32_e32 v90, s5, v88
	v_ashrrev_i32_e32 v89, 31, v88
	s_delay_alu instid0(VALU_DEP_4) | instskip(NEXT) | instid1(VALU_DEP_3)
	v_lshlrev_b64 v[55:56], 3, v[55:56]
	v_add_nc_u32_e32 v92, s5, v90
	v_ashrrev_i32_e32 v91, 31, v90
	s_delay_alu instid0(VALU_DEP_2) | instskip(SKIP_1) | instid1(VALU_DEP_2)
	v_add_nc_u32_e32 v72, s5, v92
	v_ashrrev_i32_e32 v93, 31, v92
	v_ashrrev_i32_e32 v73, 31, v72
	s_delay_alu instid0(VALU_DEP_1) | instskip(NEXT) | instid1(VALU_DEP_1)
	v_lshlrev_b64 v[29:30], 3, v[72:73]
	v_add_co_u32 v29, vcc_lo, s2, v29
	s_delay_alu instid0(VALU_DEP_2)
	v_add_co_ci_u32_e32 v30, vcc_lo, s3, v30, vcc_lo
	v_add_co_u32 v35, vcc_lo, s2, v76
	v_add_co_ci_u32_e32 v36, vcc_lo, s3, v77, vcc_lo
	global_load_b64 v[94:95], v[29:30], off
	s_waitcnt vmcnt(12)
	scratch_store_b128 off, v[37:40], off
	v_add_co_u32 v37, vcc_lo, s2, v81
	v_add_co_ci_u32_e32 v38, vcc_lo, s3, v82, vcc_lo
	v_add_co_u32 v39, vcc_lo, s2, v41
	v_add_co_ci_u32_e32 v40, vcc_lo, s3, v42, vcc_lo
	;; [unrolled: 2-line block ×4, first 2 shown]
	s_clause 0x3
	global_load_b64 v[72:73], v[27:28], off
	global_load_b64 v[74:75], v[31:32], off
	;; [unrolled: 1-line block ×4, first 2 shown]
	s_waitcnt vmcnt(14)
	scratch_store_b128 off, v[45:48], off offset:16
	s_waitcnt vmcnt(12)
	scratch_store_b128 off, v[49:52], off offset:32
	v_add_co_u32 v45, vcc_lo, s2, v55
	v_add_co_ci_u32_e32 v46, vcc_lo, s3, v56, vcc_lo
	v_mov_b32_e32 v55, 0
	v_ashrrev_i32_e32 v81, 31, v80
	v_lshlrev_b64 v[49:50], 3, v[88:89]
	v_lshlrev_b64 v[51:52], 3, v[90:91]
	v_mov_b32_e32 v56, 0xbff00000
	s_delay_alu instid0(VALU_DEP_4)
	v_lshlrev_b64 v[53:54], 3, v[80:81]
	s_clause 0x3
	global_load_b64 v[80:81], v[37:38], off
	global_load_b64 v[82:83], v[39:40], off
	global_load_b64 v[84:85], v[41:42], off
	global_load_b64 v[86:87], v[43:44], off
	v_add_co_u32 v47, vcc_lo, s2, v53
	v_add_co_ci_u32_e32 v48, vcc_lo, s3, v54, vcc_lo
	v_add_co_u32 v49, vcc_lo, s2, v49
	v_lshlrev_b64 v[53:54], 3, v[92:93]
	v_add_co_ci_u32_e32 v50, vcc_lo, s3, v50, vcc_lo
	v_add_co_u32 v51, vcc_lo, s2, v51
	v_add_co_ci_u32_e32 v52, vcc_lo, s3, v52, vcc_lo
	s_delay_alu instid0(VALU_DEP_4)
	v_add_co_u32 v53, vcc_lo, s2, v53
	v_add_co_ci_u32_e32 v54, vcc_lo, s3, v54, vcc_lo
	s_waitcnt vmcnt(14)
	scratch_store_b128 off, v[58:61], off offset:48
	s_clause 0x2
	global_load_b64 v[88:89], v[45:46], off
	global_load_b64 v[58:59], v[47:48], off
	;; [unrolled: 1-line block ×3, first 2 shown]
	s_waitcnt vmcnt(15)
	scratch_store_b128 off, v[62:65], off offset:64
	s_clause 0x1
	global_load_b64 v[64:65], v[53:54], off
	global_load_b64 v[62:63], v[51:52], off
	s_cselect_b32 s2, -1, 0
	s_cmpk_eq_i32 s1, 0x84
	s_waitcnt vmcnt(15)
	scratch_store_b128 off, v[66:69], off offset:80
	s_waitcnt vmcnt(12)
	scratch_store_b128 off, v[70:73], off offset:96
	;; [unrolled: 2-line block ×7, first 2 shown]
	s_waitcnt vmcnt(0)
	s_clause 0x1
	scratch_store_b128 off, v[62:65], off offset:192
	scratch_store_b64 off, v[94:95], off offset:208
	s_cbranch_scc1 .LBB26_3
; %bb.2:
	scratch_load_b64 v[55:56], v57, off
	s_waitcnt vmcnt(0)
	v_div_scale_f64 v[58:59], null, v[55:56], v[55:56], 1.0
	v_div_scale_f64 v[64:65], vcc_lo, 1.0, v[55:56], 1.0
	s_delay_alu instid0(VALU_DEP_2) | instskip(SKIP_2) | instid1(VALU_DEP_1)
	v_rcp_f64_e32 v[60:61], v[58:59]
	s_waitcnt_depctr 0xfff
	v_fma_f64 v[62:63], -v[58:59], v[60:61], 1.0
	v_fma_f64 v[60:61], v[60:61], v[62:63], v[60:61]
	s_delay_alu instid0(VALU_DEP_1) | instskip(NEXT) | instid1(VALU_DEP_1)
	v_fma_f64 v[62:63], -v[58:59], v[60:61], 1.0
	v_fma_f64 v[60:61], v[60:61], v[62:63], v[60:61]
	s_delay_alu instid0(VALU_DEP_1) | instskip(NEXT) | instid1(VALU_DEP_1)
	v_mul_f64 v[62:63], v[64:65], v[60:61]
	v_fma_f64 v[58:59], -v[58:59], v[62:63], v[64:65]
	s_delay_alu instid0(VALU_DEP_1) | instskip(NEXT) | instid1(VALU_DEP_1)
	v_div_fmas_f64 v[58:59], v[58:59], v[60:61], v[62:63]
	v_div_fixup_f64 v[55:56], v[58:59], v[55:56], 1.0
	scratch_store_b64 v57, v[55:56], off
	v_xor_b32_e32 v56, 0x80000000, v56
.LBB26_3:
	v_add_nc_u32_e32 v58, 0xe0, v57
	v_add_nc_u32_e32 v59, 0, v57
	s_cmpk_eq_i32 s0, 0x79
	s_mov_b32 s0, -1
	ds_store_b64 v57, v[55:56]
	s_cbranch_scc1 .LBB26_259
; %bb.4:
	scratch_load_b64 v[55:56], off, off offset:200
	v_cmp_eq_u32_e64 s1, 26, v0
	s_movk_i32 s0, 0x50
	s_movk_i32 s3, 0x60
	;; [unrolled: 1-line block ×8, first 2 shown]
	s_waitcnt vmcnt(0)
	ds_store_b64 v58, v[55:56]
	s_waitcnt lgkmcnt(0)
	s_waitcnt_vscnt null, 0x0
	s_barrier
	buffer_gl0_inv
	s_and_saveexec_b32 s10, s1
	s_cbranch_execz .LBB26_10
; %bb.5:
	s_and_b32 vcc_lo, exec_lo, s2
	s_cbranch_vccz .LBB26_7
; %bb.6:
	scratch_load_b64 v[55:56], v59, off
	ds_load_b64 v[60:61], v58
	s_waitcnt vmcnt(0) lgkmcnt(0)
	v_mul_f64 v[55:56], v[55:56], v[60:61]
	s_cbranch_execz .LBB26_8
	s_branch .LBB26_9
.LBB26_7:
                                        ; implicit-def: $vgpr55_vgpr56
.LBB26_8:
	ds_load_b64 v[55:56], v58
.LBB26_9:
	v_mov_b32_e32 v60, 0
	ds_load_b64 v[60:61], v60 offset:200
	s_waitcnt lgkmcnt(0)
	v_mul_f64 v[55:56], v[55:56], v[60:61]
	scratch_store_b64 off, v[55:56], off offset:200
.LBB26_10:
	s_or_b32 exec_lo, exec_lo, s10
	scratch_load_b64 v[55:56], off, off offset:192
	v_add_nc_u32_e64 v60, 0, 16
	v_add_nc_u32_e64 v61, 0, 32
	;; [unrolled: 1-line block ×12, first 2 shown]
	v_cmp_lt_u32_e64 s0, 24, v0
	s_waitcnt vmcnt(0)
	ds_store_b64 v58, v[55:56]
	s_waitcnt lgkmcnt(0)
	s_waitcnt_vscnt null, 0x0
	s_barrier
	buffer_gl0_inv
	s_and_saveexec_b32 s3, s0
	s_cbranch_execz .LBB26_18
; %bb.11:
	s_and_not1_b32 vcc_lo, exec_lo, s2
	s_cbranch_vccnz .LBB26_13
; %bb.12:
	scratch_load_b64 v[55:56], v59, off
	ds_load_b64 v[72:73], v58
	s_waitcnt vmcnt(0) lgkmcnt(0)
	v_mul_f64 v[55:56], v[55:56], v[72:73]
	s_cbranch_execz .LBB26_14
	s_branch .LBB26_15
.LBB26_13:
                                        ; implicit-def: $vgpr55_vgpr56
.LBB26_14:
	ds_load_b64 v[55:56], v58
.LBB26_15:
	s_and_saveexec_b32 s4, s1
	s_cbranch_execz .LBB26_17
; %bb.16:
	scratch_load_b64 v[72:73], off, off offset:200
	v_mov_b32_e32 v74, 0
	ds_load_b64 v[74:75], v74 offset:424
	s_waitcnt vmcnt(0) lgkmcnt(0)
	v_fma_f64 v[55:56], v[72:73], v[74:75], v[55:56]
.LBB26_17:
	s_or_b32 exec_lo, exec_lo, s4
	v_mov_b32_e32 v72, 0
	ds_load_b64 v[72:73], v72 offset:192
	s_waitcnt lgkmcnt(0)
	v_mul_f64 v[55:56], v[55:56], v[72:73]
	scratch_store_b64 off, v[55:56], off offset:192
.LBB26_18:
	s_or_b32 exec_lo, exec_lo, s3
	scratch_load_b64 v[55:56], off, off offset:184
	v_cmp_lt_u32_e64 s1, 23, v0
	s_waitcnt vmcnt(0)
	ds_store_b64 v58, v[55:56]
	s_waitcnt lgkmcnt(0)
	s_waitcnt_vscnt null, 0x0
	s_barrier
	buffer_gl0_inv
	s_and_saveexec_b32 s3, s1
	s_cbranch_execz .LBB26_28
; %bb.19:
	s_and_not1_b32 vcc_lo, exec_lo, s2
	s_cbranch_vccnz .LBB26_21
; %bb.20:
	scratch_load_b64 v[55:56], v59, off
	ds_load_b64 v[72:73], v58
	s_waitcnt vmcnt(0) lgkmcnt(0)
	v_mul_f64 v[55:56], v[55:56], v[72:73]
	s_cbranch_execz .LBB26_22
	s_branch .LBB26_23
.LBB26_21:
                                        ; implicit-def: $vgpr55_vgpr56
.LBB26_22:
	ds_load_b64 v[55:56], v58
.LBB26_23:
	s_and_saveexec_b32 s4, s0
	s_cbranch_execz .LBB26_27
; %bb.24:
	v_subrev_nc_u32_e32 v72, 24, v0
	s_movk_i32 s5, 0x1a0
	s_mov_b32 s0, 0
.LBB26_25:                              ; =>This Inner Loop Header: Depth=1
	scratch_load_b64 v[73:74], v71, off
	v_dual_mov_b32 v75, s5 :: v_dual_add_nc_u32 v72, -1, v72
	v_add_nc_u32_e32 v71, 8, v71
	s_add_i32 s5, s5, 8
	ds_load_b64 v[75:76], v75
	v_cmp_eq_u32_e32 vcc_lo, 0, v72
	s_or_b32 s0, vcc_lo, s0
	s_waitcnt vmcnt(0) lgkmcnt(0)
	v_fma_f64 v[55:56], v[73:74], v[75:76], v[55:56]
	s_and_not1_b32 exec_lo, exec_lo, s0
	s_cbranch_execnz .LBB26_25
; %bb.26:
	s_or_b32 exec_lo, exec_lo, s0
.LBB26_27:
	s_delay_alu instid0(SALU_CYCLE_1)
	s_or_b32 exec_lo, exec_lo, s4
	v_mov_b32_e32 v71, 0
	ds_load_b64 v[71:72], v71 offset:184
	s_waitcnt lgkmcnt(0)
	v_mul_f64 v[55:56], v[55:56], v[71:72]
	scratch_store_b64 off, v[55:56], off offset:184
.LBB26_28:
	s_or_b32 exec_lo, exec_lo, s3
	scratch_load_b64 v[55:56], off, off offset:176
	v_cmp_lt_u32_e64 s0, 22, v0
	s_waitcnt vmcnt(0)
	ds_store_b64 v58, v[55:56]
	s_waitcnt lgkmcnt(0)
	s_waitcnt_vscnt null, 0x0
	s_barrier
	buffer_gl0_inv
	s_and_saveexec_b32 s3, s0
	s_cbranch_execz .LBB26_38
; %bb.29:
	s_and_not1_b32 vcc_lo, exec_lo, s2
	s_cbranch_vccnz .LBB26_31
; %bb.30:
	scratch_load_b64 v[55:56], v59, off
	ds_load_b64 v[71:72], v58
	s_waitcnt vmcnt(0) lgkmcnt(0)
	v_mul_f64 v[55:56], v[55:56], v[71:72]
	s_cbranch_execz .LBB26_32
	s_branch .LBB26_33
.LBB26_31:
                                        ; implicit-def: $vgpr55_vgpr56
.LBB26_32:
	ds_load_b64 v[55:56], v58
.LBB26_33:
	s_and_saveexec_b32 s4, s1
	s_cbranch_execz .LBB26_37
; %bb.34:
	v_mov_b32_e32 v71, 0
	v_subrev_nc_u32_e32 v72, 23, v0
	s_movk_i32 s5, 0x198
	s_mov_b32 s1, 0
	s_delay_alu instid0(VALU_DEP_2)
	v_add_nc_u32_e32 v71, 0xb8, v71
.LBB26_35:                              ; =>This Inner Loop Header: Depth=1
	scratch_load_b64 v[73:74], v71, off
	v_dual_mov_b32 v75, s5 :: v_dual_add_nc_u32 v72, -1, v72
	v_add_nc_u32_e32 v71, 8, v71
	s_add_i32 s5, s5, 8
	ds_load_b64 v[75:76], v75
	v_cmp_eq_u32_e32 vcc_lo, 0, v72
	s_or_b32 s1, vcc_lo, s1
	s_waitcnt vmcnt(0) lgkmcnt(0)
	v_fma_f64 v[55:56], v[73:74], v[75:76], v[55:56]
	s_and_not1_b32 exec_lo, exec_lo, s1
	s_cbranch_execnz .LBB26_35
; %bb.36:
	s_or_b32 exec_lo, exec_lo, s1
.LBB26_37:
	s_delay_alu instid0(SALU_CYCLE_1)
	s_or_b32 exec_lo, exec_lo, s4
	v_mov_b32_e32 v71, 0
	ds_load_b64 v[71:72], v71 offset:176
	s_waitcnt lgkmcnt(0)
	v_mul_f64 v[55:56], v[55:56], v[71:72]
	scratch_store_b64 off, v[55:56], off offset:176
.LBB26_38:
	s_or_b32 exec_lo, exec_lo, s3
	scratch_load_b64 v[55:56], off, off offset:168
	v_cmp_lt_u32_e64 s1, 21, v0
	s_waitcnt vmcnt(0)
	ds_store_b64 v58, v[55:56]
	s_waitcnt lgkmcnt(0)
	s_waitcnt_vscnt null, 0x0
	s_barrier
	buffer_gl0_inv
	s_and_saveexec_b32 s3, s1
	s_cbranch_execz .LBB26_48
; %bb.39:
	s_and_not1_b32 vcc_lo, exec_lo, s2
	s_cbranch_vccnz .LBB26_41
; %bb.40:
	scratch_load_b64 v[55:56], v59, off
	ds_load_b64 v[71:72], v58
	s_waitcnt vmcnt(0) lgkmcnt(0)
	v_mul_f64 v[55:56], v[55:56], v[71:72]
	s_cbranch_execz .LBB26_42
	s_branch .LBB26_43
.LBB26_41:
                                        ; implicit-def: $vgpr55_vgpr56
.LBB26_42:
	ds_load_b64 v[55:56], v58
.LBB26_43:
	s_and_saveexec_b32 s4, s0
	s_cbranch_execz .LBB26_47
; %bb.44:
	v_subrev_nc_u32_e32 v71, 22, v0
	s_movk_i32 s5, 0x190
	s_mov_b32 s0, 0
.LBB26_45:                              ; =>This Inner Loop Header: Depth=1
	scratch_load_b64 v[72:73], v70, off
	v_dual_mov_b32 v74, s5 :: v_dual_add_nc_u32 v71, -1, v71
	v_add_nc_u32_e32 v70, 8, v70
	s_add_i32 s5, s5, 8
	ds_load_b64 v[74:75], v74
	v_cmp_eq_u32_e32 vcc_lo, 0, v71
	s_or_b32 s0, vcc_lo, s0
	s_waitcnt vmcnt(0) lgkmcnt(0)
	v_fma_f64 v[55:56], v[72:73], v[74:75], v[55:56]
	s_and_not1_b32 exec_lo, exec_lo, s0
	s_cbranch_execnz .LBB26_45
; %bb.46:
	s_or_b32 exec_lo, exec_lo, s0
.LBB26_47:
	s_delay_alu instid0(SALU_CYCLE_1)
	s_or_b32 exec_lo, exec_lo, s4
	v_mov_b32_e32 v70, 0
	ds_load_b64 v[70:71], v70 offset:168
	s_waitcnt lgkmcnt(0)
	v_mul_f64 v[55:56], v[55:56], v[70:71]
	scratch_store_b64 off, v[55:56], off offset:168
.LBB26_48:
	s_or_b32 exec_lo, exec_lo, s3
	scratch_load_b64 v[55:56], off, off offset:160
	v_cmp_lt_u32_e64 s0, 20, v0
	s_waitcnt vmcnt(0)
	ds_store_b64 v58, v[55:56]
	s_waitcnt lgkmcnt(0)
	s_waitcnt_vscnt null, 0x0
	s_barrier
	buffer_gl0_inv
	s_and_saveexec_b32 s3, s0
	s_cbranch_execz .LBB26_58
; %bb.49:
	s_and_not1_b32 vcc_lo, exec_lo, s2
	s_cbranch_vccnz .LBB26_51
; %bb.50:
	scratch_load_b64 v[55:56], v59, off
	ds_load_b64 v[70:71], v58
	s_waitcnt vmcnt(0) lgkmcnt(0)
	v_mul_f64 v[55:56], v[55:56], v[70:71]
	s_cbranch_execz .LBB26_52
	s_branch .LBB26_53
.LBB26_51:
                                        ; implicit-def: $vgpr55_vgpr56
.LBB26_52:
	ds_load_b64 v[55:56], v58
.LBB26_53:
	s_and_saveexec_b32 s4, s1
	s_cbranch_execz .LBB26_57
; %bb.54:
	v_mov_b32_e32 v70, 0
	v_subrev_nc_u32_e32 v71, 21, v0
	s_movk_i32 s5, 0x188
	s_mov_b32 s1, 0
	s_delay_alu instid0(VALU_DEP_2)
	v_add_nc_u32_e32 v70, 0xa8, v70
.LBB26_55:                              ; =>This Inner Loop Header: Depth=1
	scratch_load_b64 v[72:73], v70, off
	v_dual_mov_b32 v74, s5 :: v_dual_add_nc_u32 v71, -1, v71
	v_add_nc_u32_e32 v70, 8, v70
	s_add_i32 s5, s5, 8
	ds_load_b64 v[74:75], v74
	v_cmp_eq_u32_e32 vcc_lo, 0, v71
	s_or_b32 s1, vcc_lo, s1
	s_waitcnt vmcnt(0) lgkmcnt(0)
	v_fma_f64 v[55:56], v[72:73], v[74:75], v[55:56]
	s_and_not1_b32 exec_lo, exec_lo, s1
	s_cbranch_execnz .LBB26_55
; %bb.56:
	s_or_b32 exec_lo, exec_lo, s1
.LBB26_57:
	s_delay_alu instid0(SALU_CYCLE_1)
	s_or_b32 exec_lo, exec_lo, s4
	v_mov_b32_e32 v70, 0
	ds_load_b64 v[70:71], v70 offset:160
	s_waitcnt lgkmcnt(0)
	v_mul_f64 v[55:56], v[55:56], v[70:71]
	scratch_store_b64 off, v[55:56], off offset:160
.LBB26_58:
	s_or_b32 exec_lo, exec_lo, s3
	scratch_load_b64 v[55:56], off, off offset:152
	v_cmp_lt_u32_e64 s1, 19, v0
	s_waitcnt vmcnt(0)
	ds_store_b64 v58, v[55:56]
	s_waitcnt lgkmcnt(0)
	s_waitcnt_vscnt null, 0x0
	s_barrier
	buffer_gl0_inv
	s_and_saveexec_b32 s3, s1
	s_cbranch_execz .LBB26_68
; %bb.59:
	s_and_not1_b32 vcc_lo, exec_lo, s2
	s_cbranch_vccnz .LBB26_61
; %bb.60:
	scratch_load_b64 v[55:56], v59, off
	ds_load_b64 v[70:71], v58
	s_waitcnt vmcnt(0) lgkmcnt(0)
	v_mul_f64 v[55:56], v[55:56], v[70:71]
	s_cbranch_execz .LBB26_62
	s_branch .LBB26_63
.LBB26_61:
                                        ; implicit-def: $vgpr55_vgpr56
.LBB26_62:
	ds_load_b64 v[55:56], v58
.LBB26_63:
	s_and_saveexec_b32 s4, s0
	s_cbranch_execz .LBB26_67
; %bb.64:
	v_subrev_nc_u32_e32 v70, 20, v0
	s_movk_i32 s5, 0x180
	s_mov_b32 s0, 0
.LBB26_65:                              ; =>This Inner Loop Header: Depth=1
	scratch_load_b64 v[71:72], v69, off
	v_dual_mov_b32 v73, s5 :: v_dual_add_nc_u32 v70, -1, v70
	v_add_nc_u32_e32 v69, 8, v69
	s_add_i32 s5, s5, 8
	ds_load_b64 v[73:74], v73
	v_cmp_eq_u32_e32 vcc_lo, 0, v70
	s_or_b32 s0, vcc_lo, s0
	s_waitcnt vmcnt(0) lgkmcnt(0)
	v_fma_f64 v[55:56], v[71:72], v[73:74], v[55:56]
	s_and_not1_b32 exec_lo, exec_lo, s0
	s_cbranch_execnz .LBB26_65
; %bb.66:
	s_or_b32 exec_lo, exec_lo, s0
.LBB26_67:
	s_delay_alu instid0(SALU_CYCLE_1)
	s_or_b32 exec_lo, exec_lo, s4
	v_mov_b32_e32 v69, 0
	ds_load_b64 v[69:70], v69 offset:152
	s_waitcnt lgkmcnt(0)
	v_mul_f64 v[55:56], v[55:56], v[69:70]
	scratch_store_b64 off, v[55:56], off offset:152
.LBB26_68:
	s_or_b32 exec_lo, exec_lo, s3
	scratch_load_b64 v[55:56], off, off offset:144
	v_cmp_lt_u32_e64 s0, 18, v0
	s_waitcnt vmcnt(0)
	ds_store_b64 v58, v[55:56]
	s_waitcnt lgkmcnt(0)
	s_waitcnt_vscnt null, 0x0
	s_barrier
	buffer_gl0_inv
	s_and_saveexec_b32 s3, s0
	s_cbranch_execz .LBB26_78
; %bb.69:
	s_and_not1_b32 vcc_lo, exec_lo, s2
	s_cbranch_vccnz .LBB26_71
; %bb.70:
	scratch_load_b64 v[55:56], v59, off
	ds_load_b64 v[69:70], v58
	s_waitcnt vmcnt(0) lgkmcnt(0)
	v_mul_f64 v[55:56], v[55:56], v[69:70]
	s_cbranch_execz .LBB26_72
	s_branch .LBB26_73
.LBB26_71:
                                        ; implicit-def: $vgpr55_vgpr56
.LBB26_72:
	ds_load_b64 v[55:56], v58
.LBB26_73:
	s_and_saveexec_b32 s4, s1
	s_cbranch_execz .LBB26_77
; %bb.74:
	v_mov_b32_e32 v69, 0
	v_subrev_nc_u32_e32 v70, 19, v0
	s_movk_i32 s5, 0x178
	s_mov_b32 s1, 0
	s_delay_alu instid0(VALU_DEP_2)
	v_add_nc_u32_e32 v69, 0x98, v69
.LBB26_75:                              ; =>This Inner Loop Header: Depth=1
	scratch_load_b64 v[71:72], v69, off
	v_dual_mov_b32 v73, s5 :: v_dual_add_nc_u32 v70, -1, v70
	v_add_nc_u32_e32 v69, 8, v69
	s_add_i32 s5, s5, 8
	ds_load_b64 v[73:74], v73
	v_cmp_eq_u32_e32 vcc_lo, 0, v70
	s_or_b32 s1, vcc_lo, s1
	s_waitcnt vmcnt(0) lgkmcnt(0)
	v_fma_f64 v[55:56], v[71:72], v[73:74], v[55:56]
	s_and_not1_b32 exec_lo, exec_lo, s1
	s_cbranch_execnz .LBB26_75
; %bb.76:
	s_or_b32 exec_lo, exec_lo, s1
.LBB26_77:
	s_delay_alu instid0(SALU_CYCLE_1)
	s_or_b32 exec_lo, exec_lo, s4
	v_mov_b32_e32 v69, 0
	ds_load_b64 v[69:70], v69 offset:144
	s_waitcnt lgkmcnt(0)
	v_mul_f64 v[55:56], v[55:56], v[69:70]
	scratch_store_b64 off, v[55:56], off offset:144
.LBB26_78:
	s_or_b32 exec_lo, exec_lo, s3
	scratch_load_b64 v[55:56], off, off offset:136
	v_cmp_lt_u32_e64 s1, 17, v0
	s_waitcnt vmcnt(0)
	ds_store_b64 v58, v[55:56]
	s_waitcnt lgkmcnt(0)
	s_waitcnt_vscnt null, 0x0
	s_barrier
	buffer_gl0_inv
	s_and_saveexec_b32 s3, s1
	s_cbranch_execz .LBB26_88
; %bb.79:
	s_and_not1_b32 vcc_lo, exec_lo, s2
	s_cbranch_vccnz .LBB26_81
; %bb.80:
	scratch_load_b64 v[55:56], v59, off
	ds_load_b64 v[69:70], v58
	s_waitcnt vmcnt(0) lgkmcnt(0)
	v_mul_f64 v[55:56], v[55:56], v[69:70]
	s_cbranch_execz .LBB26_82
	s_branch .LBB26_83
.LBB26_81:
                                        ; implicit-def: $vgpr55_vgpr56
.LBB26_82:
	ds_load_b64 v[55:56], v58
.LBB26_83:
	s_and_saveexec_b32 s4, s0
	s_cbranch_execz .LBB26_87
; %bb.84:
	v_subrev_nc_u32_e32 v69, 18, v0
	s_movk_i32 s5, 0x170
	s_mov_b32 s0, 0
.LBB26_85:                              ; =>This Inner Loop Header: Depth=1
	scratch_load_b64 v[70:71], v68, off
	v_dual_mov_b32 v72, s5 :: v_dual_add_nc_u32 v69, -1, v69
	v_add_nc_u32_e32 v68, 8, v68
	s_add_i32 s5, s5, 8
	ds_load_b64 v[72:73], v72
	v_cmp_eq_u32_e32 vcc_lo, 0, v69
	s_or_b32 s0, vcc_lo, s0
	s_waitcnt vmcnt(0) lgkmcnt(0)
	v_fma_f64 v[55:56], v[70:71], v[72:73], v[55:56]
	s_and_not1_b32 exec_lo, exec_lo, s0
	s_cbranch_execnz .LBB26_85
; %bb.86:
	s_or_b32 exec_lo, exec_lo, s0
.LBB26_87:
	s_delay_alu instid0(SALU_CYCLE_1)
	s_or_b32 exec_lo, exec_lo, s4
	v_mov_b32_e32 v68, 0
	ds_load_b64 v[68:69], v68 offset:136
	s_waitcnt lgkmcnt(0)
	v_mul_f64 v[55:56], v[55:56], v[68:69]
	scratch_store_b64 off, v[55:56], off offset:136
.LBB26_88:
	s_or_b32 exec_lo, exec_lo, s3
	scratch_load_b64 v[55:56], off, off offset:128
	v_cmp_lt_u32_e64 s0, 16, v0
	s_waitcnt vmcnt(0)
	ds_store_b64 v58, v[55:56]
	s_waitcnt lgkmcnt(0)
	s_waitcnt_vscnt null, 0x0
	s_barrier
	buffer_gl0_inv
	s_and_saveexec_b32 s3, s0
	s_cbranch_execz .LBB26_98
; %bb.89:
	s_and_not1_b32 vcc_lo, exec_lo, s2
	s_cbranch_vccnz .LBB26_91
; %bb.90:
	scratch_load_b64 v[55:56], v59, off
	ds_load_b64 v[68:69], v58
	s_waitcnt vmcnt(0) lgkmcnt(0)
	v_mul_f64 v[55:56], v[55:56], v[68:69]
	s_cbranch_execz .LBB26_92
	s_branch .LBB26_93
.LBB26_91:
                                        ; implicit-def: $vgpr55_vgpr56
.LBB26_92:
	ds_load_b64 v[55:56], v58
.LBB26_93:
	s_and_saveexec_b32 s4, s1
	s_cbranch_execz .LBB26_97
; %bb.94:
	v_mov_b32_e32 v68, 0
	v_subrev_nc_u32_e32 v69, 17, v0
	s_movk_i32 s5, 0x168
	s_mov_b32 s1, 0
	s_delay_alu instid0(VALU_DEP_2)
	v_add_nc_u32_e32 v68, 0x88, v68
.LBB26_95:                              ; =>This Inner Loop Header: Depth=1
	scratch_load_b64 v[70:71], v68, off
	v_dual_mov_b32 v72, s5 :: v_dual_add_nc_u32 v69, -1, v69
	v_add_nc_u32_e32 v68, 8, v68
	s_add_i32 s5, s5, 8
	ds_load_b64 v[72:73], v72
	v_cmp_eq_u32_e32 vcc_lo, 0, v69
	s_or_b32 s1, vcc_lo, s1
	s_waitcnt vmcnt(0) lgkmcnt(0)
	v_fma_f64 v[55:56], v[70:71], v[72:73], v[55:56]
	s_and_not1_b32 exec_lo, exec_lo, s1
	s_cbranch_execnz .LBB26_95
; %bb.96:
	s_or_b32 exec_lo, exec_lo, s1
.LBB26_97:
	s_delay_alu instid0(SALU_CYCLE_1)
	s_or_b32 exec_lo, exec_lo, s4
	v_mov_b32_e32 v68, 0
	ds_load_b64 v[68:69], v68 offset:128
	s_waitcnt lgkmcnt(0)
	v_mul_f64 v[55:56], v[55:56], v[68:69]
	scratch_store_b64 off, v[55:56], off offset:128
.LBB26_98:
	s_or_b32 exec_lo, exec_lo, s3
	scratch_load_b64 v[55:56], off, off offset:120
	v_cmp_lt_u32_e64 s1, 15, v0
	s_waitcnt vmcnt(0)
	ds_store_b64 v58, v[55:56]
	s_waitcnt lgkmcnt(0)
	s_waitcnt_vscnt null, 0x0
	s_barrier
	buffer_gl0_inv
	s_and_saveexec_b32 s3, s1
	s_cbranch_execz .LBB26_108
; %bb.99:
	s_and_not1_b32 vcc_lo, exec_lo, s2
	s_cbranch_vccnz .LBB26_101
; %bb.100:
	scratch_load_b64 v[55:56], v59, off
	ds_load_b64 v[68:69], v58
	s_waitcnt vmcnt(0) lgkmcnt(0)
	v_mul_f64 v[55:56], v[55:56], v[68:69]
	s_cbranch_execz .LBB26_102
	s_branch .LBB26_103
.LBB26_101:
                                        ; implicit-def: $vgpr55_vgpr56
.LBB26_102:
	ds_load_b64 v[55:56], v58
.LBB26_103:
	s_and_saveexec_b32 s4, s0
	s_cbranch_execz .LBB26_107
; %bb.104:
	v_add_nc_u32_e32 v68, -16, v0
	s_movk_i32 s5, 0x160
	s_mov_b32 s0, 0
.LBB26_105:                             ; =>This Inner Loop Header: Depth=1
	scratch_load_b64 v[69:70], v67, off
	v_dual_mov_b32 v71, s5 :: v_dual_add_nc_u32 v68, -1, v68
	v_add_nc_u32_e32 v67, 8, v67
	s_add_i32 s5, s5, 8
	ds_load_b64 v[71:72], v71
	v_cmp_eq_u32_e32 vcc_lo, 0, v68
	s_or_b32 s0, vcc_lo, s0
	s_waitcnt vmcnt(0) lgkmcnt(0)
	v_fma_f64 v[55:56], v[69:70], v[71:72], v[55:56]
	s_and_not1_b32 exec_lo, exec_lo, s0
	s_cbranch_execnz .LBB26_105
; %bb.106:
	s_or_b32 exec_lo, exec_lo, s0
.LBB26_107:
	s_delay_alu instid0(SALU_CYCLE_1)
	s_or_b32 exec_lo, exec_lo, s4
	v_mov_b32_e32 v67, 0
	ds_load_b64 v[67:68], v67 offset:120
	s_waitcnt lgkmcnt(0)
	v_mul_f64 v[55:56], v[55:56], v[67:68]
	scratch_store_b64 off, v[55:56], off offset:120
.LBB26_108:
	s_or_b32 exec_lo, exec_lo, s3
	scratch_load_b64 v[55:56], off, off offset:112
	v_cmp_lt_u32_e64 s0, 14, v0
	s_waitcnt vmcnt(0)
	ds_store_b64 v58, v[55:56]
	s_waitcnt lgkmcnt(0)
	s_waitcnt_vscnt null, 0x0
	s_barrier
	buffer_gl0_inv
	s_and_saveexec_b32 s3, s0
	s_cbranch_execz .LBB26_118
; %bb.109:
	s_and_not1_b32 vcc_lo, exec_lo, s2
	s_cbranch_vccnz .LBB26_111
; %bb.110:
	scratch_load_b64 v[55:56], v59, off
	ds_load_b64 v[67:68], v58
	s_waitcnt vmcnt(0) lgkmcnt(0)
	v_mul_f64 v[55:56], v[55:56], v[67:68]
	s_cbranch_execz .LBB26_112
	s_branch .LBB26_113
.LBB26_111:
                                        ; implicit-def: $vgpr55_vgpr56
.LBB26_112:
	ds_load_b64 v[55:56], v58
.LBB26_113:
	s_and_saveexec_b32 s4, s1
	s_cbranch_execz .LBB26_117
; %bb.114:
	v_dual_mov_b32 v67, 0 :: v_dual_add_nc_u32 v68, -15, v0
	s_movk_i32 s5, 0x158
	s_mov_b32 s1, 0
	s_delay_alu instid0(VALU_DEP_1)
	v_add_nc_u32_e32 v67, 0x78, v67
.LBB26_115:                             ; =>This Inner Loop Header: Depth=1
	scratch_load_b64 v[69:70], v67, off
	v_dual_mov_b32 v71, s5 :: v_dual_add_nc_u32 v68, -1, v68
	v_add_nc_u32_e32 v67, 8, v67
	s_add_i32 s5, s5, 8
	ds_load_b64 v[71:72], v71
	v_cmp_eq_u32_e32 vcc_lo, 0, v68
	s_or_b32 s1, vcc_lo, s1
	s_waitcnt vmcnt(0) lgkmcnt(0)
	v_fma_f64 v[55:56], v[69:70], v[71:72], v[55:56]
	s_and_not1_b32 exec_lo, exec_lo, s1
	s_cbranch_execnz .LBB26_115
; %bb.116:
	s_or_b32 exec_lo, exec_lo, s1
.LBB26_117:
	s_delay_alu instid0(SALU_CYCLE_1)
	s_or_b32 exec_lo, exec_lo, s4
	v_mov_b32_e32 v67, 0
	ds_load_b64 v[67:68], v67 offset:112
	s_waitcnt lgkmcnt(0)
	v_mul_f64 v[55:56], v[55:56], v[67:68]
	scratch_store_b64 off, v[55:56], off offset:112
.LBB26_118:
	s_or_b32 exec_lo, exec_lo, s3
	scratch_load_b64 v[55:56], off, off offset:104
	v_cmp_lt_u32_e64 s1, 13, v0
	s_waitcnt vmcnt(0)
	ds_store_b64 v58, v[55:56]
	s_waitcnt lgkmcnt(0)
	s_waitcnt_vscnt null, 0x0
	s_barrier
	buffer_gl0_inv
	s_and_saveexec_b32 s3, s1
	s_cbranch_execz .LBB26_128
; %bb.119:
	s_and_not1_b32 vcc_lo, exec_lo, s2
	s_cbranch_vccnz .LBB26_121
; %bb.120:
	scratch_load_b64 v[55:56], v59, off
	ds_load_b64 v[67:68], v58
	s_waitcnt vmcnt(0) lgkmcnt(0)
	v_mul_f64 v[55:56], v[55:56], v[67:68]
	s_cbranch_execz .LBB26_122
	s_branch .LBB26_123
.LBB26_121:
                                        ; implicit-def: $vgpr55_vgpr56
.LBB26_122:
	ds_load_b64 v[55:56], v58
.LBB26_123:
	s_and_saveexec_b32 s4, s0
	s_cbranch_execz .LBB26_127
; %bb.124:
	v_add_nc_u32_e32 v67, -14, v0
	s_movk_i32 s5, 0x150
	s_mov_b32 s0, 0
.LBB26_125:                             ; =>This Inner Loop Header: Depth=1
	scratch_load_b64 v[68:69], v66, off
	v_dual_mov_b32 v70, s5 :: v_dual_add_nc_u32 v67, -1, v67
	v_add_nc_u32_e32 v66, 8, v66
	s_add_i32 s5, s5, 8
	ds_load_b64 v[70:71], v70
	v_cmp_eq_u32_e32 vcc_lo, 0, v67
	s_or_b32 s0, vcc_lo, s0
	s_waitcnt vmcnt(0) lgkmcnt(0)
	v_fma_f64 v[55:56], v[68:69], v[70:71], v[55:56]
	s_and_not1_b32 exec_lo, exec_lo, s0
	s_cbranch_execnz .LBB26_125
; %bb.126:
	s_or_b32 exec_lo, exec_lo, s0
.LBB26_127:
	s_delay_alu instid0(SALU_CYCLE_1)
	s_or_b32 exec_lo, exec_lo, s4
	v_mov_b32_e32 v66, 0
	ds_load_b64 v[66:67], v66 offset:104
	s_waitcnt lgkmcnt(0)
	v_mul_f64 v[55:56], v[55:56], v[66:67]
	scratch_store_b64 off, v[55:56], off offset:104
.LBB26_128:
	s_or_b32 exec_lo, exec_lo, s3
	scratch_load_b64 v[55:56], off, off offset:96
	v_cmp_lt_u32_e64 s0, 12, v0
	s_waitcnt vmcnt(0)
	ds_store_b64 v58, v[55:56]
	s_waitcnt lgkmcnt(0)
	s_waitcnt_vscnt null, 0x0
	s_barrier
	buffer_gl0_inv
	s_and_saveexec_b32 s3, s0
	s_cbranch_execz .LBB26_138
; %bb.129:
	s_and_not1_b32 vcc_lo, exec_lo, s2
	s_cbranch_vccnz .LBB26_131
; %bb.130:
	scratch_load_b64 v[55:56], v59, off
	ds_load_b64 v[66:67], v58
	s_waitcnt vmcnt(0) lgkmcnt(0)
	v_mul_f64 v[55:56], v[55:56], v[66:67]
	s_cbranch_execz .LBB26_132
	s_branch .LBB26_133
.LBB26_131:
                                        ; implicit-def: $vgpr55_vgpr56
.LBB26_132:
	ds_load_b64 v[55:56], v58
.LBB26_133:
	s_and_saveexec_b32 s4, s1
	s_cbranch_execz .LBB26_137
; %bb.134:
	v_dual_mov_b32 v66, 0 :: v_dual_add_nc_u32 v67, -13, v0
	s_movk_i32 s5, 0x148
	s_mov_b32 s1, 0
	s_delay_alu instid0(VALU_DEP_1)
	v_add_nc_u32_e32 v66, 0x68, v66
.LBB26_135:                             ; =>This Inner Loop Header: Depth=1
	scratch_load_b64 v[68:69], v66, off
	v_dual_mov_b32 v70, s5 :: v_dual_add_nc_u32 v67, -1, v67
	v_add_nc_u32_e32 v66, 8, v66
	s_add_i32 s5, s5, 8
	ds_load_b64 v[70:71], v70
	v_cmp_eq_u32_e32 vcc_lo, 0, v67
	s_or_b32 s1, vcc_lo, s1
	s_waitcnt vmcnt(0) lgkmcnt(0)
	v_fma_f64 v[55:56], v[68:69], v[70:71], v[55:56]
	s_and_not1_b32 exec_lo, exec_lo, s1
	s_cbranch_execnz .LBB26_135
; %bb.136:
	s_or_b32 exec_lo, exec_lo, s1
.LBB26_137:
	s_delay_alu instid0(SALU_CYCLE_1)
	s_or_b32 exec_lo, exec_lo, s4
	v_mov_b32_e32 v66, 0
	ds_load_b64 v[66:67], v66 offset:96
	s_waitcnt lgkmcnt(0)
	v_mul_f64 v[55:56], v[55:56], v[66:67]
	scratch_store_b64 off, v[55:56], off offset:96
.LBB26_138:
	s_or_b32 exec_lo, exec_lo, s3
	scratch_load_b64 v[55:56], off, off offset:88
	v_cmp_lt_u32_e64 s1, 11, v0
	s_waitcnt vmcnt(0)
	ds_store_b64 v58, v[55:56]
	s_waitcnt lgkmcnt(0)
	s_waitcnt_vscnt null, 0x0
	s_barrier
	buffer_gl0_inv
	s_and_saveexec_b32 s3, s1
	s_cbranch_execz .LBB26_148
; %bb.139:
	s_and_not1_b32 vcc_lo, exec_lo, s2
	s_cbranch_vccnz .LBB26_141
; %bb.140:
	scratch_load_b64 v[55:56], v59, off
	ds_load_b64 v[66:67], v58
	s_waitcnt vmcnt(0) lgkmcnt(0)
	v_mul_f64 v[55:56], v[55:56], v[66:67]
	s_cbranch_execz .LBB26_142
	s_branch .LBB26_143
.LBB26_141:
                                        ; implicit-def: $vgpr55_vgpr56
.LBB26_142:
	ds_load_b64 v[55:56], v58
.LBB26_143:
	s_and_saveexec_b32 s4, s0
	s_cbranch_execz .LBB26_147
; %bb.144:
	v_add_nc_u32_e32 v66, -12, v0
	s_movk_i32 s5, 0x140
	s_mov_b32 s0, 0
.LBB26_145:                             ; =>This Inner Loop Header: Depth=1
	scratch_load_b64 v[67:68], v65, off
	v_dual_mov_b32 v69, s5 :: v_dual_add_nc_u32 v66, -1, v66
	v_add_nc_u32_e32 v65, 8, v65
	s_add_i32 s5, s5, 8
	ds_load_b64 v[69:70], v69
	v_cmp_eq_u32_e32 vcc_lo, 0, v66
	s_or_b32 s0, vcc_lo, s0
	s_waitcnt vmcnt(0) lgkmcnt(0)
	v_fma_f64 v[55:56], v[67:68], v[69:70], v[55:56]
	s_and_not1_b32 exec_lo, exec_lo, s0
	s_cbranch_execnz .LBB26_145
; %bb.146:
	s_or_b32 exec_lo, exec_lo, s0
.LBB26_147:
	s_delay_alu instid0(SALU_CYCLE_1)
	s_or_b32 exec_lo, exec_lo, s4
	v_mov_b32_e32 v65, 0
	ds_load_b64 v[65:66], v65 offset:88
	s_waitcnt lgkmcnt(0)
	v_mul_f64 v[55:56], v[55:56], v[65:66]
	scratch_store_b64 off, v[55:56], off offset:88
.LBB26_148:
	s_or_b32 exec_lo, exec_lo, s3
	scratch_load_b64 v[55:56], off, off offset:80
	v_cmp_lt_u32_e64 s0, 10, v0
	s_waitcnt vmcnt(0)
	ds_store_b64 v58, v[55:56]
	s_waitcnt lgkmcnt(0)
	s_waitcnt_vscnt null, 0x0
	s_barrier
	buffer_gl0_inv
	s_and_saveexec_b32 s3, s0
	s_cbranch_execz .LBB26_158
; %bb.149:
	s_and_not1_b32 vcc_lo, exec_lo, s2
	s_cbranch_vccnz .LBB26_151
; %bb.150:
	scratch_load_b64 v[55:56], v59, off
	ds_load_b64 v[65:66], v58
	s_waitcnt vmcnt(0) lgkmcnt(0)
	v_mul_f64 v[55:56], v[55:56], v[65:66]
	s_cbranch_execz .LBB26_152
	s_branch .LBB26_153
.LBB26_151:
                                        ; implicit-def: $vgpr55_vgpr56
.LBB26_152:
	ds_load_b64 v[55:56], v58
.LBB26_153:
	s_and_saveexec_b32 s4, s1
	s_cbranch_execz .LBB26_157
; %bb.154:
	v_dual_mov_b32 v65, 0 :: v_dual_add_nc_u32 v66, -11, v0
	s_movk_i32 s5, 0x138
	s_mov_b32 s1, 0
	s_delay_alu instid0(VALU_DEP_1)
	v_add_nc_u32_e32 v65, 0x58, v65
.LBB26_155:                             ; =>This Inner Loop Header: Depth=1
	scratch_load_b64 v[67:68], v65, off
	v_dual_mov_b32 v69, s5 :: v_dual_add_nc_u32 v66, -1, v66
	v_add_nc_u32_e32 v65, 8, v65
	s_add_i32 s5, s5, 8
	ds_load_b64 v[69:70], v69
	v_cmp_eq_u32_e32 vcc_lo, 0, v66
	s_or_b32 s1, vcc_lo, s1
	s_waitcnt vmcnt(0) lgkmcnt(0)
	v_fma_f64 v[55:56], v[67:68], v[69:70], v[55:56]
	s_and_not1_b32 exec_lo, exec_lo, s1
	s_cbranch_execnz .LBB26_155
; %bb.156:
	s_or_b32 exec_lo, exec_lo, s1
.LBB26_157:
	s_delay_alu instid0(SALU_CYCLE_1)
	s_or_b32 exec_lo, exec_lo, s4
	v_mov_b32_e32 v65, 0
	ds_load_b64 v[65:66], v65 offset:80
	s_waitcnt lgkmcnt(0)
	v_mul_f64 v[55:56], v[55:56], v[65:66]
	scratch_store_b64 off, v[55:56], off offset:80
.LBB26_158:
	s_or_b32 exec_lo, exec_lo, s3
	scratch_load_b64 v[55:56], off, off offset:72
	v_cmp_lt_u32_e64 s1, 9, v0
	s_waitcnt vmcnt(0)
	ds_store_b64 v58, v[55:56]
	s_waitcnt lgkmcnt(0)
	s_waitcnt_vscnt null, 0x0
	s_barrier
	buffer_gl0_inv
	s_and_saveexec_b32 s3, s1
	s_cbranch_execz .LBB26_168
; %bb.159:
	s_and_not1_b32 vcc_lo, exec_lo, s2
	s_cbranch_vccnz .LBB26_161
; %bb.160:
	scratch_load_b64 v[55:56], v59, off
	ds_load_b64 v[65:66], v58
	s_waitcnt vmcnt(0) lgkmcnt(0)
	v_mul_f64 v[55:56], v[55:56], v[65:66]
	s_cbranch_execz .LBB26_162
	s_branch .LBB26_163
.LBB26_161:
                                        ; implicit-def: $vgpr55_vgpr56
.LBB26_162:
	ds_load_b64 v[55:56], v58
.LBB26_163:
	s_and_saveexec_b32 s4, s0
	s_cbranch_execz .LBB26_167
; %bb.164:
	v_add_nc_u32_e32 v65, -10, v0
	s_movk_i32 s5, 0x130
	s_mov_b32 s0, 0
.LBB26_165:                             ; =>This Inner Loop Header: Depth=1
	scratch_load_b64 v[66:67], v64, off
	v_dual_mov_b32 v68, s5 :: v_dual_add_nc_u32 v65, -1, v65
	v_add_nc_u32_e32 v64, 8, v64
	s_add_i32 s5, s5, 8
	ds_load_b64 v[68:69], v68
	v_cmp_eq_u32_e32 vcc_lo, 0, v65
	s_or_b32 s0, vcc_lo, s0
	s_waitcnt vmcnt(0) lgkmcnt(0)
	v_fma_f64 v[55:56], v[66:67], v[68:69], v[55:56]
	s_and_not1_b32 exec_lo, exec_lo, s0
	s_cbranch_execnz .LBB26_165
; %bb.166:
	s_or_b32 exec_lo, exec_lo, s0
.LBB26_167:
	s_delay_alu instid0(SALU_CYCLE_1)
	s_or_b32 exec_lo, exec_lo, s4
	v_mov_b32_e32 v64, 0
	ds_load_b64 v[64:65], v64 offset:72
	s_waitcnt lgkmcnt(0)
	v_mul_f64 v[55:56], v[55:56], v[64:65]
	scratch_store_b64 off, v[55:56], off offset:72
.LBB26_168:
	s_or_b32 exec_lo, exec_lo, s3
	scratch_load_b64 v[55:56], off, off offset:64
	v_cmp_lt_u32_e64 s0, 8, v0
	s_waitcnt vmcnt(0)
	ds_store_b64 v58, v[55:56]
	s_waitcnt lgkmcnt(0)
	s_waitcnt_vscnt null, 0x0
	s_barrier
	buffer_gl0_inv
	s_and_saveexec_b32 s3, s0
	s_cbranch_execz .LBB26_178
; %bb.169:
	s_and_not1_b32 vcc_lo, exec_lo, s2
	s_cbranch_vccnz .LBB26_171
; %bb.170:
	scratch_load_b64 v[55:56], v59, off
	ds_load_b64 v[64:65], v58
	s_waitcnt vmcnt(0) lgkmcnt(0)
	v_mul_f64 v[55:56], v[55:56], v[64:65]
	s_cbranch_execz .LBB26_172
	s_branch .LBB26_173
.LBB26_171:
                                        ; implicit-def: $vgpr55_vgpr56
.LBB26_172:
	ds_load_b64 v[55:56], v58
.LBB26_173:
	s_and_saveexec_b32 s4, s1
	s_cbranch_execz .LBB26_177
; %bb.174:
	v_dual_mov_b32 v64, 0 :: v_dual_add_nc_u32 v65, -9, v0
	s_movk_i32 s5, 0x128
	s_mov_b32 s1, 0
	s_delay_alu instid0(VALU_DEP_1)
	v_add_nc_u32_e32 v64, 0x48, v64
.LBB26_175:                             ; =>This Inner Loop Header: Depth=1
	scratch_load_b64 v[66:67], v64, off
	v_dual_mov_b32 v68, s5 :: v_dual_add_nc_u32 v65, -1, v65
	v_add_nc_u32_e32 v64, 8, v64
	s_add_i32 s5, s5, 8
	ds_load_b64 v[68:69], v68
	v_cmp_eq_u32_e32 vcc_lo, 0, v65
	s_or_b32 s1, vcc_lo, s1
	s_waitcnt vmcnt(0) lgkmcnt(0)
	v_fma_f64 v[55:56], v[66:67], v[68:69], v[55:56]
	s_and_not1_b32 exec_lo, exec_lo, s1
	s_cbranch_execnz .LBB26_175
; %bb.176:
	s_or_b32 exec_lo, exec_lo, s1
.LBB26_177:
	s_delay_alu instid0(SALU_CYCLE_1)
	s_or_b32 exec_lo, exec_lo, s4
	v_mov_b32_e32 v64, 0
	ds_load_b64 v[64:65], v64 offset:64
	s_waitcnt lgkmcnt(0)
	v_mul_f64 v[55:56], v[55:56], v[64:65]
	scratch_store_b64 off, v[55:56], off offset:64
.LBB26_178:
	s_or_b32 exec_lo, exec_lo, s3
	scratch_load_b64 v[55:56], off, off offset:56
	v_cmp_lt_u32_e64 s1, 7, v0
	s_waitcnt vmcnt(0)
	ds_store_b64 v58, v[55:56]
	s_waitcnt lgkmcnt(0)
	s_waitcnt_vscnt null, 0x0
	s_barrier
	buffer_gl0_inv
	s_and_saveexec_b32 s3, s1
	s_cbranch_execz .LBB26_188
; %bb.179:
	s_and_not1_b32 vcc_lo, exec_lo, s2
	s_cbranch_vccnz .LBB26_181
; %bb.180:
	scratch_load_b64 v[55:56], v59, off
	ds_load_b64 v[64:65], v58
	s_waitcnt vmcnt(0) lgkmcnt(0)
	v_mul_f64 v[55:56], v[55:56], v[64:65]
	s_cbranch_execz .LBB26_182
	s_branch .LBB26_183
.LBB26_181:
                                        ; implicit-def: $vgpr55_vgpr56
.LBB26_182:
	ds_load_b64 v[55:56], v58
.LBB26_183:
	s_and_saveexec_b32 s4, s0
	s_cbranch_execz .LBB26_187
; %bb.184:
	v_add_nc_u32_e32 v64, -8, v0
	s_movk_i32 s5, 0x120
	s_mov_b32 s0, 0
.LBB26_185:                             ; =>This Inner Loop Header: Depth=1
	scratch_load_b64 v[65:66], v63, off
	v_dual_mov_b32 v67, s5 :: v_dual_add_nc_u32 v64, -1, v64
	v_add_nc_u32_e32 v63, 8, v63
	s_add_i32 s5, s5, 8
	ds_load_b64 v[67:68], v67
	v_cmp_eq_u32_e32 vcc_lo, 0, v64
	s_or_b32 s0, vcc_lo, s0
	s_waitcnt vmcnt(0) lgkmcnt(0)
	v_fma_f64 v[55:56], v[65:66], v[67:68], v[55:56]
	s_and_not1_b32 exec_lo, exec_lo, s0
	s_cbranch_execnz .LBB26_185
; %bb.186:
	s_or_b32 exec_lo, exec_lo, s0
.LBB26_187:
	s_delay_alu instid0(SALU_CYCLE_1)
	s_or_b32 exec_lo, exec_lo, s4
	v_mov_b32_e32 v63, 0
	ds_load_b64 v[63:64], v63 offset:56
	s_waitcnt lgkmcnt(0)
	v_mul_f64 v[55:56], v[55:56], v[63:64]
	scratch_store_b64 off, v[55:56], off offset:56
.LBB26_188:
	s_or_b32 exec_lo, exec_lo, s3
	scratch_load_b64 v[55:56], off, off offset:48
	v_cmp_lt_u32_e64 s0, 6, v0
	s_waitcnt vmcnt(0)
	ds_store_b64 v58, v[55:56]
	s_waitcnt lgkmcnt(0)
	s_waitcnt_vscnt null, 0x0
	s_barrier
	buffer_gl0_inv
	s_and_saveexec_b32 s3, s0
	s_cbranch_execz .LBB26_198
; %bb.189:
	s_and_not1_b32 vcc_lo, exec_lo, s2
	s_cbranch_vccnz .LBB26_191
; %bb.190:
	scratch_load_b64 v[55:56], v59, off
	ds_load_b64 v[63:64], v58
	s_waitcnt vmcnt(0) lgkmcnt(0)
	v_mul_f64 v[55:56], v[55:56], v[63:64]
	s_cbranch_execz .LBB26_192
	s_branch .LBB26_193
.LBB26_191:
                                        ; implicit-def: $vgpr55_vgpr56
.LBB26_192:
	ds_load_b64 v[55:56], v58
.LBB26_193:
	s_and_saveexec_b32 s4, s1
	s_cbranch_execz .LBB26_197
; %bb.194:
	v_add_nc_u32_e64 v63, 0, 56
	v_add_nc_u32_e32 v64, -7, v0
	s_movk_i32 s5, 0x118
	s_mov_b32 s1, 0
.LBB26_195:                             ; =>This Inner Loop Header: Depth=1
	scratch_load_b64 v[65:66], v63, off
	v_dual_mov_b32 v67, s5 :: v_dual_add_nc_u32 v64, -1, v64
	v_add_nc_u32_e32 v63, 8, v63
	s_add_i32 s5, s5, 8
	ds_load_b64 v[67:68], v67
	v_cmp_eq_u32_e32 vcc_lo, 0, v64
	s_or_b32 s1, vcc_lo, s1
	s_waitcnt vmcnt(0) lgkmcnt(0)
	v_fma_f64 v[55:56], v[65:66], v[67:68], v[55:56]
	s_and_not1_b32 exec_lo, exec_lo, s1
	s_cbranch_execnz .LBB26_195
; %bb.196:
	s_or_b32 exec_lo, exec_lo, s1
.LBB26_197:
	s_delay_alu instid0(SALU_CYCLE_1)
	s_or_b32 exec_lo, exec_lo, s4
	v_mov_b32_e32 v63, 0
	ds_load_b64 v[63:64], v63 offset:48
	s_waitcnt lgkmcnt(0)
	v_mul_f64 v[55:56], v[55:56], v[63:64]
	scratch_store_b64 off, v[55:56], off offset:48
.LBB26_198:
	s_or_b32 exec_lo, exec_lo, s3
	scratch_load_b64 v[55:56], off, off offset:40
	v_cmp_lt_u32_e64 s1, 5, v0
	s_waitcnt vmcnt(0)
	ds_store_b64 v58, v[55:56]
	s_waitcnt lgkmcnt(0)
	s_waitcnt_vscnt null, 0x0
	s_barrier
	buffer_gl0_inv
	s_and_saveexec_b32 s3, s1
	s_cbranch_execz .LBB26_208
; %bb.199:
	s_and_not1_b32 vcc_lo, exec_lo, s2
	s_cbranch_vccnz .LBB26_201
; %bb.200:
	scratch_load_b64 v[55:56], v59, off
	ds_load_b64 v[63:64], v58
	s_waitcnt vmcnt(0) lgkmcnt(0)
	v_mul_f64 v[55:56], v[55:56], v[63:64]
	s_cbranch_execz .LBB26_202
	s_branch .LBB26_203
.LBB26_201:
                                        ; implicit-def: $vgpr55_vgpr56
.LBB26_202:
	ds_load_b64 v[55:56], v58
.LBB26_203:
	s_and_saveexec_b32 s4, s0
	s_cbranch_execz .LBB26_207
; %bb.204:
	v_add_nc_u32_e32 v63, -6, v0
	s_movk_i32 s5, 0x110
	s_mov_b32 s0, 0
.LBB26_205:                             ; =>This Inner Loop Header: Depth=1
	scratch_load_b64 v[64:65], v62, off
	v_dual_mov_b32 v66, s5 :: v_dual_add_nc_u32 v63, -1, v63
	v_add_nc_u32_e32 v62, 8, v62
	s_add_i32 s5, s5, 8
	ds_load_b64 v[66:67], v66
	v_cmp_eq_u32_e32 vcc_lo, 0, v63
	s_or_b32 s0, vcc_lo, s0
	s_waitcnt vmcnt(0) lgkmcnt(0)
	v_fma_f64 v[55:56], v[64:65], v[66:67], v[55:56]
	s_and_not1_b32 exec_lo, exec_lo, s0
	s_cbranch_execnz .LBB26_205
; %bb.206:
	s_or_b32 exec_lo, exec_lo, s0
.LBB26_207:
	s_delay_alu instid0(SALU_CYCLE_1)
	s_or_b32 exec_lo, exec_lo, s4
	v_mov_b32_e32 v62, 0
	ds_load_b64 v[62:63], v62 offset:40
	s_waitcnt lgkmcnt(0)
	v_mul_f64 v[55:56], v[55:56], v[62:63]
	scratch_store_b64 off, v[55:56], off offset:40
.LBB26_208:
	s_or_b32 exec_lo, exec_lo, s3
	scratch_load_b64 v[55:56], off, off offset:32
	v_cmp_lt_u32_e64 s0, 4, v0
	s_waitcnt vmcnt(0)
	ds_store_b64 v58, v[55:56]
	s_waitcnt lgkmcnt(0)
	s_waitcnt_vscnt null, 0x0
	s_barrier
	buffer_gl0_inv
	s_and_saveexec_b32 s3, s0
	s_cbranch_execz .LBB26_218
; %bb.209:
	s_and_not1_b32 vcc_lo, exec_lo, s2
	s_cbranch_vccnz .LBB26_211
; %bb.210:
	scratch_load_b64 v[55:56], v59, off
	ds_load_b64 v[62:63], v58
	s_waitcnt vmcnt(0) lgkmcnt(0)
	v_mul_f64 v[55:56], v[55:56], v[62:63]
	s_cbranch_execz .LBB26_212
	s_branch .LBB26_213
.LBB26_211:
                                        ; implicit-def: $vgpr55_vgpr56
.LBB26_212:
	ds_load_b64 v[55:56], v58
.LBB26_213:
	s_and_saveexec_b32 s4, s1
	s_cbranch_execz .LBB26_217
; %bb.214:
	v_add_nc_u32_e64 v62, 0, 40
	v_add_nc_u32_e32 v63, -5, v0
	s_movk_i32 s5, 0x108
	s_mov_b32 s1, 0
.LBB26_215:                             ; =>This Inner Loop Header: Depth=1
	scratch_load_b64 v[64:65], v62, off
	v_dual_mov_b32 v66, s5 :: v_dual_add_nc_u32 v63, -1, v63
	v_add_nc_u32_e32 v62, 8, v62
	s_add_i32 s5, s5, 8
	ds_load_b64 v[66:67], v66
	v_cmp_eq_u32_e32 vcc_lo, 0, v63
	s_or_b32 s1, vcc_lo, s1
	s_waitcnt vmcnt(0) lgkmcnt(0)
	v_fma_f64 v[55:56], v[64:65], v[66:67], v[55:56]
	s_and_not1_b32 exec_lo, exec_lo, s1
	s_cbranch_execnz .LBB26_215
; %bb.216:
	s_or_b32 exec_lo, exec_lo, s1
.LBB26_217:
	s_delay_alu instid0(SALU_CYCLE_1)
	s_or_b32 exec_lo, exec_lo, s4
	v_mov_b32_e32 v62, 0
	ds_load_b64 v[62:63], v62 offset:32
	s_waitcnt lgkmcnt(0)
	v_mul_f64 v[55:56], v[55:56], v[62:63]
	scratch_store_b64 off, v[55:56], off offset:32
.LBB26_218:
	s_or_b32 exec_lo, exec_lo, s3
	scratch_load_b64 v[55:56], off, off offset:24
	v_cmp_lt_u32_e64 s1, 3, v0
	s_waitcnt vmcnt(0)
	ds_store_b64 v58, v[55:56]
	s_waitcnt lgkmcnt(0)
	s_waitcnt_vscnt null, 0x0
	s_barrier
	buffer_gl0_inv
	s_and_saveexec_b32 s3, s1
	s_cbranch_execz .LBB26_228
; %bb.219:
	s_and_not1_b32 vcc_lo, exec_lo, s2
	s_cbranch_vccnz .LBB26_221
; %bb.220:
	scratch_load_b64 v[55:56], v59, off
	ds_load_b64 v[62:63], v58
	s_waitcnt vmcnt(0) lgkmcnt(0)
	v_mul_f64 v[55:56], v[55:56], v[62:63]
	s_cbranch_execz .LBB26_222
	s_branch .LBB26_223
.LBB26_221:
                                        ; implicit-def: $vgpr55_vgpr56
.LBB26_222:
	ds_load_b64 v[55:56], v58
.LBB26_223:
	s_and_saveexec_b32 s4, s0
	s_cbranch_execz .LBB26_227
; %bb.224:
	v_add_nc_u32_e32 v62, -4, v0
	s_movk_i32 s5, 0x100
	s_mov_b32 s0, 0
.LBB26_225:                             ; =>This Inner Loop Header: Depth=1
	scratch_load_b64 v[63:64], v61, off
	v_dual_mov_b32 v65, s5 :: v_dual_add_nc_u32 v62, -1, v62
	v_add_nc_u32_e32 v61, 8, v61
	s_add_i32 s5, s5, 8
	ds_load_b64 v[65:66], v65
	v_cmp_eq_u32_e32 vcc_lo, 0, v62
	s_or_b32 s0, vcc_lo, s0
	s_waitcnt vmcnt(0) lgkmcnt(0)
	v_fma_f64 v[55:56], v[63:64], v[65:66], v[55:56]
	s_and_not1_b32 exec_lo, exec_lo, s0
	s_cbranch_execnz .LBB26_225
; %bb.226:
	s_or_b32 exec_lo, exec_lo, s0
.LBB26_227:
	s_delay_alu instid0(SALU_CYCLE_1)
	s_or_b32 exec_lo, exec_lo, s4
	v_mov_b32_e32 v61, 0
	ds_load_b64 v[61:62], v61 offset:24
	s_waitcnt lgkmcnt(0)
	v_mul_f64 v[55:56], v[55:56], v[61:62]
	scratch_store_b64 off, v[55:56], off offset:24
.LBB26_228:
	s_or_b32 exec_lo, exec_lo, s3
	scratch_load_b64 v[55:56], off, off offset:16
	v_cmp_lt_u32_e64 s0, 2, v0
	s_waitcnt vmcnt(0)
	ds_store_b64 v58, v[55:56]
	s_waitcnt lgkmcnt(0)
	s_waitcnt_vscnt null, 0x0
	s_barrier
	buffer_gl0_inv
	s_and_saveexec_b32 s3, s0
	s_cbranch_execz .LBB26_238
; %bb.229:
	s_and_not1_b32 vcc_lo, exec_lo, s2
	s_cbranch_vccnz .LBB26_231
; %bb.230:
	scratch_load_b64 v[55:56], v59, off
	ds_load_b64 v[61:62], v58
	s_waitcnt vmcnt(0) lgkmcnt(0)
	v_mul_f64 v[55:56], v[55:56], v[61:62]
	s_cbranch_execz .LBB26_232
	s_branch .LBB26_233
.LBB26_231:
                                        ; implicit-def: $vgpr55_vgpr56
.LBB26_232:
	ds_load_b64 v[55:56], v58
.LBB26_233:
	s_and_saveexec_b32 s4, s1
	s_cbranch_execz .LBB26_237
; %bb.234:
	v_add_nc_u32_e64 v61, 0, 24
	v_add_nc_u32_e32 v62, -3, v0
	s_movk_i32 s5, 0xf8
	s_mov_b32 s1, 0
.LBB26_235:                             ; =>This Inner Loop Header: Depth=1
	scratch_load_b64 v[63:64], v61, off
	v_dual_mov_b32 v65, s5 :: v_dual_add_nc_u32 v62, -1, v62
	v_add_nc_u32_e32 v61, 8, v61
	s_add_i32 s5, s5, 8
	ds_load_b64 v[65:66], v65
	v_cmp_eq_u32_e32 vcc_lo, 0, v62
	s_or_b32 s1, vcc_lo, s1
	s_waitcnt vmcnt(0) lgkmcnt(0)
	v_fma_f64 v[55:56], v[63:64], v[65:66], v[55:56]
	s_and_not1_b32 exec_lo, exec_lo, s1
	s_cbranch_execnz .LBB26_235
; %bb.236:
	s_or_b32 exec_lo, exec_lo, s1
.LBB26_237:
	s_delay_alu instid0(SALU_CYCLE_1)
	s_or_b32 exec_lo, exec_lo, s4
	v_mov_b32_e32 v61, 0
	ds_load_b64 v[61:62], v61 offset:16
	s_waitcnt lgkmcnt(0)
	v_mul_f64 v[55:56], v[55:56], v[61:62]
	scratch_store_b64 off, v[55:56], off offset:16
.LBB26_238:
	s_or_b32 exec_lo, exec_lo, s3
	scratch_load_b64 v[55:56], off, off offset:8
	v_cmp_lt_u32_e64 s1, 1, v0
	s_waitcnt vmcnt(0)
	ds_store_b64 v58, v[55:56]
	s_waitcnt lgkmcnt(0)
	s_waitcnt_vscnt null, 0x0
	s_barrier
	buffer_gl0_inv
	s_and_saveexec_b32 s3, s1
	s_cbranch_execz .LBB26_248
; %bb.239:
	s_and_not1_b32 vcc_lo, exec_lo, s2
	s_cbranch_vccnz .LBB26_241
; %bb.240:
	scratch_load_b64 v[55:56], v59, off
	ds_load_b64 v[61:62], v58
	s_waitcnt vmcnt(0) lgkmcnt(0)
	v_mul_f64 v[55:56], v[55:56], v[61:62]
	s_cbranch_execz .LBB26_242
	s_branch .LBB26_243
.LBB26_241:
                                        ; implicit-def: $vgpr55_vgpr56
.LBB26_242:
	ds_load_b64 v[55:56], v58
.LBB26_243:
	s_and_saveexec_b32 s4, s0
	s_cbranch_execz .LBB26_247
; %bb.244:
	v_add_nc_u32_e32 v61, -2, v0
	s_movk_i32 s5, 0xf0
	s_mov_b32 s0, 0
.LBB26_245:                             ; =>This Inner Loop Header: Depth=1
	scratch_load_b64 v[62:63], v60, off
	v_dual_mov_b32 v64, s5 :: v_dual_add_nc_u32 v61, -1, v61
	v_add_nc_u32_e32 v60, 8, v60
	s_add_i32 s5, s5, 8
	ds_load_b64 v[64:65], v64
	v_cmp_eq_u32_e32 vcc_lo, 0, v61
	s_or_b32 s0, vcc_lo, s0
	s_waitcnt vmcnt(0) lgkmcnt(0)
	v_fma_f64 v[55:56], v[62:63], v[64:65], v[55:56]
	s_and_not1_b32 exec_lo, exec_lo, s0
	s_cbranch_execnz .LBB26_245
; %bb.246:
	s_or_b32 exec_lo, exec_lo, s0
.LBB26_247:
	s_delay_alu instid0(SALU_CYCLE_1)
	s_or_b32 exec_lo, exec_lo, s4
	v_mov_b32_e32 v60, 0
	ds_load_b64 v[60:61], v60 offset:8
	s_waitcnt lgkmcnt(0)
	v_mul_f64 v[55:56], v[55:56], v[60:61]
	scratch_store_b64 off, v[55:56], off offset:8
.LBB26_248:
	s_or_b32 exec_lo, exec_lo, s3
	scratch_load_b64 v[55:56], off, off
	s_mov_b32 s0, 0
	s_mov_b32 s3, exec_lo
	s_waitcnt vmcnt(0)
	ds_store_b64 v58, v[55:56]
	s_waitcnt lgkmcnt(0)
	s_waitcnt_vscnt null, 0x0
	s_barrier
	buffer_gl0_inv
	v_cmpx_ne_u32_e32 0, v0
	s_cbranch_execz .LBB26_258
; %bb.249:
	s_and_not1_b32 vcc_lo, exec_lo, s2
	s_cbranch_vccnz .LBB26_251
; %bb.250:
	scratch_load_b64 v[55:56], v59, off
	ds_load_b64 v[60:61], v58
	s_waitcnt vmcnt(0) lgkmcnt(0)
	v_mul_f64 v[55:56], v[55:56], v[60:61]
	s_cbranch_execz .LBB26_252
	s_branch .LBB26_253
.LBB26_251:
                                        ; implicit-def: $vgpr55_vgpr56
.LBB26_252:
	ds_load_b64 v[55:56], v58
.LBB26_253:
	s_and_saveexec_b32 s4, s1
	s_cbranch_execz .LBB26_257
; %bb.254:
	v_or_b32_e64 v60, 0, 8
	v_add_nc_u32_e32 v61, -1, v0
	s_movk_i32 s5, 0xe8
	s_mov_b32 s1, 0
.LBB26_255:                             ; =>This Inner Loop Header: Depth=1
	scratch_load_b64 v[62:63], v60, off
	v_dual_mov_b32 v64, s5 :: v_dual_add_nc_u32 v61, -1, v61
	v_add_nc_u32_e32 v60, 8, v60
	s_add_i32 s5, s5, 8
	ds_load_b64 v[64:65], v64
	v_cmp_eq_u32_e32 vcc_lo, 0, v61
	s_or_b32 s1, vcc_lo, s1
	s_waitcnt vmcnt(0) lgkmcnt(0)
	v_fma_f64 v[55:56], v[62:63], v[64:65], v[55:56]
	s_and_not1_b32 exec_lo, exec_lo, s1
	s_cbranch_execnz .LBB26_255
; %bb.256:
	s_or_b32 exec_lo, exec_lo, s1
.LBB26_257:
	s_delay_alu instid0(SALU_CYCLE_1)
	s_or_b32 exec_lo, exec_lo, s4
	v_mov_b32_e32 v60, 0
	ds_load_b64 v[60:61], v60
	s_waitcnt lgkmcnt(0)
	v_mul_f64 v[55:56], v[55:56], v[60:61]
	scratch_store_b64 off, v[55:56], off
.LBB26_258:
	s_or_b32 exec_lo, exec_lo, s3
.LBB26_259:
	s_delay_alu instid0(SALU_CYCLE_1)
	s_and_b32 vcc_lo, exec_lo, s0
	s_cbranch_vccz .LBB26_515
; %bb.260:
	scratch_load_b64 v[55:56], off, off offset:8
	v_cmp_eq_u32_e64 s0, 0, v0
	s_waitcnt vmcnt(0)
	ds_store_b64 v58, v[55:56]
	s_waitcnt lgkmcnt(0)
	s_waitcnt_vscnt null, 0x0
	s_barrier
	buffer_gl0_inv
	s_and_saveexec_b32 s1, s0
	s_cbranch_execz .LBB26_266
; %bb.261:
	s_and_b32 vcc_lo, exec_lo, s2
	s_cbranch_vccz .LBB26_263
; %bb.262:
	scratch_load_b64 v[55:56], v59, off
	ds_load_b64 v[60:61], v58
	s_waitcnt vmcnt(0) lgkmcnt(0)
	v_mul_f64 v[55:56], v[55:56], v[60:61]
	s_cbranch_execz .LBB26_264
	s_branch .LBB26_265
.LBB26_263:
                                        ; implicit-def: $vgpr55_vgpr56
.LBB26_264:
	ds_load_b64 v[55:56], v58
.LBB26_265:
	v_mov_b32_e32 v60, 0
	ds_load_b64 v[60:61], v60 offset:8
	s_waitcnt lgkmcnt(0)
	v_mul_f64 v[55:56], v[55:56], v[60:61]
	scratch_store_b64 off, v[55:56], off offset:8
.LBB26_266:
	s_or_b32 exec_lo, exec_lo, s1
	scratch_load_b64 v[55:56], off, off offset:16
	v_cndmask_b32_e64 v60, 0, 1, s2
	s_mov_b32 s1, exec_lo
	s_waitcnt vmcnt(0)
	ds_store_b64 v58, v[55:56]
	s_waitcnt lgkmcnt(0)
	s_waitcnt_vscnt null, 0x0
	s_barrier
	buffer_gl0_inv
	v_cmpx_gt_u32_e32 2, v0
	s_cbranch_execz .LBB26_274
; %bb.267:
	s_and_not1_b32 vcc_lo, exec_lo, s2
	s_cbranch_vccnz .LBB26_269
; %bb.268:
	scratch_load_b64 v[55:56], v59, off
	ds_load_b64 v[61:62], v58
	s_waitcnt vmcnt(0) lgkmcnt(0)
	v_mul_f64 v[55:56], v[55:56], v[61:62]
	s_cbranch_execz .LBB26_270
	s_branch .LBB26_271
.LBB26_269:
                                        ; implicit-def: $vgpr55_vgpr56
.LBB26_270:
	ds_load_b64 v[55:56], v58
.LBB26_271:
	s_and_saveexec_b32 s2, s0
	s_cbranch_execz .LBB26_273
; %bb.272:
	scratch_load_b64 v[61:62], v59, off offset:8
	ds_load_b64 v[63:64], v58 offset:8
	s_waitcnt vmcnt(0) lgkmcnt(0)
	v_fma_f64 v[55:56], v[61:62], v[63:64], v[55:56]
.LBB26_273:
	s_or_b32 exec_lo, exec_lo, s2
	v_mov_b32_e32 v61, 0
	ds_load_b64 v[61:62], v61 offset:16
	s_waitcnt lgkmcnt(0)
	v_mul_f64 v[55:56], v[55:56], v[61:62]
	scratch_store_b64 off, v[55:56], off offset:16
.LBB26_274:
	s_or_b32 exec_lo, exec_lo, s1
	scratch_load_b64 v[55:56], off, off offset:24
	s_mov_b32 s1, exec_lo
	s_waitcnt vmcnt(0)
	ds_store_b64 v58, v[55:56]
	s_waitcnt lgkmcnt(0)
	s_waitcnt_vscnt null, 0x0
	s_barrier
	buffer_gl0_inv
	v_cmpx_gt_u32_e32 3, v0
	s_cbranch_execz .LBB26_284
; %bb.275:
	v_cmp_ne_u32_e32 vcc_lo, 1, v60
	s_cbranch_vccnz .LBB26_277
; %bb.276:
	scratch_load_b64 v[55:56], v59, off
	ds_load_b64 v[61:62], v58
	s_waitcnt vmcnt(0) lgkmcnt(0)
	v_mul_f64 v[55:56], v[55:56], v[61:62]
	s_cbranch_execz .LBB26_278
	s_branch .LBB26_279
.LBB26_277:
                                        ; implicit-def: $vgpr55_vgpr56
.LBB26_278:
	ds_load_b64 v[55:56], v58
.LBB26_279:
	s_mov_b32 s2, exec_lo
	v_cmpx_ne_u32_e32 2, v0
	s_cbranch_execz .LBB26_283
; %bb.280:
	scratch_load_b64 v[61:62], v59, off offset:8
	ds_load_b64 v[63:64], v58 offset:8
	s_waitcnt vmcnt(0) lgkmcnt(0)
	v_fma_f64 v[55:56], v[61:62], v[63:64], v[55:56]
	s_and_saveexec_b32 s3, s0
	s_cbranch_execz .LBB26_282
; %bb.281:
	scratch_load_b64 v[61:62], off, off offset:16
	v_mov_b32_e32 v63, 0
	ds_load_b64 v[63:64], v63 offset:240
	s_waitcnt vmcnt(0) lgkmcnt(0)
	v_fma_f64 v[55:56], v[61:62], v[63:64], v[55:56]
.LBB26_282:
	s_or_b32 exec_lo, exec_lo, s3
.LBB26_283:
	s_delay_alu instid0(SALU_CYCLE_1)
	s_or_b32 exec_lo, exec_lo, s2
	v_mov_b32_e32 v61, 0
	ds_load_b64 v[61:62], v61 offset:24
	s_waitcnt lgkmcnt(0)
	v_mul_f64 v[55:56], v[55:56], v[61:62]
	scratch_store_b64 off, v[55:56], off offset:24
.LBB26_284:
	s_or_b32 exec_lo, exec_lo, s1
	scratch_load_b64 v[55:56], off, off offset:32
	s_mov_b32 s0, exec_lo
	s_waitcnt vmcnt(0)
	ds_store_b64 v58, v[55:56]
	s_waitcnt lgkmcnt(0)
	s_waitcnt_vscnt null, 0x0
	s_barrier
	buffer_gl0_inv
	v_cmpx_gt_u32_e32 4, v0
	s_cbranch_execz .LBB26_294
; %bb.285:
	v_cmp_ne_u32_e32 vcc_lo, 1, v60
	s_cbranch_vccnz .LBB26_287
; %bb.286:
	scratch_load_b64 v[55:56], v59, off
	ds_load_b64 v[61:62], v58
	s_waitcnt vmcnt(0) lgkmcnt(0)
	v_mul_f64 v[55:56], v[55:56], v[61:62]
	s_cbranch_execz .LBB26_288
	s_branch .LBB26_289
.LBB26_287:
                                        ; implicit-def: $vgpr55_vgpr56
.LBB26_288:
	ds_load_b64 v[55:56], v58
.LBB26_289:
	s_mov_b32 s1, exec_lo
	v_cmpx_ne_u32_e32 3, v0
	s_cbranch_execz .LBB26_293
; %bb.290:
	v_add_nc_u32_e32 v61, 0xe8, v57
	v_add3_u32 v62, 0, v57, 8
	v_mov_b32_e32 v63, v0
	s_mov_b32 s2, 0
.LBB26_291:                             ; =>This Inner Loop Header: Depth=1
	scratch_load_b64 v[64:65], v62, off
	ds_load_b64 v[66:67], v61
	v_add_nc_u32_e32 v63, 1, v63
	v_add_nc_u32_e32 v61, 8, v61
	v_add_nc_u32_e32 v62, 8, v62
	s_delay_alu instid0(VALU_DEP_3)
	v_cmp_lt_u32_e32 vcc_lo, 2, v63
	s_or_b32 s2, vcc_lo, s2
	s_waitcnt vmcnt(0) lgkmcnt(0)
	v_fma_f64 v[55:56], v[64:65], v[66:67], v[55:56]
	s_and_not1_b32 exec_lo, exec_lo, s2
	s_cbranch_execnz .LBB26_291
; %bb.292:
	s_or_b32 exec_lo, exec_lo, s2
.LBB26_293:
	s_delay_alu instid0(SALU_CYCLE_1)
	s_or_b32 exec_lo, exec_lo, s1
	v_mov_b32_e32 v61, 0
	ds_load_b64 v[61:62], v61 offset:32
	s_waitcnt lgkmcnt(0)
	v_mul_f64 v[55:56], v[55:56], v[61:62]
	scratch_store_b64 off, v[55:56], off offset:32
.LBB26_294:
	s_or_b32 exec_lo, exec_lo, s0
	scratch_load_b64 v[55:56], off, off offset:40
	s_mov_b32 s0, exec_lo
	s_waitcnt vmcnt(0)
	ds_store_b64 v58, v[55:56]
	s_waitcnt lgkmcnt(0)
	s_waitcnt_vscnt null, 0x0
	s_barrier
	buffer_gl0_inv
	v_cmpx_gt_u32_e32 5, v0
	s_cbranch_execz .LBB26_304
; %bb.295:
	v_cmp_ne_u32_e32 vcc_lo, 1, v60
	s_cbranch_vccnz .LBB26_297
; %bb.296:
	scratch_load_b64 v[55:56], v59, off
	ds_load_b64 v[61:62], v58
	s_waitcnt vmcnt(0) lgkmcnt(0)
	v_mul_f64 v[55:56], v[55:56], v[61:62]
	s_cbranch_execz .LBB26_298
	s_branch .LBB26_299
.LBB26_297:
                                        ; implicit-def: $vgpr55_vgpr56
.LBB26_298:
	ds_load_b64 v[55:56], v58
.LBB26_299:
	s_mov_b32 s1, exec_lo
	v_cmpx_ne_u32_e32 4, v0
	s_cbranch_execz .LBB26_303
; %bb.300:
	v_add_nc_u32_e32 v61, 0xe8, v57
	v_add3_u32 v62, 0, v57, 8
	v_mov_b32_e32 v63, v0
	s_mov_b32 s2, 0
.LBB26_301:                             ; =>This Inner Loop Header: Depth=1
	scratch_load_b64 v[64:65], v62, off
	ds_load_b64 v[66:67], v61
	v_add_nc_u32_e32 v63, 1, v63
	v_add_nc_u32_e32 v61, 8, v61
	v_add_nc_u32_e32 v62, 8, v62
	s_delay_alu instid0(VALU_DEP_3)
	v_cmp_lt_u32_e32 vcc_lo, 3, v63
	s_or_b32 s2, vcc_lo, s2
	s_waitcnt vmcnt(0) lgkmcnt(0)
	v_fma_f64 v[55:56], v[64:65], v[66:67], v[55:56]
	s_and_not1_b32 exec_lo, exec_lo, s2
	s_cbranch_execnz .LBB26_301
; %bb.302:
	s_or_b32 exec_lo, exec_lo, s2
.LBB26_303:
	s_delay_alu instid0(SALU_CYCLE_1)
	s_or_b32 exec_lo, exec_lo, s1
	v_mov_b32_e32 v61, 0
	ds_load_b64 v[61:62], v61 offset:40
	s_waitcnt lgkmcnt(0)
	v_mul_f64 v[55:56], v[55:56], v[61:62]
	scratch_store_b64 off, v[55:56], off offset:40
.LBB26_304:
	;; [unrolled: 58-line block ×21, first 2 shown]
	s_or_b32 exec_lo, exec_lo, s0
	scratch_load_b64 v[55:56], off, off offset:200
	v_cmp_gt_u32_e64 s0, 25, v0
	s_waitcnt vmcnt(0)
	ds_store_b64 v58, v[55:56]
	s_waitcnt lgkmcnt(0)
	s_waitcnt_vscnt null, 0x0
	s_barrier
	buffer_gl0_inv
	s_and_saveexec_b32 s1, s0
	s_cbranch_execz .LBB26_504
; %bb.495:
	v_cmp_ne_u32_e32 vcc_lo, 1, v60
	s_cbranch_vccnz .LBB26_497
; %bb.496:
	scratch_load_b64 v[55:56], v59, off
	ds_load_b64 v[61:62], v58
	s_waitcnt vmcnt(0) lgkmcnt(0)
	v_mul_f64 v[55:56], v[55:56], v[61:62]
	s_cbranch_execz .LBB26_498
	s_branch .LBB26_499
.LBB26_497:
                                        ; implicit-def: $vgpr55_vgpr56
.LBB26_498:
	ds_load_b64 v[55:56], v58
.LBB26_499:
	s_mov_b32 s2, exec_lo
	v_cmpx_ne_u32_e32 24, v0
	s_cbranch_execz .LBB26_503
; %bb.500:
	v_add_nc_u32_e32 v61, 0xe8, v57
	v_add3_u32 v62, 0, v57, 8
	v_mov_b32_e32 v63, v0
	s_mov_b32 s3, 0
.LBB26_501:                             ; =>This Inner Loop Header: Depth=1
	scratch_load_b64 v[64:65], v62, off
	ds_load_b64 v[66:67], v61
	v_add_nc_u32_e32 v63, 1, v63
	v_add_nc_u32_e32 v61, 8, v61
	;; [unrolled: 1-line block ×3, first 2 shown]
	s_delay_alu instid0(VALU_DEP_3)
	v_cmp_lt_u32_e32 vcc_lo, 23, v63
	s_or_b32 s3, vcc_lo, s3
	s_waitcnt vmcnt(0) lgkmcnt(0)
	v_fma_f64 v[55:56], v[64:65], v[66:67], v[55:56]
	s_and_not1_b32 exec_lo, exec_lo, s3
	s_cbranch_execnz .LBB26_501
; %bb.502:
	s_or_b32 exec_lo, exec_lo, s3
.LBB26_503:
	s_delay_alu instid0(SALU_CYCLE_1)
	s_or_b32 exec_lo, exec_lo, s2
	v_mov_b32_e32 v61, 0
	ds_load_b64 v[61:62], v61 offset:200
	s_waitcnt lgkmcnt(0)
	v_mul_f64 v[55:56], v[55:56], v[61:62]
	scratch_store_b64 off, v[55:56], off offset:200
.LBB26_504:
	s_or_b32 exec_lo, exec_lo, s1
	scratch_load_b64 v[55:56], off, off offset:208
	s_mov_b32 s1, exec_lo
	s_waitcnt vmcnt(0)
	ds_store_b64 v58, v[55:56]
	s_waitcnt lgkmcnt(0)
	s_waitcnt_vscnt null, 0x0
	s_barrier
	buffer_gl0_inv
	v_cmpx_ne_u32_e32 26, v0
	s_cbranch_execz .LBB26_514
; %bb.505:
	v_cmp_ne_u32_e32 vcc_lo, 1, v60
	s_cbranch_vccnz .LBB26_507
; %bb.506:
	scratch_load_b64 v[55:56], v59, off
	ds_load_b64 v[59:60], v58
	s_waitcnt vmcnt(0) lgkmcnt(0)
	v_mul_f64 v[55:56], v[55:56], v[59:60]
	s_cbranch_execz .LBB26_508
	s_branch .LBB26_509
.LBB26_507:
                                        ; implicit-def: $vgpr55_vgpr56
.LBB26_508:
	ds_load_b64 v[55:56], v58
.LBB26_509:
	s_and_saveexec_b32 s2, s0
	s_cbranch_execz .LBB26_513
; %bb.510:
	v_add_nc_u32_e32 v58, 0xe8, v57
	v_add3_u32 v57, 0, v57, 8
	s_mov_b32 s0, 0
.LBB26_511:                             ; =>This Inner Loop Header: Depth=1
	scratch_load_b64 v[59:60], v57, off
	ds_load_b64 v[61:62], v58
	v_add_nc_u32_e32 v0, 1, v0
	v_add_nc_u32_e32 v58, 8, v58
	;; [unrolled: 1-line block ×3, first 2 shown]
	s_delay_alu instid0(VALU_DEP_3)
	v_cmp_lt_u32_e32 vcc_lo, 24, v0
	s_or_b32 s0, vcc_lo, s0
	s_waitcnt vmcnt(0) lgkmcnt(0)
	v_fma_f64 v[55:56], v[59:60], v[61:62], v[55:56]
	s_and_not1_b32 exec_lo, exec_lo, s0
	s_cbranch_execnz .LBB26_511
; %bb.512:
	s_or_b32 exec_lo, exec_lo, s0
.LBB26_513:
	s_delay_alu instid0(SALU_CYCLE_1)
	s_or_b32 exec_lo, exec_lo, s2
	v_mov_b32_e32 v0, 0
	ds_load_b64 v[57:58], v0 offset:208
	s_waitcnt lgkmcnt(0)
	v_mul_f64 v[55:56], v[55:56], v[57:58]
	scratch_store_b64 off, v[55:56], off offset:208
.LBB26_514:
	s_or_b32 exec_lo, exec_lo, s1
.LBB26_515:
	s_clause 0x9
	scratch_load_b128 v[55:58], off, off
	scratch_load_b128 v[59:62], off, off offset:16
	scratch_load_b128 v[63:66], off, off offset:32
	;; [unrolled: 1-line block ×9, first 2 shown]
	s_waitcnt vmcnt(9)
	s_clause 0x1
	global_store_b64 v[3:4], v[55:56], off
	global_store_b64 v[1:2], v[57:58], off
	scratch_load_b128 v[0:3], off, off offset:160
	s_waitcnt vmcnt(9)
	s_clause 0x1
	global_store_b64 v[9:10], v[59:60], off
	global_store_b64 v[11:12], v[61:62], off
	s_clause 0x2
	scratch_load_b128 v[55:58], off, off offset:176
	scratch_load_b128 v[9:12], off, off offset:192
	scratch_load_b64 v[59:60], off, off offset:208
	s_waitcnt vmcnt(11)
	s_clause 0x1
	global_store_b64 v[5:6], v[63:64], off
	global_store_b64 v[7:8], v[65:66], off
	s_waitcnt vmcnt(10)
	s_clause 0x1
	global_store_b64 v[13:14], v[67:68], off
	global_store_b64 v[15:16], v[69:70], off
	;; [unrolled: 4-line block ×11, first 2 shown]
	s_waitcnt vmcnt(0)
	global_store_b64 v[29:30], v[59:60], off
.LBB26_516:
	s_endpgm
	.section	.rodata,"a",@progbits
	.p2align	6, 0x0
	.amdhsa_kernel _ZN9rocsolver6v33100L18trti2_kernel_smallILi27EdPdEEv13rocblas_fill_17rocblas_diagonal_T1_iil
		.amdhsa_group_segment_fixed_size 440
		.amdhsa_private_segment_fixed_size 224
		.amdhsa_kernarg_size 32
		.amdhsa_user_sgpr_count 15
		.amdhsa_user_sgpr_dispatch_ptr 0
		.amdhsa_user_sgpr_queue_ptr 0
		.amdhsa_user_sgpr_kernarg_segment_ptr 1
		.amdhsa_user_sgpr_dispatch_id 0
		.amdhsa_user_sgpr_private_segment_size 0
		.amdhsa_wavefront_size32 1
		.amdhsa_uses_dynamic_stack 0
		.amdhsa_enable_private_segment 1
		.amdhsa_system_sgpr_workgroup_id_x 1
		.amdhsa_system_sgpr_workgroup_id_y 0
		.amdhsa_system_sgpr_workgroup_id_z 0
		.amdhsa_system_sgpr_workgroup_info 0
		.amdhsa_system_vgpr_workitem_id 0
		.amdhsa_next_free_vgpr 96
		.amdhsa_next_free_sgpr 16
		.amdhsa_reserve_vcc 1
		.amdhsa_float_round_mode_32 0
		.amdhsa_float_round_mode_16_64 0
		.amdhsa_float_denorm_mode_32 3
		.amdhsa_float_denorm_mode_16_64 3
		.amdhsa_dx10_clamp 1
		.amdhsa_ieee_mode 1
		.amdhsa_fp16_overflow 0
		.amdhsa_workgroup_processor_mode 1
		.amdhsa_memory_ordered 1
		.amdhsa_forward_progress 0
		.amdhsa_shared_vgpr_count 0
		.amdhsa_exception_fp_ieee_invalid_op 0
		.amdhsa_exception_fp_denorm_src 0
		.amdhsa_exception_fp_ieee_div_zero 0
		.amdhsa_exception_fp_ieee_overflow 0
		.amdhsa_exception_fp_ieee_underflow 0
		.amdhsa_exception_fp_ieee_inexact 0
		.amdhsa_exception_int_div_zero 0
	.end_amdhsa_kernel
	.section	.text._ZN9rocsolver6v33100L18trti2_kernel_smallILi27EdPdEEv13rocblas_fill_17rocblas_diagonal_T1_iil,"axG",@progbits,_ZN9rocsolver6v33100L18trti2_kernel_smallILi27EdPdEEv13rocblas_fill_17rocblas_diagonal_T1_iil,comdat
.Lfunc_end26:
	.size	_ZN9rocsolver6v33100L18trti2_kernel_smallILi27EdPdEEv13rocblas_fill_17rocblas_diagonal_T1_iil, .Lfunc_end26-_ZN9rocsolver6v33100L18trti2_kernel_smallILi27EdPdEEv13rocblas_fill_17rocblas_diagonal_T1_iil
                                        ; -- End function
	.section	.AMDGPU.csdata,"",@progbits
; Kernel info:
; codeLenInByte = 14520
; NumSgprs: 18
; NumVgprs: 96
; ScratchSize: 224
; MemoryBound: 0
; FloatMode: 240
; IeeeMode: 1
; LDSByteSize: 440 bytes/workgroup (compile time only)
; SGPRBlocks: 2
; VGPRBlocks: 11
; NumSGPRsForWavesPerEU: 18
; NumVGPRsForWavesPerEU: 96
; Occupancy: 16
; WaveLimiterHint : 0
; COMPUTE_PGM_RSRC2:SCRATCH_EN: 1
; COMPUTE_PGM_RSRC2:USER_SGPR: 15
; COMPUTE_PGM_RSRC2:TRAP_HANDLER: 0
; COMPUTE_PGM_RSRC2:TGID_X_EN: 1
; COMPUTE_PGM_RSRC2:TGID_Y_EN: 0
; COMPUTE_PGM_RSRC2:TGID_Z_EN: 0
; COMPUTE_PGM_RSRC2:TIDIG_COMP_CNT: 0
	.section	.text._ZN9rocsolver6v33100L18trti2_kernel_smallILi28EdPdEEv13rocblas_fill_17rocblas_diagonal_T1_iil,"axG",@progbits,_ZN9rocsolver6v33100L18trti2_kernel_smallILi28EdPdEEv13rocblas_fill_17rocblas_diagonal_T1_iil,comdat
	.globl	_ZN9rocsolver6v33100L18trti2_kernel_smallILi28EdPdEEv13rocblas_fill_17rocblas_diagonal_T1_iil ; -- Begin function _ZN9rocsolver6v33100L18trti2_kernel_smallILi28EdPdEEv13rocblas_fill_17rocblas_diagonal_T1_iil
	.p2align	8
	.type	_ZN9rocsolver6v33100L18trti2_kernel_smallILi28EdPdEEv13rocblas_fill_17rocblas_diagonal_T1_iil,@function
_ZN9rocsolver6v33100L18trti2_kernel_smallILi28EdPdEEv13rocblas_fill_17rocblas_diagonal_T1_iil: ; @_ZN9rocsolver6v33100L18trti2_kernel_smallILi28EdPdEEv13rocblas_fill_17rocblas_diagonal_T1_iil
; %bb.0:
	s_mov_b32 s2, exec_lo
	v_cmpx_gt_u32_e32 28, v0
	s_cbranch_execz .LBB27_536
; %bb.1:
	s_load_b256 s[0:7], s[0:1], 0x0
	s_ashr_i32 s10, s15, 31
	v_lshlrev_b32_e32 v59, 3, v0
	s_waitcnt lgkmcnt(0)
	v_add3_u32 v1, s5, s5, v0
	s_ashr_i32 s9, s4, 31
	s_mov_b32 s8, s4
	s_mul_i32 s4, s15, s7
	s_mul_hi_u32 s7, s15, s6
	s_mul_i32 s11, s10, s6
	s_add_i32 s4, s7, s4
	s_mul_i32 s6, s15, s6
	s_add_i32 s7, s4, s11
	v_ashrrev_i32_e32 v2, 31, v1
	v_add_nc_u32_e32 v3, s5, v1
	s_lshl_b64 s[6:7], s[6:7], 3
	s_mov_b32 s10, s5
	s_add_u32 s4, s2, s6
	s_addc_u32 s6, s3, s7
	s_lshl_b64 s[2:3], s[8:9], 3
	v_lshlrev_b64 v[1:2], 3, v[1:2]
	v_ashrrev_i32_e32 v4, 31, v3
	s_add_u32 s2, s4, s2
	s_addc_u32 s3, s6, s3
	v_add_co_u32 v11, s4, s2, v59
	s_ashr_i32 s11, s5, 31
	v_add_nc_u32_e32 v7, s5, v3
	v_add_co_ci_u32_e64 v12, null, s3, 0, s4
	v_lshlrev_b64 v[8:9], 3, v[3:4]
	v_add_co_u32 v3, vcc_lo, s2, v1
	s_lshl_b64 s[6:7], s[10:11], 3
	v_add_co_ci_u32_e32 v4, vcc_lo, s3, v2, vcc_lo
	v_add_co_u32 v5, vcc_lo, v11, s6
	v_add_co_ci_u32_e32 v6, vcc_lo, s7, v12, vcc_lo
	v_add_co_u32 v1, vcc_lo, s2, v8
	v_add_co_ci_u32_e32 v2, vcc_lo, s3, v9, vcc_lo
	v_add_nc_u32_e32 v9, s5, v7
	v_ashrrev_i32_e32 v8, 31, v7
	s_clause 0x3
	global_load_b64 v[37:38], v59, s[2:3]
	global_load_b64 v[39:40], v[5:6], off
	global_load_b64 v[41:42], v[3:4], off
	;; [unrolled: 1-line block ×3, first 2 shown]
	s_cmpk_lg_i32 s1, 0x84
	v_add_nc_u32_e32 v13, s5, v9
	v_ashrrev_i32_e32 v10, 31, v9
	v_lshlrev_b64 v[7:8], 3, v[7:8]
	s_delay_alu instid0(VALU_DEP_3) | instskip(NEXT) | instid1(VALU_DEP_3)
	v_add_nc_u32_e32 v17, s5, v13
	v_lshlrev_b64 v[9:10], 3, v[9:10]
	v_ashrrev_i32_e32 v14, 31, v13
	s_delay_alu instid0(VALU_DEP_4) | instskip(NEXT) | instid1(VALU_DEP_4)
	v_add_co_u32 v15, vcc_lo, s2, v7
	v_ashrrev_i32_e32 v18, 31, v17
	v_add_co_ci_u32_e32 v16, vcc_lo, s3, v8, vcc_lo
	s_delay_alu instid0(VALU_DEP_4)
	v_lshlrev_b64 v[7:8], 3, v[13:14]
	v_add_co_u32 v13, vcc_lo, s2, v9
	v_add_co_ci_u32_e32 v14, vcc_lo, s3, v10, vcc_lo
	v_lshlrev_b64 v[9:10], 3, v[17:18]
	v_add_nc_u32_e32 v17, s5, v17
	v_add_co_u32 v7, vcc_lo, s2, v7
	v_add_co_ci_u32_e32 v8, vcc_lo, s3, v8, vcc_lo
	s_delay_alu instid0(VALU_DEP_3) | instskip(SKIP_3) | instid1(VALU_DEP_4)
	v_add_nc_u32_e32 v19, s5, v17
	v_add_co_u32 v9, vcc_lo, s2, v9
	v_ashrrev_i32_e32 v18, 31, v17
	v_add_co_ci_u32_e32 v10, vcc_lo, s3, v10, vcc_lo
	v_add_nc_u32_e32 v21, s5, v19
	v_ashrrev_i32_e32 v20, 31, v19
	s_clause 0x3
	global_load_b64 v[45:46], v[15:16], off
	global_load_b64 v[47:48], v[13:14], off
	;; [unrolled: 1-line block ×4, first 2 shown]
	v_lshlrev_b64 v[17:18], 3, v[17:18]
	v_add_nc_u32_e32 v25, s5, v21
	v_ashrrev_i32_e32 v22, 31, v21
	v_lshlrev_b64 v[19:20], 3, v[19:20]
	s_delay_alu instid0(VALU_DEP_3) | instskip(SKIP_1) | instid1(VALU_DEP_4)
	v_ashrrev_i32_e32 v26, 31, v25
	v_add_co_u32 v17, vcc_lo, s2, v17
	v_lshlrev_b64 v[21:22], 3, v[21:22]
	v_add_co_ci_u32_e32 v18, vcc_lo, s3, v18, vcc_lo
	v_add_co_u32 v19, vcc_lo, s2, v19
	v_lshlrev_b64 v[23:24], 3, v[25:26]
	v_add_co_ci_u32_e32 v20, vcc_lo, s3, v20, vcc_lo
	v_add_co_u32 v21, vcc_lo, s2, v21
	v_add_co_ci_u32_e32 v22, vcc_lo, s3, v22, vcc_lo
	s_delay_alu instid0(VALU_DEP_4)
	v_add_co_u32 v23, vcc_lo, s2, v23
	v_add_co_ci_u32_e32 v24, vcc_lo, s3, v24, vcc_lo
	s_clause 0x3
	global_load_b64 v[60:61], v[17:18], off
	global_load_b64 v[62:63], v[19:20], off
	;; [unrolled: 1-line block ×4, first 2 shown]
	v_add_nc_u32_e32 v25, s5, v25
	s_delay_alu instid0(VALU_DEP_1) | instskip(SKIP_1) | instid1(VALU_DEP_2)
	v_add_nc_u32_e32 v27, s5, v25
	v_ashrrev_i32_e32 v26, 31, v25
	v_add_nc_u32_e32 v29, s5, v27
	v_ashrrev_i32_e32 v28, 31, v27
	s_delay_alu instid0(VALU_DEP_3) | instskip(NEXT) | instid1(VALU_DEP_3)
	v_lshlrev_b64 v[25:26], 3, v[25:26]
	v_add_nc_u32_e32 v31, s5, v29
	v_ashrrev_i32_e32 v30, 31, v29
	s_delay_alu instid0(VALU_DEP_4) | instskip(NEXT) | instid1(VALU_DEP_4)
	v_lshlrev_b64 v[27:28], 3, v[27:28]
	v_add_co_u32 v25, vcc_lo, s2, v25
	s_delay_alu instid0(VALU_DEP_4) | instskip(SKIP_3) | instid1(VALU_DEP_4)
	v_add_nc_u32_e32 v33, s5, v31
	v_ashrrev_i32_e32 v32, 31, v31
	v_add_co_ci_u32_e32 v26, vcc_lo, s3, v26, vcc_lo
	v_lshlrev_b64 v[70:71], 3, v[29:30]
	v_add_nc_u32_e32 v35, s5, v33
	v_add_co_u32 v29, vcc_lo, s2, v27
	v_add_co_ci_u32_e32 v30, vcc_lo, s3, v28, vcc_lo
	s_delay_alu instid0(VALU_DEP_3) | instskip(SKIP_3) | instid1(VALU_DEP_4)
	v_add_nc_u32_e32 v53, s5, v35
	v_lshlrev_b64 v[27:28], 3, v[31:32]
	v_ashrrev_i32_e32 v34, 31, v33
	v_add_co_u32 v31, vcc_lo, s2, v70
	v_add_nc_u32_e32 v55, s5, v53
	v_add_co_ci_u32_e32 v32, vcc_lo, s3, v71, vcc_lo
	v_ashrrev_i32_e32 v36, 31, v35
	v_lshlrev_b64 v[70:71], 3, v[33:34]
	s_delay_alu instid0(VALU_DEP_4) | instskip(SKIP_2) | instid1(VALU_DEP_3)
	v_add_nc_u32_e32 v57, s5, v55
	v_add_co_u32 v33, vcc_lo, s2, v27
	v_add_co_ci_u32_e32 v34, vcc_lo, s3, v28, vcc_lo
	v_add_nc_u32_e32 v72, s5, v57
	v_ashrrev_i32_e32 v54, 31, v53
	v_lshlrev_b64 v[83:84], 3, v[35:36]
	v_ashrrev_i32_e32 v56, 31, v55
	v_ashrrev_i32_e32 v58, 31, v57
	v_add_nc_u32_e32 v82, s5, v72
	v_lshlrev_b64 v[53:54], 3, v[53:54]
	global_load_b64 v[68:69], v[25:26], off
	v_add_nc_u32_e32 v90, s5, v82
	s_delay_alu instid0(VALU_DEP_1) | instskip(SKIP_1) | instid1(VALU_DEP_2)
	v_add_nc_u32_e32 v92, s5, v90
	v_ashrrev_i32_e32 v91, 31, v90
	v_add_nc_u32_e32 v94, s5, v92
	v_ashrrev_i32_e32 v93, 31, v92
	s_delay_alu instid0(VALU_DEP_2) | instskip(SKIP_1) | instid1(VALU_DEP_2)
	v_add_nc_u32_e32 v96, s5, v94
	v_ashrrev_i32_e32 v95, 31, v94
	v_add_nc_u32_e32 v73, s5, v96
	v_ashrrev_i32_e32 v97, 31, v96
	s_delay_alu instid0(VALU_DEP_2) | instskip(NEXT) | instid1(VALU_DEP_1)
	v_ashrrev_i32_e32 v74, 31, v73
	v_lshlrev_b64 v[73:74], 3, v[73:74]
	s_delay_alu instid0(VALU_DEP_1) | instskip(NEXT) | instid1(VALU_DEP_2)
	v_add_co_u32 v27, vcc_lo, s2, v73
	v_add_co_ci_u32_e32 v28, vcc_lo, s3, v74, vcc_lo
	v_add_co_u32 v35, vcc_lo, s2, v70
	v_add_co_ci_u32_e32 v36, vcc_lo, s3, v71, vcc_lo
	global_load_b64 v[74:75], v[27:28], off
	v_ashrrev_i32_e32 v73, 31, v72
	s_waitcnt vmcnt(12)
	scratch_store_b128 off, v[37:40], off
	s_waitcnt vmcnt(10)
	scratch_store_b128 off, v[41:44], off offset:16
	v_add_co_u32 v37, vcc_lo, s2, v83
	v_lshlrev_b64 v[41:42], 3, v[55:56]
	v_add_co_ci_u32_e32 v38, vcc_lo, s3, v84, vcc_lo
	v_add_co_u32 v39, vcc_lo, s2, v53
	v_lshlrev_b64 v[43:44], 3, v[57:58]
	v_ashrrev_i32_e32 v83, 31, v82
	v_add_co_ci_u32_e32 v40, vcc_lo, s3, v54, vcc_lo
	v_add_co_u32 v41, vcc_lo, s2, v41
	v_lshlrev_b64 v[53:54], 3, v[72:73]
	v_add_co_ci_u32_e32 v42, vcc_lo, s3, v42, vcc_lo
	v_add_co_u32 v43, vcc_lo, s2, v43
	v_lshlrev_b64 v[55:56], 3, v[82:83]
	v_add_co_ci_u32_e32 v44, vcc_lo, s3, v44, vcc_lo
	s_clause 0x3
	global_load_b64 v[70:71], v[29:30], off
	global_load_b64 v[76:77], v[31:32], off
	;; [unrolled: 1-line block ×4, first 2 shown]
	s_waitcnt vmcnt(12)
	scratch_store_b128 off, v[45:48], off offset:32
	s_waitcnt vmcnt(10)
	scratch_store_b128 off, v[49:52], off offset:48
	v_add_co_u32 v45, vcc_lo, s2, v53
	v_lshlrev_b64 v[49:50], 3, v[90:91]
	v_add_co_ci_u32_e32 v46, vcc_lo, s3, v54, vcc_lo
	v_add_co_u32 v47, vcc_lo, s2, v55
	v_add_co_ci_u32_e32 v48, vcc_lo, s3, v56, vcc_lo
	v_lshlrev_b64 v[53:54], 3, v[92:93]
	v_add_co_u32 v51, vcc_lo, s2, v49
	v_add_co_ci_u32_e32 v52, vcc_lo, s3, v50, vcc_lo
	v_lshlrev_b64 v[49:50], 3, v[94:95]
	s_delay_alu instid0(VALU_DEP_4) | instskip(SKIP_2) | instid1(VALU_DEP_4)
	v_add_co_u32 v53, vcc_lo, s2, v53
	v_lshlrev_b64 v[57:58], 3, v[96:97]
	v_add_co_ci_u32_e32 v54, vcc_lo, s3, v54, vcc_lo
	v_add_co_u32 v55, vcc_lo, s2, v49
	v_add_co_ci_u32_e32 v56, vcc_lo, s3, v50, vcc_lo
	s_delay_alu instid0(VALU_DEP_4)
	v_add_co_u32 v49, vcc_lo, s2, v57
	v_add_co_ci_u32_e32 v50, vcc_lo, s3, v58, vcc_lo
	s_clause 0x3
	global_load_b64 v[82:83], v[37:38], off
	global_load_b64 v[84:85], v[39:40], off
	;; [unrolled: 1-line block ×4, first 2 shown]
	s_waitcnt vmcnt(12)
	scratch_store_b128 off, v[60:63], off offset:64
	s_clause 0x2
	global_load_b64 v[90:91], v[45:46], off
	global_load_b64 v[60:61], v[47:48], off
	;; [unrolled: 1-line block ×3, first 2 shown]
	s_waitcnt vmcnt(13)
	scratch_store_b128 off, v[64:67], off offset:80
	s_clause 0x2
	global_load_b64 v[64:65], v[53:54], off
	global_load_b64 v[66:67], v[55:56], off
	;; [unrolled: 1-line block ×3, first 2 shown]
	v_mov_b32_e32 v57, 0
	v_mov_b32_e32 v58, 0xbff00000
	s_cselect_b32 s2, -1, 0
	s_cmpk_eq_i32 s1, 0x84
	s_waitcnt vmcnt(13)
	scratch_store_b128 off, v[68:71], off offset:96
	s_waitcnt vmcnt(11)
	scratch_store_b128 off, v[76:79], off offset:112
	;; [unrolled: 2-line block ×8, first 2 shown]
	s_cbranch_scc1 .LBB27_3
; %bb.2:
	scratch_load_b64 v[57:58], v59, off
	s_waitcnt vmcnt(0)
	v_div_scale_f64 v[60:61], null, v[57:58], v[57:58], 1.0
	v_div_scale_f64 v[66:67], vcc_lo, 1.0, v[57:58], 1.0
	s_delay_alu instid0(VALU_DEP_2) | instskip(SKIP_2) | instid1(VALU_DEP_1)
	v_rcp_f64_e32 v[62:63], v[60:61]
	s_waitcnt_depctr 0xfff
	v_fma_f64 v[64:65], -v[60:61], v[62:63], 1.0
	v_fma_f64 v[62:63], v[62:63], v[64:65], v[62:63]
	s_delay_alu instid0(VALU_DEP_1) | instskip(NEXT) | instid1(VALU_DEP_1)
	v_fma_f64 v[64:65], -v[60:61], v[62:63], 1.0
	v_fma_f64 v[62:63], v[62:63], v[64:65], v[62:63]
	s_delay_alu instid0(VALU_DEP_1) | instskip(NEXT) | instid1(VALU_DEP_1)
	v_mul_f64 v[64:65], v[66:67], v[62:63]
	v_fma_f64 v[60:61], -v[60:61], v[64:65], v[66:67]
	s_delay_alu instid0(VALU_DEP_1) | instskip(NEXT) | instid1(VALU_DEP_1)
	v_div_fmas_f64 v[60:61], v[60:61], v[62:63], v[64:65]
	v_div_fixup_f64 v[57:58], v[60:61], v[57:58], 1.0
	scratch_store_b64 v59, v[57:58], off
	v_xor_b32_e32 v58, 0x80000000, v58
.LBB27_3:
	v_add_nc_u32_e32 v60, 0xe0, v59
	v_add_nc_u32_e32 v61, 0, v59
	s_cmpk_eq_i32 s0, 0x79
	s_mov_b32 s0, -1
	ds_store_b64 v59, v[57:58]
	s_cbranch_scc1 .LBB27_269
; %bb.4:
	scratch_load_b64 v[57:58], off, off offset:208
	v_cmp_eq_u32_e64 s0, 27, v0
	s_movk_i32 s1, 0x50
	s_movk_i32 s3, 0x60
	;; [unrolled: 1-line block ×8, first 2 shown]
	s_waitcnt vmcnt(0)
	ds_store_b64 v60, v[57:58]
	s_waitcnt lgkmcnt(0)
	s_waitcnt_vscnt null, 0x0
	s_barrier
	buffer_gl0_inv
	s_and_saveexec_b32 s10, s0
	s_cbranch_execz .LBB27_10
; %bb.5:
	s_and_b32 vcc_lo, exec_lo, s2
	s_cbranch_vccz .LBB27_7
; %bb.6:
	scratch_load_b64 v[57:58], v61, off
	ds_load_b64 v[62:63], v60
	s_waitcnt vmcnt(0) lgkmcnt(0)
	v_mul_f64 v[57:58], v[57:58], v[62:63]
	s_cbranch_execz .LBB27_8
	s_branch .LBB27_9
.LBB27_7:
                                        ; implicit-def: $vgpr57_vgpr58
.LBB27_8:
	ds_load_b64 v[57:58], v60
.LBB27_9:
	v_mov_b32_e32 v62, 0
	ds_load_b64 v[62:63], v62 offset:208
	s_waitcnt lgkmcnt(0)
	v_mul_f64 v[57:58], v[57:58], v[62:63]
	scratch_store_b64 off, v[57:58], off offset:208
.LBB27_10:
	s_or_b32 exec_lo, exec_lo, s10
	scratch_load_b64 v[57:58], off, off offset:200
	v_add_nc_u32_e64 v62, 0, 16
	v_add_nc_u32_e64 v63, 0, 32
	;; [unrolled: 1-line block ×12, first 2 shown]
	v_cmp_lt_u32_e64 s1, 25, v0
	s_waitcnt vmcnt(0)
	ds_store_b64 v60, v[57:58]
	s_waitcnt lgkmcnt(0)
	s_waitcnt_vscnt null, 0x0
	s_barrier
	buffer_gl0_inv
	s_and_saveexec_b32 s3, s1
	s_cbranch_execz .LBB27_18
; %bb.11:
	s_and_not1_b32 vcc_lo, exec_lo, s2
	s_cbranch_vccnz .LBB27_13
; %bb.12:
	scratch_load_b64 v[57:58], v61, off
	ds_load_b64 v[74:75], v60
	s_waitcnt vmcnt(0) lgkmcnt(0)
	v_mul_f64 v[57:58], v[57:58], v[74:75]
	s_cbranch_execz .LBB27_14
	s_branch .LBB27_15
.LBB27_13:
                                        ; implicit-def: $vgpr57_vgpr58
.LBB27_14:
	ds_load_b64 v[57:58], v60
.LBB27_15:
	s_and_saveexec_b32 s4, s0
	s_cbranch_execz .LBB27_17
; %bb.16:
	scratch_load_b64 v[74:75], off, off offset:208
	v_mov_b32_e32 v76, 0
	ds_load_b64 v[76:77], v76 offset:432
	s_waitcnt vmcnt(0) lgkmcnt(0)
	v_fma_f64 v[57:58], v[74:75], v[76:77], v[57:58]
.LBB27_17:
	s_or_b32 exec_lo, exec_lo, s4
	v_mov_b32_e32 v74, 0
	ds_load_b64 v[74:75], v74 offset:200
	s_waitcnt lgkmcnt(0)
	v_mul_f64 v[57:58], v[57:58], v[74:75]
	scratch_store_b64 off, v[57:58], off offset:200
.LBB27_18:
	s_or_b32 exec_lo, exec_lo, s3
	scratch_load_b64 v[57:58], off, off offset:192
	v_cmp_lt_u32_e64 s0, 24, v0
	s_waitcnt vmcnt(0)
	ds_store_b64 v60, v[57:58]
	s_waitcnt lgkmcnt(0)
	s_waitcnt_vscnt null, 0x0
	s_barrier
	buffer_gl0_inv
	s_and_saveexec_b32 s3, s0
	s_cbranch_execz .LBB27_28
; %bb.19:
	s_and_not1_b32 vcc_lo, exec_lo, s2
	s_cbranch_vccnz .LBB27_21
; %bb.20:
	scratch_load_b64 v[57:58], v61, off
	ds_load_b64 v[74:75], v60
	s_waitcnt vmcnt(0) lgkmcnt(0)
	v_mul_f64 v[57:58], v[57:58], v[74:75]
	s_cbranch_execz .LBB27_22
	s_branch .LBB27_23
.LBB27_21:
                                        ; implicit-def: $vgpr57_vgpr58
.LBB27_22:
	ds_load_b64 v[57:58], v60
.LBB27_23:
	s_and_saveexec_b32 s4, s1
	s_cbranch_execz .LBB27_27
; %bb.24:
	v_mov_b32_e32 v74, 0
	v_subrev_nc_u32_e32 v75, 25, v0
	s_movk_i32 s5, 0x1a8
	s_mov_b32 s1, 0
	s_delay_alu instid0(VALU_DEP_2)
	v_add_nc_u32_e32 v74, 0xc8, v74
.LBB27_25:                              ; =>This Inner Loop Header: Depth=1
	scratch_load_b64 v[76:77], v74, off
	v_dual_mov_b32 v78, s5 :: v_dual_add_nc_u32 v75, -1, v75
	v_add_nc_u32_e32 v74, 8, v74
	s_add_i32 s5, s5, 8
	ds_load_b64 v[78:79], v78
	v_cmp_eq_u32_e32 vcc_lo, 0, v75
	s_or_b32 s1, vcc_lo, s1
	s_waitcnt vmcnt(0) lgkmcnt(0)
	v_fma_f64 v[57:58], v[76:77], v[78:79], v[57:58]
	s_and_not1_b32 exec_lo, exec_lo, s1
	s_cbranch_execnz .LBB27_25
; %bb.26:
	s_or_b32 exec_lo, exec_lo, s1
.LBB27_27:
	s_delay_alu instid0(SALU_CYCLE_1)
	s_or_b32 exec_lo, exec_lo, s4
	v_mov_b32_e32 v74, 0
	ds_load_b64 v[74:75], v74 offset:192
	s_waitcnt lgkmcnt(0)
	v_mul_f64 v[57:58], v[57:58], v[74:75]
	scratch_store_b64 off, v[57:58], off offset:192
.LBB27_28:
	s_or_b32 exec_lo, exec_lo, s3
	scratch_load_b64 v[57:58], off, off offset:184
	v_cmp_lt_u32_e64 s1, 23, v0
	s_waitcnt vmcnt(0)
	ds_store_b64 v60, v[57:58]
	s_waitcnt lgkmcnt(0)
	s_waitcnt_vscnt null, 0x0
	s_barrier
	buffer_gl0_inv
	s_and_saveexec_b32 s3, s1
	s_cbranch_execz .LBB27_38
; %bb.29:
	s_and_not1_b32 vcc_lo, exec_lo, s2
	s_cbranch_vccnz .LBB27_31
; %bb.30:
	scratch_load_b64 v[57:58], v61, off
	ds_load_b64 v[74:75], v60
	s_waitcnt vmcnt(0) lgkmcnt(0)
	v_mul_f64 v[57:58], v[57:58], v[74:75]
	s_cbranch_execz .LBB27_32
	s_branch .LBB27_33
.LBB27_31:
                                        ; implicit-def: $vgpr57_vgpr58
.LBB27_32:
	ds_load_b64 v[57:58], v60
.LBB27_33:
	s_and_saveexec_b32 s4, s0
	s_cbranch_execz .LBB27_37
; %bb.34:
	v_subrev_nc_u32_e32 v74, 24, v0
	s_movk_i32 s5, 0x1a0
	s_mov_b32 s0, 0
.LBB27_35:                              ; =>This Inner Loop Header: Depth=1
	scratch_load_b64 v[75:76], v73, off
	v_dual_mov_b32 v77, s5 :: v_dual_add_nc_u32 v74, -1, v74
	v_add_nc_u32_e32 v73, 8, v73
	s_add_i32 s5, s5, 8
	ds_load_b64 v[77:78], v77
	v_cmp_eq_u32_e32 vcc_lo, 0, v74
	s_or_b32 s0, vcc_lo, s0
	s_waitcnt vmcnt(0) lgkmcnt(0)
	v_fma_f64 v[57:58], v[75:76], v[77:78], v[57:58]
	s_and_not1_b32 exec_lo, exec_lo, s0
	s_cbranch_execnz .LBB27_35
; %bb.36:
	s_or_b32 exec_lo, exec_lo, s0
.LBB27_37:
	s_delay_alu instid0(SALU_CYCLE_1)
	s_or_b32 exec_lo, exec_lo, s4
	v_mov_b32_e32 v73, 0
	ds_load_b64 v[73:74], v73 offset:184
	s_waitcnt lgkmcnt(0)
	v_mul_f64 v[57:58], v[57:58], v[73:74]
	scratch_store_b64 off, v[57:58], off offset:184
.LBB27_38:
	s_or_b32 exec_lo, exec_lo, s3
	scratch_load_b64 v[57:58], off, off offset:176
	v_cmp_lt_u32_e64 s0, 22, v0
	s_waitcnt vmcnt(0)
	ds_store_b64 v60, v[57:58]
	s_waitcnt lgkmcnt(0)
	s_waitcnt_vscnt null, 0x0
	s_barrier
	buffer_gl0_inv
	s_and_saveexec_b32 s3, s0
	s_cbranch_execz .LBB27_48
; %bb.39:
	s_and_not1_b32 vcc_lo, exec_lo, s2
	s_cbranch_vccnz .LBB27_41
; %bb.40:
	scratch_load_b64 v[57:58], v61, off
	ds_load_b64 v[73:74], v60
	s_waitcnt vmcnt(0) lgkmcnt(0)
	v_mul_f64 v[57:58], v[57:58], v[73:74]
	s_cbranch_execz .LBB27_42
	s_branch .LBB27_43
.LBB27_41:
                                        ; implicit-def: $vgpr57_vgpr58
.LBB27_42:
	ds_load_b64 v[57:58], v60
.LBB27_43:
	s_and_saveexec_b32 s4, s1
	s_cbranch_execz .LBB27_47
; %bb.44:
	v_mov_b32_e32 v73, 0
	v_subrev_nc_u32_e32 v74, 23, v0
	s_movk_i32 s5, 0x198
	s_mov_b32 s1, 0
	s_delay_alu instid0(VALU_DEP_2)
	v_add_nc_u32_e32 v73, 0xb8, v73
.LBB27_45:                              ; =>This Inner Loop Header: Depth=1
	scratch_load_b64 v[75:76], v73, off
	v_dual_mov_b32 v77, s5 :: v_dual_add_nc_u32 v74, -1, v74
	v_add_nc_u32_e32 v73, 8, v73
	s_add_i32 s5, s5, 8
	ds_load_b64 v[77:78], v77
	v_cmp_eq_u32_e32 vcc_lo, 0, v74
	s_or_b32 s1, vcc_lo, s1
	s_waitcnt vmcnt(0) lgkmcnt(0)
	v_fma_f64 v[57:58], v[75:76], v[77:78], v[57:58]
	s_and_not1_b32 exec_lo, exec_lo, s1
	s_cbranch_execnz .LBB27_45
; %bb.46:
	s_or_b32 exec_lo, exec_lo, s1
.LBB27_47:
	s_delay_alu instid0(SALU_CYCLE_1)
	s_or_b32 exec_lo, exec_lo, s4
	v_mov_b32_e32 v73, 0
	ds_load_b64 v[73:74], v73 offset:176
	s_waitcnt lgkmcnt(0)
	v_mul_f64 v[57:58], v[57:58], v[73:74]
	scratch_store_b64 off, v[57:58], off offset:176
.LBB27_48:
	s_or_b32 exec_lo, exec_lo, s3
	scratch_load_b64 v[57:58], off, off offset:168
	v_cmp_lt_u32_e64 s1, 21, v0
	s_waitcnt vmcnt(0)
	ds_store_b64 v60, v[57:58]
	s_waitcnt lgkmcnt(0)
	s_waitcnt_vscnt null, 0x0
	s_barrier
	buffer_gl0_inv
	s_and_saveexec_b32 s3, s1
	s_cbranch_execz .LBB27_58
; %bb.49:
	s_and_not1_b32 vcc_lo, exec_lo, s2
	s_cbranch_vccnz .LBB27_51
; %bb.50:
	scratch_load_b64 v[57:58], v61, off
	ds_load_b64 v[73:74], v60
	s_waitcnt vmcnt(0) lgkmcnt(0)
	v_mul_f64 v[57:58], v[57:58], v[73:74]
	s_cbranch_execz .LBB27_52
	s_branch .LBB27_53
.LBB27_51:
                                        ; implicit-def: $vgpr57_vgpr58
.LBB27_52:
	ds_load_b64 v[57:58], v60
.LBB27_53:
	s_and_saveexec_b32 s4, s0
	s_cbranch_execz .LBB27_57
; %bb.54:
	v_subrev_nc_u32_e32 v73, 22, v0
	s_movk_i32 s5, 0x190
	s_mov_b32 s0, 0
.LBB27_55:                              ; =>This Inner Loop Header: Depth=1
	scratch_load_b64 v[74:75], v72, off
	v_dual_mov_b32 v76, s5 :: v_dual_add_nc_u32 v73, -1, v73
	v_add_nc_u32_e32 v72, 8, v72
	s_add_i32 s5, s5, 8
	ds_load_b64 v[76:77], v76
	v_cmp_eq_u32_e32 vcc_lo, 0, v73
	s_or_b32 s0, vcc_lo, s0
	s_waitcnt vmcnt(0) lgkmcnt(0)
	v_fma_f64 v[57:58], v[74:75], v[76:77], v[57:58]
	s_and_not1_b32 exec_lo, exec_lo, s0
	s_cbranch_execnz .LBB27_55
; %bb.56:
	s_or_b32 exec_lo, exec_lo, s0
.LBB27_57:
	s_delay_alu instid0(SALU_CYCLE_1)
	s_or_b32 exec_lo, exec_lo, s4
	v_mov_b32_e32 v72, 0
	ds_load_b64 v[72:73], v72 offset:168
	s_waitcnt lgkmcnt(0)
	v_mul_f64 v[57:58], v[57:58], v[72:73]
	scratch_store_b64 off, v[57:58], off offset:168
.LBB27_58:
	s_or_b32 exec_lo, exec_lo, s3
	scratch_load_b64 v[57:58], off, off offset:160
	v_cmp_lt_u32_e64 s0, 20, v0
	s_waitcnt vmcnt(0)
	ds_store_b64 v60, v[57:58]
	s_waitcnt lgkmcnt(0)
	s_waitcnt_vscnt null, 0x0
	s_barrier
	buffer_gl0_inv
	s_and_saveexec_b32 s3, s0
	s_cbranch_execz .LBB27_68
; %bb.59:
	s_and_not1_b32 vcc_lo, exec_lo, s2
	s_cbranch_vccnz .LBB27_61
; %bb.60:
	scratch_load_b64 v[57:58], v61, off
	ds_load_b64 v[72:73], v60
	s_waitcnt vmcnt(0) lgkmcnt(0)
	v_mul_f64 v[57:58], v[57:58], v[72:73]
	s_cbranch_execz .LBB27_62
	s_branch .LBB27_63
.LBB27_61:
                                        ; implicit-def: $vgpr57_vgpr58
.LBB27_62:
	ds_load_b64 v[57:58], v60
.LBB27_63:
	s_and_saveexec_b32 s4, s1
	s_cbranch_execz .LBB27_67
; %bb.64:
	v_mov_b32_e32 v72, 0
	v_subrev_nc_u32_e32 v73, 21, v0
	s_movk_i32 s5, 0x188
	s_mov_b32 s1, 0
	s_delay_alu instid0(VALU_DEP_2)
	v_add_nc_u32_e32 v72, 0xa8, v72
.LBB27_65:                              ; =>This Inner Loop Header: Depth=1
	scratch_load_b64 v[74:75], v72, off
	v_dual_mov_b32 v76, s5 :: v_dual_add_nc_u32 v73, -1, v73
	v_add_nc_u32_e32 v72, 8, v72
	s_add_i32 s5, s5, 8
	ds_load_b64 v[76:77], v76
	v_cmp_eq_u32_e32 vcc_lo, 0, v73
	s_or_b32 s1, vcc_lo, s1
	s_waitcnt vmcnt(0) lgkmcnt(0)
	v_fma_f64 v[57:58], v[74:75], v[76:77], v[57:58]
	s_and_not1_b32 exec_lo, exec_lo, s1
	s_cbranch_execnz .LBB27_65
; %bb.66:
	s_or_b32 exec_lo, exec_lo, s1
.LBB27_67:
	s_delay_alu instid0(SALU_CYCLE_1)
	s_or_b32 exec_lo, exec_lo, s4
	v_mov_b32_e32 v72, 0
	ds_load_b64 v[72:73], v72 offset:160
	s_waitcnt lgkmcnt(0)
	v_mul_f64 v[57:58], v[57:58], v[72:73]
	scratch_store_b64 off, v[57:58], off offset:160
.LBB27_68:
	s_or_b32 exec_lo, exec_lo, s3
	scratch_load_b64 v[57:58], off, off offset:152
	v_cmp_lt_u32_e64 s1, 19, v0
	s_waitcnt vmcnt(0)
	ds_store_b64 v60, v[57:58]
	s_waitcnt lgkmcnt(0)
	s_waitcnt_vscnt null, 0x0
	s_barrier
	buffer_gl0_inv
	s_and_saveexec_b32 s3, s1
	s_cbranch_execz .LBB27_78
; %bb.69:
	s_and_not1_b32 vcc_lo, exec_lo, s2
	s_cbranch_vccnz .LBB27_71
; %bb.70:
	scratch_load_b64 v[57:58], v61, off
	ds_load_b64 v[72:73], v60
	s_waitcnt vmcnt(0) lgkmcnt(0)
	v_mul_f64 v[57:58], v[57:58], v[72:73]
	s_cbranch_execz .LBB27_72
	s_branch .LBB27_73
.LBB27_71:
                                        ; implicit-def: $vgpr57_vgpr58
.LBB27_72:
	ds_load_b64 v[57:58], v60
.LBB27_73:
	s_and_saveexec_b32 s4, s0
	s_cbranch_execz .LBB27_77
; %bb.74:
	v_subrev_nc_u32_e32 v72, 20, v0
	s_movk_i32 s5, 0x180
	s_mov_b32 s0, 0
.LBB27_75:                              ; =>This Inner Loop Header: Depth=1
	scratch_load_b64 v[73:74], v71, off
	v_dual_mov_b32 v75, s5 :: v_dual_add_nc_u32 v72, -1, v72
	v_add_nc_u32_e32 v71, 8, v71
	s_add_i32 s5, s5, 8
	ds_load_b64 v[75:76], v75
	v_cmp_eq_u32_e32 vcc_lo, 0, v72
	s_or_b32 s0, vcc_lo, s0
	s_waitcnt vmcnt(0) lgkmcnt(0)
	v_fma_f64 v[57:58], v[73:74], v[75:76], v[57:58]
	s_and_not1_b32 exec_lo, exec_lo, s0
	s_cbranch_execnz .LBB27_75
; %bb.76:
	s_or_b32 exec_lo, exec_lo, s0
.LBB27_77:
	s_delay_alu instid0(SALU_CYCLE_1)
	s_or_b32 exec_lo, exec_lo, s4
	v_mov_b32_e32 v71, 0
	ds_load_b64 v[71:72], v71 offset:152
	s_waitcnt lgkmcnt(0)
	v_mul_f64 v[57:58], v[57:58], v[71:72]
	scratch_store_b64 off, v[57:58], off offset:152
.LBB27_78:
	s_or_b32 exec_lo, exec_lo, s3
	scratch_load_b64 v[57:58], off, off offset:144
	v_cmp_lt_u32_e64 s0, 18, v0
	s_waitcnt vmcnt(0)
	ds_store_b64 v60, v[57:58]
	s_waitcnt lgkmcnt(0)
	s_waitcnt_vscnt null, 0x0
	s_barrier
	buffer_gl0_inv
	s_and_saveexec_b32 s3, s0
	s_cbranch_execz .LBB27_88
; %bb.79:
	s_and_not1_b32 vcc_lo, exec_lo, s2
	s_cbranch_vccnz .LBB27_81
; %bb.80:
	scratch_load_b64 v[57:58], v61, off
	ds_load_b64 v[71:72], v60
	s_waitcnt vmcnt(0) lgkmcnt(0)
	v_mul_f64 v[57:58], v[57:58], v[71:72]
	s_cbranch_execz .LBB27_82
	s_branch .LBB27_83
.LBB27_81:
                                        ; implicit-def: $vgpr57_vgpr58
.LBB27_82:
	ds_load_b64 v[57:58], v60
.LBB27_83:
	s_and_saveexec_b32 s4, s1
	s_cbranch_execz .LBB27_87
; %bb.84:
	v_mov_b32_e32 v71, 0
	v_subrev_nc_u32_e32 v72, 19, v0
	s_movk_i32 s5, 0x178
	s_mov_b32 s1, 0
	s_delay_alu instid0(VALU_DEP_2)
	v_add_nc_u32_e32 v71, 0x98, v71
.LBB27_85:                              ; =>This Inner Loop Header: Depth=1
	scratch_load_b64 v[73:74], v71, off
	v_dual_mov_b32 v75, s5 :: v_dual_add_nc_u32 v72, -1, v72
	v_add_nc_u32_e32 v71, 8, v71
	s_add_i32 s5, s5, 8
	ds_load_b64 v[75:76], v75
	v_cmp_eq_u32_e32 vcc_lo, 0, v72
	s_or_b32 s1, vcc_lo, s1
	s_waitcnt vmcnt(0) lgkmcnt(0)
	v_fma_f64 v[57:58], v[73:74], v[75:76], v[57:58]
	s_and_not1_b32 exec_lo, exec_lo, s1
	s_cbranch_execnz .LBB27_85
; %bb.86:
	s_or_b32 exec_lo, exec_lo, s1
.LBB27_87:
	s_delay_alu instid0(SALU_CYCLE_1)
	s_or_b32 exec_lo, exec_lo, s4
	v_mov_b32_e32 v71, 0
	ds_load_b64 v[71:72], v71 offset:144
	s_waitcnt lgkmcnt(0)
	v_mul_f64 v[57:58], v[57:58], v[71:72]
	scratch_store_b64 off, v[57:58], off offset:144
.LBB27_88:
	s_or_b32 exec_lo, exec_lo, s3
	scratch_load_b64 v[57:58], off, off offset:136
	v_cmp_lt_u32_e64 s1, 17, v0
	s_waitcnt vmcnt(0)
	ds_store_b64 v60, v[57:58]
	s_waitcnt lgkmcnt(0)
	s_waitcnt_vscnt null, 0x0
	s_barrier
	buffer_gl0_inv
	s_and_saveexec_b32 s3, s1
	s_cbranch_execz .LBB27_98
; %bb.89:
	s_and_not1_b32 vcc_lo, exec_lo, s2
	s_cbranch_vccnz .LBB27_91
; %bb.90:
	scratch_load_b64 v[57:58], v61, off
	ds_load_b64 v[71:72], v60
	s_waitcnt vmcnt(0) lgkmcnt(0)
	v_mul_f64 v[57:58], v[57:58], v[71:72]
	s_cbranch_execz .LBB27_92
	s_branch .LBB27_93
.LBB27_91:
                                        ; implicit-def: $vgpr57_vgpr58
.LBB27_92:
	ds_load_b64 v[57:58], v60
.LBB27_93:
	s_and_saveexec_b32 s4, s0
	s_cbranch_execz .LBB27_97
; %bb.94:
	v_subrev_nc_u32_e32 v71, 18, v0
	s_movk_i32 s5, 0x170
	s_mov_b32 s0, 0
.LBB27_95:                              ; =>This Inner Loop Header: Depth=1
	scratch_load_b64 v[72:73], v70, off
	v_dual_mov_b32 v74, s5 :: v_dual_add_nc_u32 v71, -1, v71
	v_add_nc_u32_e32 v70, 8, v70
	s_add_i32 s5, s5, 8
	ds_load_b64 v[74:75], v74
	v_cmp_eq_u32_e32 vcc_lo, 0, v71
	s_or_b32 s0, vcc_lo, s0
	s_waitcnt vmcnt(0) lgkmcnt(0)
	v_fma_f64 v[57:58], v[72:73], v[74:75], v[57:58]
	s_and_not1_b32 exec_lo, exec_lo, s0
	s_cbranch_execnz .LBB27_95
; %bb.96:
	s_or_b32 exec_lo, exec_lo, s0
.LBB27_97:
	s_delay_alu instid0(SALU_CYCLE_1)
	s_or_b32 exec_lo, exec_lo, s4
	v_mov_b32_e32 v70, 0
	ds_load_b64 v[70:71], v70 offset:136
	s_waitcnt lgkmcnt(0)
	v_mul_f64 v[57:58], v[57:58], v[70:71]
	scratch_store_b64 off, v[57:58], off offset:136
.LBB27_98:
	s_or_b32 exec_lo, exec_lo, s3
	scratch_load_b64 v[57:58], off, off offset:128
	v_cmp_lt_u32_e64 s0, 16, v0
	s_waitcnt vmcnt(0)
	ds_store_b64 v60, v[57:58]
	s_waitcnt lgkmcnt(0)
	s_waitcnt_vscnt null, 0x0
	s_barrier
	buffer_gl0_inv
	s_and_saveexec_b32 s3, s0
	s_cbranch_execz .LBB27_108
; %bb.99:
	s_and_not1_b32 vcc_lo, exec_lo, s2
	s_cbranch_vccnz .LBB27_101
; %bb.100:
	scratch_load_b64 v[57:58], v61, off
	ds_load_b64 v[70:71], v60
	s_waitcnt vmcnt(0) lgkmcnt(0)
	v_mul_f64 v[57:58], v[57:58], v[70:71]
	s_cbranch_execz .LBB27_102
	s_branch .LBB27_103
.LBB27_101:
                                        ; implicit-def: $vgpr57_vgpr58
.LBB27_102:
	ds_load_b64 v[57:58], v60
.LBB27_103:
	s_and_saveexec_b32 s4, s1
	s_cbranch_execz .LBB27_107
; %bb.104:
	v_mov_b32_e32 v70, 0
	v_subrev_nc_u32_e32 v71, 17, v0
	s_movk_i32 s5, 0x168
	s_mov_b32 s1, 0
	s_delay_alu instid0(VALU_DEP_2)
	v_add_nc_u32_e32 v70, 0x88, v70
.LBB27_105:                             ; =>This Inner Loop Header: Depth=1
	scratch_load_b64 v[72:73], v70, off
	v_dual_mov_b32 v74, s5 :: v_dual_add_nc_u32 v71, -1, v71
	v_add_nc_u32_e32 v70, 8, v70
	s_add_i32 s5, s5, 8
	ds_load_b64 v[74:75], v74
	v_cmp_eq_u32_e32 vcc_lo, 0, v71
	s_or_b32 s1, vcc_lo, s1
	s_waitcnt vmcnt(0) lgkmcnt(0)
	v_fma_f64 v[57:58], v[72:73], v[74:75], v[57:58]
	s_and_not1_b32 exec_lo, exec_lo, s1
	s_cbranch_execnz .LBB27_105
; %bb.106:
	s_or_b32 exec_lo, exec_lo, s1
.LBB27_107:
	s_delay_alu instid0(SALU_CYCLE_1)
	s_or_b32 exec_lo, exec_lo, s4
	v_mov_b32_e32 v70, 0
	ds_load_b64 v[70:71], v70 offset:128
	s_waitcnt lgkmcnt(0)
	v_mul_f64 v[57:58], v[57:58], v[70:71]
	scratch_store_b64 off, v[57:58], off offset:128
.LBB27_108:
	s_or_b32 exec_lo, exec_lo, s3
	scratch_load_b64 v[57:58], off, off offset:120
	v_cmp_lt_u32_e64 s1, 15, v0
	s_waitcnt vmcnt(0)
	ds_store_b64 v60, v[57:58]
	s_waitcnt lgkmcnt(0)
	s_waitcnt_vscnt null, 0x0
	s_barrier
	buffer_gl0_inv
	s_and_saveexec_b32 s3, s1
	s_cbranch_execz .LBB27_118
; %bb.109:
	s_and_not1_b32 vcc_lo, exec_lo, s2
	s_cbranch_vccnz .LBB27_111
; %bb.110:
	scratch_load_b64 v[57:58], v61, off
	ds_load_b64 v[70:71], v60
	s_waitcnt vmcnt(0) lgkmcnt(0)
	v_mul_f64 v[57:58], v[57:58], v[70:71]
	s_cbranch_execz .LBB27_112
	s_branch .LBB27_113
.LBB27_111:
                                        ; implicit-def: $vgpr57_vgpr58
.LBB27_112:
	ds_load_b64 v[57:58], v60
.LBB27_113:
	s_and_saveexec_b32 s4, s0
	s_cbranch_execz .LBB27_117
; %bb.114:
	v_add_nc_u32_e32 v70, -16, v0
	s_movk_i32 s5, 0x160
	s_mov_b32 s0, 0
.LBB27_115:                             ; =>This Inner Loop Header: Depth=1
	scratch_load_b64 v[71:72], v69, off
	v_dual_mov_b32 v73, s5 :: v_dual_add_nc_u32 v70, -1, v70
	v_add_nc_u32_e32 v69, 8, v69
	s_add_i32 s5, s5, 8
	ds_load_b64 v[73:74], v73
	v_cmp_eq_u32_e32 vcc_lo, 0, v70
	s_or_b32 s0, vcc_lo, s0
	s_waitcnt vmcnt(0) lgkmcnt(0)
	v_fma_f64 v[57:58], v[71:72], v[73:74], v[57:58]
	s_and_not1_b32 exec_lo, exec_lo, s0
	s_cbranch_execnz .LBB27_115
; %bb.116:
	s_or_b32 exec_lo, exec_lo, s0
.LBB27_117:
	s_delay_alu instid0(SALU_CYCLE_1)
	s_or_b32 exec_lo, exec_lo, s4
	v_mov_b32_e32 v69, 0
	ds_load_b64 v[69:70], v69 offset:120
	s_waitcnt lgkmcnt(0)
	v_mul_f64 v[57:58], v[57:58], v[69:70]
	scratch_store_b64 off, v[57:58], off offset:120
.LBB27_118:
	s_or_b32 exec_lo, exec_lo, s3
	scratch_load_b64 v[57:58], off, off offset:112
	v_cmp_lt_u32_e64 s0, 14, v0
	s_waitcnt vmcnt(0)
	ds_store_b64 v60, v[57:58]
	s_waitcnt lgkmcnt(0)
	s_waitcnt_vscnt null, 0x0
	s_barrier
	buffer_gl0_inv
	s_and_saveexec_b32 s3, s0
	s_cbranch_execz .LBB27_128
; %bb.119:
	s_and_not1_b32 vcc_lo, exec_lo, s2
	s_cbranch_vccnz .LBB27_121
; %bb.120:
	scratch_load_b64 v[57:58], v61, off
	ds_load_b64 v[69:70], v60
	s_waitcnt vmcnt(0) lgkmcnt(0)
	v_mul_f64 v[57:58], v[57:58], v[69:70]
	s_cbranch_execz .LBB27_122
	s_branch .LBB27_123
.LBB27_121:
                                        ; implicit-def: $vgpr57_vgpr58
.LBB27_122:
	ds_load_b64 v[57:58], v60
.LBB27_123:
	s_and_saveexec_b32 s4, s1
	s_cbranch_execz .LBB27_127
; %bb.124:
	v_dual_mov_b32 v69, 0 :: v_dual_add_nc_u32 v70, -15, v0
	s_movk_i32 s5, 0x158
	s_mov_b32 s1, 0
	s_delay_alu instid0(VALU_DEP_1)
	v_add_nc_u32_e32 v69, 0x78, v69
.LBB27_125:                             ; =>This Inner Loop Header: Depth=1
	scratch_load_b64 v[71:72], v69, off
	v_dual_mov_b32 v73, s5 :: v_dual_add_nc_u32 v70, -1, v70
	v_add_nc_u32_e32 v69, 8, v69
	s_add_i32 s5, s5, 8
	ds_load_b64 v[73:74], v73
	v_cmp_eq_u32_e32 vcc_lo, 0, v70
	s_or_b32 s1, vcc_lo, s1
	s_waitcnt vmcnt(0) lgkmcnt(0)
	v_fma_f64 v[57:58], v[71:72], v[73:74], v[57:58]
	s_and_not1_b32 exec_lo, exec_lo, s1
	s_cbranch_execnz .LBB27_125
; %bb.126:
	s_or_b32 exec_lo, exec_lo, s1
.LBB27_127:
	s_delay_alu instid0(SALU_CYCLE_1)
	s_or_b32 exec_lo, exec_lo, s4
	v_mov_b32_e32 v69, 0
	ds_load_b64 v[69:70], v69 offset:112
	s_waitcnt lgkmcnt(0)
	v_mul_f64 v[57:58], v[57:58], v[69:70]
	scratch_store_b64 off, v[57:58], off offset:112
.LBB27_128:
	s_or_b32 exec_lo, exec_lo, s3
	scratch_load_b64 v[57:58], off, off offset:104
	v_cmp_lt_u32_e64 s1, 13, v0
	s_waitcnt vmcnt(0)
	ds_store_b64 v60, v[57:58]
	s_waitcnt lgkmcnt(0)
	s_waitcnt_vscnt null, 0x0
	s_barrier
	buffer_gl0_inv
	s_and_saveexec_b32 s3, s1
	s_cbranch_execz .LBB27_138
; %bb.129:
	s_and_not1_b32 vcc_lo, exec_lo, s2
	s_cbranch_vccnz .LBB27_131
; %bb.130:
	scratch_load_b64 v[57:58], v61, off
	ds_load_b64 v[69:70], v60
	s_waitcnt vmcnt(0) lgkmcnt(0)
	v_mul_f64 v[57:58], v[57:58], v[69:70]
	s_cbranch_execz .LBB27_132
	s_branch .LBB27_133
.LBB27_131:
                                        ; implicit-def: $vgpr57_vgpr58
.LBB27_132:
	ds_load_b64 v[57:58], v60
.LBB27_133:
	s_and_saveexec_b32 s4, s0
	s_cbranch_execz .LBB27_137
; %bb.134:
	v_add_nc_u32_e32 v69, -14, v0
	s_movk_i32 s5, 0x150
	s_mov_b32 s0, 0
.LBB27_135:                             ; =>This Inner Loop Header: Depth=1
	scratch_load_b64 v[70:71], v68, off
	v_dual_mov_b32 v72, s5 :: v_dual_add_nc_u32 v69, -1, v69
	v_add_nc_u32_e32 v68, 8, v68
	s_add_i32 s5, s5, 8
	ds_load_b64 v[72:73], v72
	v_cmp_eq_u32_e32 vcc_lo, 0, v69
	s_or_b32 s0, vcc_lo, s0
	s_waitcnt vmcnt(0) lgkmcnt(0)
	v_fma_f64 v[57:58], v[70:71], v[72:73], v[57:58]
	s_and_not1_b32 exec_lo, exec_lo, s0
	s_cbranch_execnz .LBB27_135
; %bb.136:
	s_or_b32 exec_lo, exec_lo, s0
.LBB27_137:
	s_delay_alu instid0(SALU_CYCLE_1)
	s_or_b32 exec_lo, exec_lo, s4
	v_mov_b32_e32 v68, 0
	ds_load_b64 v[68:69], v68 offset:104
	s_waitcnt lgkmcnt(0)
	v_mul_f64 v[57:58], v[57:58], v[68:69]
	scratch_store_b64 off, v[57:58], off offset:104
.LBB27_138:
	s_or_b32 exec_lo, exec_lo, s3
	scratch_load_b64 v[57:58], off, off offset:96
	v_cmp_lt_u32_e64 s0, 12, v0
	s_waitcnt vmcnt(0)
	ds_store_b64 v60, v[57:58]
	s_waitcnt lgkmcnt(0)
	s_waitcnt_vscnt null, 0x0
	s_barrier
	buffer_gl0_inv
	s_and_saveexec_b32 s3, s0
	s_cbranch_execz .LBB27_148
; %bb.139:
	s_and_not1_b32 vcc_lo, exec_lo, s2
	s_cbranch_vccnz .LBB27_141
; %bb.140:
	scratch_load_b64 v[57:58], v61, off
	ds_load_b64 v[68:69], v60
	s_waitcnt vmcnt(0) lgkmcnt(0)
	v_mul_f64 v[57:58], v[57:58], v[68:69]
	s_cbranch_execz .LBB27_142
	s_branch .LBB27_143
.LBB27_141:
                                        ; implicit-def: $vgpr57_vgpr58
.LBB27_142:
	ds_load_b64 v[57:58], v60
.LBB27_143:
	s_and_saveexec_b32 s4, s1
	s_cbranch_execz .LBB27_147
; %bb.144:
	v_dual_mov_b32 v68, 0 :: v_dual_add_nc_u32 v69, -13, v0
	s_movk_i32 s5, 0x148
	s_mov_b32 s1, 0
	s_delay_alu instid0(VALU_DEP_1)
	v_add_nc_u32_e32 v68, 0x68, v68
.LBB27_145:                             ; =>This Inner Loop Header: Depth=1
	scratch_load_b64 v[70:71], v68, off
	v_dual_mov_b32 v72, s5 :: v_dual_add_nc_u32 v69, -1, v69
	v_add_nc_u32_e32 v68, 8, v68
	s_add_i32 s5, s5, 8
	ds_load_b64 v[72:73], v72
	v_cmp_eq_u32_e32 vcc_lo, 0, v69
	s_or_b32 s1, vcc_lo, s1
	s_waitcnt vmcnt(0) lgkmcnt(0)
	v_fma_f64 v[57:58], v[70:71], v[72:73], v[57:58]
	s_and_not1_b32 exec_lo, exec_lo, s1
	s_cbranch_execnz .LBB27_145
; %bb.146:
	s_or_b32 exec_lo, exec_lo, s1
.LBB27_147:
	s_delay_alu instid0(SALU_CYCLE_1)
	s_or_b32 exec_lo, exec_lo, s4
	v_mov_b32_e32 v68, 0
	ds_load_b64 v[68:69], v68 offset:96
	s_waitcnt lgkmcnt(0)
	v_mul_f64 v[57:58], v[57:58], v[68:69]
	scratch_store_b64 off, v[57:58], off offset:96
.LBB27_148:
	s_or_b32 exec_lo, exec_lo, s3
	scratch_load_b64 v[57:58], off, off offset:88
	v_cmp_lt_u32_e64 s1, 11, v0
	s_waitcnt vmcnt(0)
	ds_store_b64 v60, v[57:58]
	s_waitcnt lgkmcnt(0)
	s_waitcnt_vscnt null, 0x0
	s_barrier
	buffer_gl0_inv
	s_and_saveexec_b32 s3, s1
	s_cbranch_execz .LBB27_158
; %bb.149:
	s_and_not1_b32 vcc_lo, exec_lo, s2
	s_cbranch_vccnz .LBB27_151
; %bb.150:
	scratch_load_b64 v[57:58], v61, off
	ds_load_b64 v[68:69], v60
	s_waitcnt vmcnt(0) lgkmcnt(0)
	v_mul_f64 v[57:58], v[57:58], v[68:69]
	s_cbranch_execz .LBB27_152
	s_branch .LBB27_153
.LBB27_151:
                                        ; implicit-def: $vgpr57_vgpr58
.LBB27_152:
	ds_load_b64 v[57:58], v60
.LBB27_153:
	s_and_saveexec_b32 s4, s0
	s_cbranch_execz .LBB27_157
; %bb.154:
	v_add_nc_u32_e32 v68, -12, v0
	s_movk_i32 s5, 0x140
	s_mov_b32 s0, 0
.LBB27_155:                             ; =>This Inner Loop Header: Depth=1
	scratch_load_b64 v[69:70], v67, off
	v_dual_mov_b32 v71, s5 :: v_dual_add_nc_u32 v68, -1, v68
	v_add_nc_u32_e32 v67, 8, v67
	s_add_i32 s5, s5, 8
	ds_load_b64 v[71:72], v71
	v_cmp_eq_u32_e32 vcc_lo, 0, v68
	s_or_b32 s0, vcc_lo, s0
	s_waitcnt vmcnt(0) lgkmcnt(0)
	v_fma_f64 v[57:58], v[69:70], v[71:72], v[57:58]
	s_and_not1_b32 exec_lo, exec_lo, s0
	s_cbranch_execnz .LBB27_155
; %bb.156:
	s_or_b32 exec_lo, exec_lo, s0
.LBB27_157:
	s_delay_alu instid0(SALU_CYCLE_1)
	s_or_b32 exec_lo, exec_lo, s4
	v_mov_b32_e32 v67, 0
	ds_load_b64 v[67:68], v67 offset:88
	s_waitcnt lgkmcnt(0)
	v_mul_f64 v[57:58], v[57:58], v[67:68]
	scratch_store_b64 off, v[57:58], off offset:88
.LBB27_158:
	s_or_b32 exec_lo, exec_lo, s3
	scratch_load_b64 v[57:58], off, off offset:80
	v_cmp_lt_u32_e64 s0, 10, v0
	s_waitcnt vmcnt(0)
	ds_store_b64 v60, v[57:58]
	s_waitcnt lgkmcnt(0)
	s_waitcnt_vscnt null, 0x0
	s_barrier
	buffer_gl0_inv
	s_and_saveexec_b32 s3, s0
	s_cbranch_execz .LBB27_168
; %bb.159:
	s_and_not1_b32 vcc_lo, exec_lo, s2
	s_cbranch_vccnz .LBB27_161
; %bb.160:
	scratch_load_b64 v[57:58], v61, off
	ds_load_b64 v[67:68], v60
	s_waitcnt vmcnt(0) lgkmcnt(0)
	v_mul_f64 v[57:58], v[57:58], v[67:68]
	s_cbranch_execz .LBB27_162
	s_branch .LBB27_163
.LBB27_161:
                                        ; implicit-def: $vgpr57_vgpr58
.LBB27_162:
	ds_load_b64 v[57:58], v60
.LBB27_163:
	s_and_saveexec_b32 s4, s1
	s_cbranch_execz .LBB27_167
; %bb.164:
	v_dual_mov_b32 v67, 0 :: v_dual_add_nc_u32 v68, -11, v0
	s_movk_i32 s5, 0x138
	s_mov_b32 s1, 0
	s_delay_alu instid0(VALU_DEP_1)
	v_add_nc_u32_e32 v67, 0x58, v67
.LBB27_165:                             ; =>This Inner Loop Header: Depth=1
	scratch_load_b64 v[69:70], v67, off
	v_dual_mov_b32 v71, s5 :: v_dual_add_nc_u32 v68, -1, v68
	v_add_nc_u32_e32 v67, 8, v67
	s_add_i32 s5, s5, 8
	ds_load_b64 v[71:72], v71
	v_cmp_eq_u32_e32 vcc_lo, 0, v68
	s_or_b32 s1, vcc_lo, s1
	s_waitcnt vmcnt(0) lgkmcnt(0)
	v_fma_f64 v[57:58], v[69:70], v[71:72], v[57:58]
	s_and_not1_b32 exec_lo, exec_lo, s1
	s_cbranch_execnz .LBB27_165
; %bb.166:
	s_or_b32 exec_lo, exec_lo, s1
.LBB27_167:
	s_delay_alu instid0(SALU_CYCLE_1)
	s_or_b32 exec_lo, exec_lo, s4
	v_mov_b32_e32 v67, 0
	ds_load_b64 v[67:68], v67 offset:80
	s_waitcnt lgkmcnt(0)
	v_mul_f64 v[57:58], v[57:58], v[67:68]
	scratch_store_b64 off, v[57:58], off offset:80
.LBB27_168:
	s_or_b32 exec_lo, exec_lo, s3
	scratch_load_b64 v[57:58], off, off offset:72
	v_cmp_lt_u32_e64 s1, 9, v0
	s_waitcnt vmcnt(0)
	ds_store_b64 v60, v[57:58]
	s_waitcnt lgkmcnt(0)
	s_waitcnt_vscnt null, 0x0
	s_barrier
	buffer_gl0_inv
	s_and_saveexec_b32 s3, s1
	s_cbranch_execz .LBB27_178
; %bb.169:
	s_and_not1_b32 vcc_lo, exec_lo, s2
	s_cbranch_vccnz .LBB27_171
; %bb.170:
	scratch_load_b64 v[57:58], v61, off
	ds_load_b64 v[67:68], v60
	s_waitcnt vmcnt(0) lgkmcnt(0)
	v_mul_f64 v[57:58], v[57:58], v[67:68]
	s_cbranch_execz .LBB27_172
	s_branch .LBB27_173
.LBB27_171:
                                        ; implicit-def: $vgpr57_vgpr58
.LBB27_172:
	ds_load_b64 v[57:58], v60
.LBB27_173:
	s_and_saveexec_b32 s4, s0
	s_cbranch_execz .LBB27_177
; %bb.174:
	v_add_nc_u32_e32 v67, -10, v0
	s_movk_i32 s5, 0x130
	s_mov_b32 s0, 0
.LBB27_175:                             ; =>This Inner Loop Header: Depth=1
	scratch_load_b64 v[68:69], v66, off
	v_dual_mov_b32 v70, s5 :: v_dual_add_nc_u32 v67, -1, v67
	v_add_nc_u32_e32 v66, 8, v66
	s_add_i32 s5, s5, 8
	ds_load_b64 v[70:71], v70
	v_cmp_eq_u32_e32 vcc_lo, 0, v67
	s_or_b32 s0, vcc_lo, s0
	s_waitcnt vmcnt(0) lgkmcnt(0)
	v_fma_f64 v[57:58], v[68:69], v[70:71], v[57:58]
	s_and_not1_b32 exec_lo, exec_lo, s0
	s_cbranch_execnz .LBB27_175
; %bb.176:
	s_or_b32 exec_lo, exec_lo, s0
.LBB27_177:
	s_delay_alu instid0(SALU_CYCLE_1)
	s_or_b32 exec_lo, exec_lo, s4
	v_mov_b32_e32 v66, 0
	ds_load_b64 v[66:67], v66 offset:72
	s_waitcnt lgkmcnt(0)
	v_mul_f64 v[57:58], v[57:58], v[66:67]
	scratch_store_b64 off, v[57:58], off offset:72
.LBB27_178:
	s_or_b32 exec_lo, exec_lo, s3
	scratch_load_b64 v[57:58], off, off offset:64
	v_cmp_lt_u32_e64 s0, 8, v0
	s_waitcnt vmcnt(0)
	ds_store_b64 v60, v[57:58]
	s_waitcnt lgkmcnt(0)
	s_waitcnt_vscnt null, 0x0
	s_barrier
	buffer_gl0_inv
	s_and_saveexec_b32 s3, s0
	s_cbranch_execz .LBB27_188
; %bb.179:
	s_and_not1_b32 vcc_lo, exec_lo, s2
	s_cbranch_vccnz .LBB27_181
; %bb.180:
	scratch_load_b64 v[57:58], v61, off
	ds_load_b64 v[66:67], v60
	s_waitcnt vmcnt(0) lgkmcnt(0)
	v_mul_f64 v[57:58], v[57:58], v[66:67]
	s_cbranch_execz .LBB27_182
	s_branch .LBB27_183
.LBB27_181:
                                        ; implicit-def: $vgpr57_vgpr58
.LBB27_182:
	ds_load_b64 v[57:58], v60
.LBB27_183:
	s_and_saveexec_b32 s4, s1
	s_cbranch_execz .LBB27_187
; %bb.184:
	v_dual_mov_b32 v66, 0 :: v_dual_add_nc_u32 v67, -9, v0
	s_movk_i32 s5, 0x128
	s_mov_b32 s1, 0
	s_delay_alu instid0(VALU_DEP_1)
	v_add_nc_u32_e32 v66, 0x48, v66
.LBB27_185:                             ; =>This Inner Loop Header: Depth=1
	scratch_load_b64 v[68:69], v66, off
	v_dual_mov_b32 v70, s5 :: v_dual_add_nc_u32 v67, -1, v67
	v_add_nc_u32_e32 v66, 8, v66
	s_add_i32 s5, s5, 8
	ds_load_b64 v[70:71], v70
	v_cmp_eq_u32_e32 vcc_lo, 0, v67
	s_or_b32 s1, vcc_lo, s1
	s_waitcnt vmcnt(0) lgkmcnt(0)
	v_fma_f64 v[57:58], v[68:69], v[70:71], v[57:58]
	s_and_not1_b32 exec_lo, exec_lo, s1
	s_cbranch_execnz .LBB27_185
; %bb.186:
	s_or_b32 exec_lo, exec_lo, s1
.LBB27_187:
	s_delay_alu instid0(SALU_CYCLE_1)
	s_or_b32 exec_lo, exec_lo, s4
	v_mov_b32_e32 v66, 0
	ds_load_b64 v[66:67], v66 offset:64
	s_waitcnt lgkmcnt(0)
	v_mul_f64 v[57:58], v[57:58], v[66:67]
	scratch_store_b64 off, v[57:58], off offset:64
.LBB27_188:
	s_or_b32 exec_lo, exec_lo, s3
	scratch_load_b64 v[57:58], off, off offset:56
	v_cmp_lt_u32_e64 s1, 7, v0
	s_waitcnt vmcnt(0)
	ds_store_b64 v60, v[57:58]
	s_waitcnt lgkmcnt(0)
	s_waitcnt_vscnt null, 0x0
	s_barrier
	buffer_gl0_inv
	s_and_saveexec_b32 s3, s1
	s_cbranch_execz .LBB27_198
; %bb.189:
	s_and_not1_b32 vcc_lo, exec_lo, s2
	s_cbranch_vccnz .LBB27_191
; %bb.190:
	scratch_load_b64 v[57:58], v61, off
	ds_load_b64 v[66:67], v60
	s_waitcnt vmcnt(0) lgkmcnt(0)
	v_mul_f64 v[57:58], v[57:58], v[66:67]
	s_cbranch_execz .LBB27_192
	s_branch .LBB27_193
.LBB27_191:
                                        ; implicit-def: $vgpr57_vgpr58
.LBB27_192:
	ds_load_b64 v[57:58], v60
.LBB27_193:
	s_and_saveexec_b32 s4, s0
	s_cbranch_execz .LBB27_197
; %bb.194:
	v_add_nc_u32_e32 v66, -8, v0
	s_movk_i32 s5, 0x120
	s_mov_b32 s0, 0
.LBB27_195:                             ; =>This Inner Loop Header: Depth=1
	scratch_load_b64 v[67:68], v65, off
	v_dual_mov_b32 v69, s5 :: v_dual_add_nc_u32 v66, -1, v66
	v_add_nc_u32_e32 v65, 8, v65
	s_add_i32 s5, s5, 8
	ds_load_b64 v[69:70], v69
	v_cmp_eq_u32_e32 vcc_lo, 0, v66
	s_or_b32 s0, vcc_lo, s0
	s_waitcnt vmcnt(0) lgkmcnt(0)
	v_fma_f64 v[57:58], v[67:68], v[69:70], v[57:58]
	s_and_not1_b32 exec_lo, exec_lo, s0
	s_cbranch_execnz .LBB27_195
; %bb.196:
	s_or_b32 exec_lo, exec_lo, s0
.LBB27_197:
	s_delay_alu instid0(SALU_CYCLE_1)
	s_or_b32 exec_lo, exec_lo, s4
	v_mov_b32_e32 v65, 0
	ds_load_b64 v[65:66], v65 offset:56
	s_waitcnt lgkmcnt(0)
	v_mul_f64 v[57:58], v[57:58], v[65:66]
	scratch_store_b64 off, v[57:58], off offset:56
.LBB27_198:
	s_or_b32 exec_lo, exec_lo, s3
	scratch_load_b64 v[57:58], off, off offset:48
	v_cmp_lt_u32_e64 s0, 6, v0
	s_waitcnt vmcnt(0)
	ds_store_b64 v60, v[57:58]
	s_waitcnt lgkmcnt(0)
	s_waitcnt_vscnt null, 0x0
	s_barrier
	buffer_gl0_inv
	s_and_saveexec_b32 s3, s0
	s_cbranch_execz .LBB27_208
; %bb.199:
	s_and_not1_b32 vcc_lo, exec_lo, s2
	s_cbranch_vccnz .LBB27_201
; %bb.200:
	scratch_load_b64 v[57:58], v61, off
	ds_load_b64 v[65:66], v60
	s_waitcnt vmcnt(0) lgkmcnt(0)
	v_mul_f64 v[57:58], v[57:58], v[65:66]
	s_cbranch_execz .LBB27_202
	s_branch .LBB27_203
.LBB27_201:
                                        ; implicit-def: $vgpr57_vgpr58
.LBB27_202:
	ds_load_b64 v[57:58], v60
.LBB27_203:
	s_and_saveexec_b32 s4, s1
	s_cbranch_execz .LBB27_207
; %bb.204:
	v_add_nc_u32_e64 v65, 0, 56
	v_add_nc_u32_e32 v66, -7, v0
	s_movk_i32 s5, 0x118
	s_mov_b32 s1, 0
.LBB27_205:                             ; =>This Inner Loop Header: Depth=1
	scratch_load_b64 v[67:68], v65, off
	v_dual_mov_b32 v69, s5 :: v_dual_add_nc_u32 v66, -1, v66
	v_add_nc_u32_e32 v65, 8, v65
	s_add_i32 s5, s5, 8
	ds_load_b64 v[69:70], v69
	v_cmp_eq_u32_e32 vcc_lo, 0, v66
	s_or_b32 s1, vcc_lo, s1
	s_waitcnt vmcnt(0) lgkmcnt(0)
	v_fma_f64 v[57:58], v[67:68], v[69:70], v[57:58]
	s_and_not1_b32 exec_lo, exec_lo, s1
	s_cbranch_execnz .LBB27_205
; %bb.206:
	s_or_b32 exec_lo, exec_lo, s1
.LBB27_207:
	s_delay_alu instid0(SALU_CYCLE_1)
	s_or_b32 exec_lo, exec_lo, s4
	v_mov_b32_e32 v65, 0
	ds_load_b64 v[65:66], v65 offset:48
	s_waitcnt lgkmcnt(0)
	v_mul_f64 v[57:58], v[57:58], v[65:66]
	scratch_store_b64 off, v[57:58], off offset:48
.LBB27_208:
	s_or_b32 exec_lo, exec_lo, s3
	scratch_load_b64 v[57:58], off, off offset:40
	v_cmp_lt_u32_e64 s1, 5, v0
	s_waitcnt vmcnt(0)
	ds_store_b64 v60, v[57:58]
	s_waitcnt lgkmcnt(0)
	s_waitcnt_vscnt null, 0x0
	s_barrier
	buffer_gl0_inv
	s_and_saveexec_b32 s3, s1
	s_cbranch_execz .LBB27_218
; %bb.209:
	s_and_not1_b32 vcc_lo, exec_lo, s2
	s_cbranch_vccnz .LBB27_211
; %bb.210:
	scratch_load_b64 v[57:58], v61, off
	ds_load_b64 v[65:66], v60
	s_waitcnt vmcnt(0) lgkmcnt(0)
	v_mul_f64 v[57:58], v[57:58], v[65:66]
	s_cbranch_execz .LBB27_212
	s_branch .LBB27_213
.LBB27_211:
                                        ; implicit-def: $vgpr57_vgpr58
.LBB27_212:
	ds_load_b64 v[57:58], v60
.LBB27_213:
	s_and_saveexec_b32 s4, s0
	s_cbranch_execz .LBB27_217
; %bb.214:
	v_add_nc_u32_e32 v65, -6, v0
	s_movk_i32 s5, 0x110
	s_mov_b32 s0, 0
.LBB27_215:                             ; =>This Inner Loop Header: Depth=1
	scratch_load_b64 v[66:67], v64, off
	v_dual_mov_b32 v68, s5 :: v_dual_add_nc_u32 v65, -1, v65
	v_add_nc_u32_e32 v64, 8, v64
	s_add_i32 s5, s5, 8
	ds_load_b64 v[68:69], v68
	v_cmp_eq_u32_e32 vcc_lo, 0, v65
	s_or_b32 s0, vcc_lo, s0
	s_waitcnt vmcnt(0) lgkmcnt(0)
	v_fma_f64 v[57:58], v[66:67], v[68:69], v[57:58]
	s_and_not1_b32 exec_lo, exec_lo, s0
	s_cbranch_execnz .LBB27_215
; %bb.216:
	s_or_b32 exec_lo, exec_lo, s0
.LBB27_217:
	s_delay_alu instid0(SALU_CYCLE_1)
	s_or_b32 exec_lo, exec_lo, s4
	v_mov_b32_e32 v64, 0
	ds_load_b64 v[64:65], v64 offset:40
	s_waitcnt lgkmcnt(0)
	v_mul_f64 v[57:58], v[57:58], v[64:65]
	scratch_store_b64 off, v[57:58], off offset:40
.LBB27_218:
	s_or_b32 exec_lo, exec_lo, s3
	scratch_load_b64 v[57:58], off, off offset:32
	v_cmp_lt_u32_e64 s0, 4, v0
	s_waitcnt vmcnt(0)
	ds_store_b64 v60, v[57:58]
	s_waitcnt lgkmcnt(0)
	s_waitcnt_vscnt null, 0x0
	s_barrier
	buffer_gl0_inv
	s_and_saveexec_b32 s3, s0
	s_cbranch_execz .LBB27_228
; %bb.219:
	s_and_not1_b32 vcc_lo, exec_lo, s2
	s_cbranch_vccnz .LBB27_221
; %bb.220:
	scratch_load_b64 v[57:58], v61, off
	ds_load_b64 v[64:65], v60
	s_waitcnt vmcnt(0) lgkmcnt(0)
	v_mul_f64 v[57:58], v[57:58], v[64:65]
	s_cbranch_execz .LBB27_222
	s_branch .LBB27_223
.LBB27_221:
                                        ; implicit-def: $vgpr57_vgpr58
.LBB27_222:
	ds_load_b64 v[57:58], v60
.LBB27_223:
	s_and_saveexec_b32 s4, s1
	s_cbranch_execz .LBB27_227
; %bb.224:
	v_add_nc_u32_e64 v64, 0, 40
	v_add_nc_u32_e32 v65, -5, v0
	s_movk_i32 s5, 0x108
	s_mov_b32 s1, 0
.LBB27_225:                             ; =>This Inner Loop Header: Depth=1
	scratch_load_b64 v[66:67], v64, off
	v_dual_mov_b32 v68, s5 :: v_dual_add_nc_u32 v65, -1, v65
	v_add_nc_u32_e32 v64, 8, v64
	s_add_i32 s5, s5, 8
	ds_load_b64 v[68:69], v68
	v_cmp_eq_u32_e32 vcc_lo, 0, v65
	s_or_b32 s1, vcc_lo, s1
	s_waitcnt vmcnt(0) lgkmcnt(0)
	v_fma_f64 v[57:58], v[66:67], v[68:69], v[57:58]
	s_and_not1_b32 exec_lo, exec_lo, s1
	s_cbranch_execnz .LBB27_225
; %bb.226:
	s_or_b32 exec_lo, exec_lo, s1
.LBB27_227:
	s_delay_alu instid0(SALU_CYCLE_1)
	s_or_b32 exec_lo, exec_lo, s4
	v_mov_b32_e32 v64, 0
	ds_load_b64 v[64:65], v64 offset:32
	s_waitcnt lgkmcnt(0)
	v_mul_f64 v[57:58], v[57:58], v[64:65]
	scratch_store_b64 off, v[57:58], off offset:32
.LBB27_228:
	s_or_b32 exec_lo, exec_lo, s3
	scratch_load_b64 v[57:58], off, off offset:24
	v_cmp_lt_u32_e64 s1, 3, v0
	s_waitcnt vmcnt(0)
	ds_store_b64 v60, v[57:58]
	s_waitcnt lgkmcnt(0)
	s_waitcnt_vscnt null, 0x0
	s_barrier
	buffer_gl0_inv
	s_and_saveexec_b32 s3, s1
	s_cbranch_execz .LBB27_238
; %bb.229:
	s_and_not1_b32 vcc_lo, exec_lo, s2
	s_cbranch_vccnz .LBB27_231
; %bb.230:
	scratch_load_b64 v[57:58], v61, off
	ds_load_b64 v[64:65], v60
	s_waitcnt vmcnt(0) lgkmcnt(0)
	v_mul_f64 v[57:58], v[57:58], v[64:65]
	s_cbranch_execz .LBB27_232
	s_branch .LBB27_233
.LBB27_231:
                                        ; implicit-def: $vgpr57_vgpr58
.LBB27_232:
	ds_load_b64 v[57:58], v60
.LBB27_233:
	s_and_saveexec_b32 s4, s0
	s_cbranch_execz .LBB27_237
; %bb.234:
	v_add_nc_u32_e32 v64, -4, v0
	s_movk_i32 s5, 0x100
	s_mov_b32 s0, 0
.LBB27_235:                             ; =>This Inner Loop Header: Depth=1
	scratch_load_b64 v[65:66], v63, off
	v_dual_mov_b32 v67, s5 :: v_dual_add_nc_u32 v64, -1, v64
	v_add_nc_u32_e32 v63, 8, v63
	s_add_i32 s5, s5, 8
	ds_load_b64 v[67:68], v67
	v_cmp_eq_u32_e32 vcc_lo, 0, v64
	s_or_b32 s0, vcc_lo, s0
	s_waitcnt vmcnt(0) lgkmcnt(0)
	v_fma_f64 v[57:58], v[65:66], v[67:68], v[57:58]
	s_and_not1_b32 exec_lo, exec_lo, s0
	s_cbranch_execnz .LBB27_235
; %bb.236:
	s_or_b32 exec_lo, exec_lo, s0
.LBB27_237:
	s_delay_alu instid0(SALU_CYCLE_1)
	s_or_b32 exec_lo, exec_lo, s4
	v_mov_b32_e32 v63, 0
	ds_load_b64 v[63:64], v63 offset:24
	s_waitcnt lgkmcnt(0)
	v_mul_f64 v[57:58], v[57:58], v[63:64]
	scratch_store_b64 off, v[57:58], off offset:24
.LBB27_238:
	s_or_b32 exec_lo, exec_lo, s3
	scratch_load_b64 v[57:58], off, off offset:16
	v_cmp_lt_u32_e64 s0, 2, v0
	s_waitcnt vmcnt(0)
	ds_store_b64 v60, v[57:58]
	s_waitcnt lgkmcnt(0)
	s_waitcnt_vscnt null, 0x0
	s_barrier
	buffer_gl0_inv
	s_and_saveexec_b32 s3, s0
	s_cbranch_execz .LBB27_248
; %bb.239:
	s_and_not1_b32 vcc_lo, exec_lo, s2
	s_cbranch_vccnz .LBB27_241
; %bb.240:
	scratch_load_b64 v[57:58], v61, off
	ds_load_b64 v[63:64], v60
	s_waitcnt vmcnt(0) lgkmcnt(0)
	v_mul_f64 v[57:58], v[57:58], v[63:64]
	s_cbranch_execz .LBB27_242
	s_branch .LBB27_243
.LBB27_241:
                                        ; implicit-def: $vgpr57_vgpr58
.LBB27_242:
	ds_load_b64 v[57:58], v60
.LBB27_243:
	s_and_saveexec_b32 s4, s1
	s_cbranch_execz .LBB27_247
; %bb.244:
	v_add_nc_u32_e64 v63, 0, 24
	v_add_nc_u32_e32 v64, -3, v0
	s_movk_i32 s5, 0xf8
	s_mov_b32 s1, 0
.LBB27_245:                             ; =>This Inner Loop Header: Depth=1
	scratch_load_b64 v[65:66], v63, off
	v_dual_mov_b32 v67, s5 :: v_dual_add_nc_u32 v64, -1, v64
	v_add_nc_u32_e32 v63, 8, v63
	s_add_i32 s5, s5, 8
	ds_load_b64 v[67:68], v67
	v_cmp_eq_u32_e32 vcc_lo, 0, v64
	s_or_b32 s1, vcc_lo, s1
	s_waitcnt vmcnt(0) lgkmcnt(0)
	v_fma_f64 v[57:58], v[65:66], v[67:68], v[57:58]
	s_and_not1_b32 exec_lo, exec_lo, s1
	s_cbranch_execnz .LBB27_245
; %bb.246:
	s_or_b32 exec_lo, exec_lo, s1
.LBB27_247:
	s_delay_alu instid0(SALU_CYCLE_1)
	s_or_b32 exec_lo, exec_lo, s4
	v_mov_b32_e32 v63, 0
	ds_load_b64 v[63:64], v63 offset:16
	s_waitcnt lgkmcnt(0)
	v_mul_f64 v[57:58], v[57:58], v[63:64]
	scratch_store_b64 off, v[57:58], off offset:16
.LBB27_248:
	s_or_b32 exec_lo, exec_lo, s3
	scratch_load_b64 v[57:58], off, off offset:8
	v_cmp_lt_u32_e64 s1, 1, v0
	s_waitcnt vmcnt(0)
	ds_store_b64 v60, v[57:58]
	s_waitcnt lgkmcnt(0)
	s_waitcnt_vscnt null, 0x0
	s_barrier
	buffer_gl0_inv
	s_and_saveexec_b32 s3, s1
	s_cbranch_execz .LBB27_258
; %bb.249:
	s_and_not1_b32 vcc_lo, exec_lo, s2
	s_cbranch_vccnz .LBB27_251
; %bb.250:
	scratch_load_b64 v[57:58], v61, off
	ds_load_b64 v[63:64], v60
	s_waitcnt vmcnt(0) lgkmcnt(0)
	v_mul_f64 v[57:58], v[57:58], v[63:64]
	s_cbranch_execz .LBB27_252
	s_branch .LBB27_253
.LBB27_251:
                                        ; implicit-def: $vgpr57_vgpr58
.LBB27_252:
	ds_load_b64 v[57:58], v60
.LBB27_253:
	s_and_saveexec_b32 s4, s0
	s_cbranch_execz .LBB27_257
; %bb.254:
	v_add_nc_u32_e32 v63, -2, v0
	s_movk_i32 s5, 0xf0
	s_mov_b32 s0, 0
.LBB27_255:                             ; =>This Inner Loop Header: Depth=1
	scratch_load_b64 v[64:65], v62, off
	v_dual_mov_b32 v66, s5 :: v_dual_add_nc_u32 v63, -1, v63
	v_add_nc_u32_e32 v62, 8, v62
	s_add_i32 s5, s5, 8
	ds_load_b64 v[66:67], v66
	v_cmp_eq_u32_e32 vcc_lo, 0, v63
	s_or_b32 s0, vcc_lo, s0
	s_waitcnt vmcnt(0) lgkmcnt(0)
	v_fma_f64 v[57:58], v[64:65], v[66:67], v[57:58]
	s_and_not1_b32 exec_lo, exec_lo, s0
	s_cbranch_execnz .LBB27_255
; %bb.256:
	s_or_b32 exec_lo, exec_lo, s0
.LBB27_257:
	s_delay_alu instid0(SALU_CYCLE_1)
	s_or_b32 exec_lo, exec_lo, s4
	v_mov_b32_e32 v62, 0
	ds_load_b64 v[62:63], v62 offset:8
	s_waitcnt lgkmcnt(0)
	v_mul_f64 v[57:58], v[57:58], v[62:63]
	scratch_store_b64 off, v[57:58], off offset:8
.LBB27_258:
	s_or_b32 exec_lo, exec_lo, s3
	scratch_load_b64 v[57:58], off, off
	s_mov_b32 s0, 0
	s_mov_b32 s3, exec_lo
	s_waitcnt vmcnt(0)
	ds_store_b64 v60, v[57:58]
	s_waitcnt lgkmcnt(0)
	s_waitcnt_vscnt null, 0x0
	s_barrier
	buffer_gl0_inv
	v_cmpx_ne_u32_e32 0, v0
	s_cbranch_execz .LBB27_268
; %bb.259:
	s_and_not1_b32 vcc_lo, exec_lo, s2
	s_cbranch_vccnz .LBB27_261
; %bb.260:
	scratch_load_b64 v[57:58], v61, off
	ds_load_b64 v[62:63], v60
	s_waitcnt vmcnt(0) lgkmcnt(0)
	v_mul_f64 v[57:58], v[57:58], v[62:63]
	s_cbranch_execz .LBB27_262
	s_branch .LBB27_263
.LBB27_261:
                                        ; implicit-def: $vgpr57_vgpr58
.LBB27_262:
	ds_load_b64 v[57:58], v60
.LBB27_263:
	s_and_saveexec_b32 s4, s1
	s_cbranch_execz .LBB27_267
; %bb.264:
	v_or_b32_e64 v62, 0, 8
	v_add_nc_u32_e32 v63, -1, v0
	s_movk_i32 s5, 0xe8
	s_mov_b32 s1, 0
.LBB27_265:                             ; =>This Inner Loop Header: Depth=1
	scratch_load_b64 v[64:65], v62, off
	v_dual_mov_b32 v66, s5 :: v_dual_add_nc_u32 v63, -1, v63
	v_add_nc_u32_e32 v62, 8, v62
	s_add_i32 s5, s5, 8
	ds_load_b64 v[66:67], v66
	v_cmp_eq_u32_e32 vcc_lo, 0, v63
	s_or_b32 s1, vcc_lo, s1
	s_waitcnt vmcnt(0) lgkmcnt(0)
	v_fma_f64 v[57:58], v[64:65], v[66:67], v[57:58]
	s_and_not1_b32 exec_lo, exec_lo, s1
	s_cbranch_execnz .LBB27_265
; %bb.266:
	s_or_b32 exec_lo, exec_lo, s1
.LBB27_267:
	s_delay_alu instid0(SALU_CYCLE_1)
	s_or_b32 exec_lo, exec_lo, s4
	v_mov_b32_e32 v62, 0
	ds_load_b64 v[62:63], v62
	s_waitcnt lgkmcnt(0)
	v_mul_f64 v[57:58], v[57:58], v[62:63]
	scratch_store_b64 off, v[57:58], off
.LBB27_268:
	s_or_b32 exec_lo, exec_lo, s3
.LBB27_269:
	s_delay_alu instid0(SALU_CYCLE_1)
	s_and_b32 vcc_lo, exec_lo, s0
	s_cbranch_vccz .LBB27_535
; %bb.270:
	scratch_load_b64 v[57:58], off, off offset:8
	v_cmp_eq_u32_e64 s0, 0, v0
	s_waitcnt vmcnt(0)
	ds_store_b64 v60, v[57:58]
	s_waitcnt lgkmcnt(0)
	s_waitcnt_vscnt null, 0x0
	s_barrier
	buffer_gl0_inv
	s_and_saveexec_b32 s1, s0
	s_cbranch_execz .LBB27_276
; %bb.271:
	s_and_b32 vcc_lo, exec_lo, s2
	s_cbranch_vccz .LBB27_273
; %bb.272:
	scratch_load_b64 v[57:58], v61, off
	ds_load_b64 v[62:63], v60
	s_waitcnt vmcnt(0) lgkmcnt(0)
	v_mul_f64 v[57:58], v[57:58], v[62:63]
	s_cbranch_execz .LBB27_274
	s_branch .LBB27_275
.LBB27_273:
                                        ; implicit-def: $vgpr57_vgpr58
.LBB27_274:
	ds_load_b64 v[57:58], v60
.LBB27_275:
	v_mov_b32_e32 v62, 0
	ds_load_b64 v[62:63], v62 offset:8
	s_waitcnt lgkmcnt(0)
	v_mul_f64 v[57:58], v[57:58], v[62:63]
	scratch_store_b64 off, v[57:58], off offset:8
.LBB27_276:
	s_or_b32 exec_lo, exec_lo, s1
	scratch_load_b64 v[57:58], off, off offset:16
	v_cndmask_b32_e64 v62, 0, 1, s2
	s_mov_b32 s1, exec_lo
	s_waitcnt vmcnt(0)
	ds_store_b64 v60, v[57:58]
	s_waitcnt lgkmcnt(0)
	s_waitcnt_vscnt null, 0x0
	s_barrier
	buffer_gl0_inv
	v_cmpx_gt_u32_e32 2, v0
	s_cbranch_execz .LBB27_284
; %bb.277:
	s_and_not1_b32 vcc_lo, exec_lo, s2
	s_cbranch_vccnz .LBB27_279
; %bb.278:
	scratch_load_b64 v[57:58], v61, off
	ds_load_b64 v[63:64], v60
	s_waitcnt vmcnt(0) lgkmcnt(0)
	v_mul_f64 v[57:58], v[57:58], v[63:64]
	s_cbranch_execz .LBB27_280
	s_branch .LBB27_281
.LBB27_279:
                                        ; implicit-def: $vgpr57_vgpr58
.LBB27_280:
	ds_load_b64 v[57:58], v60
.LBB27_281:
	s_and_saveexec_b32 s2, s0
	s_cbranch_execz .LBB27_283
; %bb.282:
	scratch_load_b64 v[63:64], v61, off offset:8
	ds_load_b64 v[65:66], v60 offset:8
	s_waitcnt vmcnt(0) lgkmcnt(0)
	v_fma_f64 v[57:58], v[63:64], v[65:66], v[57:58]
.LBB27_283:
	s_or_b32 exec_lo, exec_lo, s2
	v_mov_b32_e32 v63, 0
	ds_load_b64 v[63:64], v63 offset:16
	s_waitcnt lgkmcnt(0)
	v_mul_f64 v[57:58], v[57:58], v[63:64]
	scratch_store_b64 off, v[57:58], off offset:16
.LBB27_284:
	s_or_b32 exec_lo, exec_lo, s1
	scratch_load_b64 v[57:58], off, off offset:24
	s_mov_b32 s1, exec_lo
	s_waitcnt vmcnt(0)
	ds_store_b64 v60, v[57:58]
	s_waitcnt lgkmcnt(0)
	s_waitcnt_vscnt null, 0x0
	s_barrier
	buffer_gl0_inv
	v_cmpx_gt_u32_e32 3, v0
	s_cbranch_execz .LBB27_294
; %bb.285:
	v_cmp_ne_u32_e32 vcc_lo, 1, v62
	s_cbranch_vccnz .LBB27_287
; %bb.286:
	scratch_load_b64 v[57:58], v61, off
	ds_load_b64 v[63:64], v60
	s_waitcnt vmcnt(0) lgkmcnt(0)
	v_mul_f64 v[57:58], v[57:58], v[63:64]
	s_cbranch_execz .LBB27_288
	s_branch .LBB27_289
.LBB27_287:
                                        ; implicit-def: $vgpr57_vgpr58
.LBB27_288:
	ds_load_b64 v[57:58], v60
.LBB27_289:
	s_mov_b32 s2, exec_lo
	v_cmpx_ne_u32_e32 2, v0
	s_cbranch_execz .LBB27_293
; %bb.290:
	scratch_load_b64 v[63:64], v61, off offset:8
	ds_load_b64 v[65:66], v60 offset:8
	s_waitcnt vmcnt(0) lgkmcnt(0)
	v_fma_f64 v[57:58], v[63:64], v[65:66], v[57:58]
	s_and_saveexec_b32 s3, s0
	s_cbranch_execz .LBB27_292
; %bb.291:
	scratch_load_b64 v[63:64], off, off offset:16
	v_mov_b32_e32 v65, 0
	ds_load_b64 v[65:66], v65 offset:240
	s_waitcnt vmcnt(0) lgkmcnt(0)
	v_fma_f64 v[57:58], v[63:64], v[65:66], v[57:58]
.LBB27_292:
	s_or_b32 exec_lo, exec_lo, s3
.LBB27_293:
	s_delay_alu instid0(SALU_CYCLE_1)
	s_or_b32 exec_lo, exec_lo, s2
	v_mov_b32_e32 v63, 0
	ds_load_b64 v[63:64], v63 offset:24
	s_waitcnt lgkmcnt(0)
	v_mul_f64 v[57:58], v[57:58], v[63:64]
	scratch_store_b64 off, v[57:58], off offset:24
.LBB27_294:
	s_or_b32 exec_lo, exec_lo, s1
	scratch_load_b64 v[57:58], off, off offset:32
	s_mov_b32 s0, exec_lo
	s_waitcnt vmcnt(0)
	ds_store_b64 v60, v[57:58]
	s_waitcnt lgkmcnt(0)
	s_waitcnt_vscnt null, 0x0
	s_barrier
	buffer_gl0_inv
	v_cmpx_gt_u32_e32 4, v0
	s_cbranch_execz .LBB27_304
; %bb.295:
	v_cmp_ne_u32_e32 vcc_lo, 1, v62
	s_cbranch_vccnz .LBB27_297
; %bb.296:
	scratch_load_b64 v[57:58], v61, off
	ds_load_b64 v[63:64], v60
	s_waitcnt vmcnt(0) lgkmcnt(0)
	v_mul_f64 v[57:58], v[57:58], v[63:64]
	s_cbranch_execz .LBB27_298
	s_branch .LBB27_299
.LBB27_297:
                                        ; implicit-def: $vgpr57_vgpr58
.LBB27_298:
	ds_load_b64 v[57:58], v60
.LBB27_299:
	s_mov_b32 s1, exec_lo
	v_cmpx_ne_u32_e32 3, v0
	s_cbranch_execz .LBB27_303
; %bb.300:
	v_add_nc_u32_e32 v63, 0xe8, v59
	v_add3_u32 v64, 0, v59, 8
	v_mov_b32_e32 v65, v0
	s_mov_b32 s2, 0
.LBB27_301:                             ; =>This Inner Loop Header: Depth=1
	scratch_load_b64 v[66:67], v64, off
	ds_load_b64 v[68:69], v63
	v_add_nc_u32_e32 v65, 1, v65
	v_add_nc_u32_e32 v63, 8, v63
	v_add_nc_u32_e32 v64, 8, v64
	s_delay_alu instid0(VALU_DEP_3)
	v_cmp_lt_u32_e32 vcc_lo, 2, v65
	s_or_b32 s2, vcc_lo, s2
	s_waitcnt vmcnt(0) lgkmcnt(0)
	v_fma_f64 v[57:58], v[66:67], v[68:69], v[57:58]
	s_and_not1_b32 exec_lo, exec_lo, s2
	s_cbranch_execnz .LBB27_301
; %bb.302:
	s_or_b32 exec_lo, exec_lo, s2
.LBB27_303:
	s_delay_alu instid0(SALU_CYCLE_1)
	s_or_b32 exec_lo, exec_lo, s1
	v_mov_b32_e32 v63, 0
	ds_load_b64 v[63:64], v63 offset:32
	s_waitcnt lgkmcnt(0)
	v_mul_f64 v[57:58], v[57:58], v[63:64]
	scratch_store_b64 off, v[57:58], off offset:32
.LBB27_304:
	s_or_b32 exec_lo, exec_lo, s0
	scratch_load_b64 v[57:58], off, off offset:40
	s_mov_b32 s0, exec_lo
	s_waitcnt vmcnt(0)
	ds_store_b64 v60, v[57:58]
	s_waitcnt lgkmcnt(0)
	s_waitcnt_vscnt null, 0x0
	s_barrier
	buffer_gl0_inv
	v_cmpx_gt_u32_e32 5, v0
	s_cbranch_execz .LBB27_314
; %bb.305:
	v_cmp_ne_u32_e32 vcc_lo, 1, v62
	s_cbranch_vccnz .LBB27_307
; %bb.306:
	scratch_load_b64 v[57:58], v61, off
	ds_load_b64 v[63:64], v60
	s_waitcnt vmcnt(0) lgkmcnt(0)
	v_mul_f64 v[57:58], v[57:58], v[63:64]
	s_cbranch_execz .LBB27_308
	s_branch .LBB27_309
.LBB27_307:
                                        ; implicit-def: $vgpr57_vgpr58
.LBB27_308:
	ds_load_b64 v[57:58], v60
.LBB27_309:
	s_mov_b32 s1, exec_lo
	v_cmpx_ne_u32_e32 4, v0
	s_cbranch_execz .LBB27_313
; %bb.310:
	v_add_nc_u32_e32 v63, 0xe8, v59
	v_add3_u32 v64, 0, v59, 8
	v_mov_b32_e32 v65, v0
	s_mov_b32 s2, 0
.LBB27_311:                             ; =>This Inner Loop Header: Depth=1
	scratch_load_b64 v[66:67], v64, off
	ds_load_b64 v[68:69], v63
	v_add_nc_u32_e32 v65, 1, v65
	v_add_nc_u32_e32 v63, 8, v63
	v_add_nc_u32_e32 v64, 8, v64
	s_delay_alu instid0(VALU_DEP_3)
	v_cmp_lt_u32_e32 vcc_lo, 3, v65
	s_or_b32 s2, vcc_lo, s2
	s_waitcnt vmcnt(0) lgkmcnt(0)
	v_fma_f64 v[57:58], v[66:67], v[68:69], v[57:58]
	s_and_not1_b32 exec_lo, exec_lo, s2
	s_cbranch_execnz .LBB27_311
; %bb.312:
	s_or_b32 exec_lo, exec_lo, s2
.LBB27_313:
	s_delay_alu instid0(SALU_CYCLE_1)
	s_or_b32 exec_lo, exec_lo, s1
	v_mov_b32_e32 v63, 0
	ds_load_b64 v[63:64], v63 offset:40
	s_waitcnt lgkmcnt(0)
	v_mul_f64 v[57:58], v[57:58], v[63:64]
	scratch_store_b64 off, v[57:58], off offset:40
.LBB27_314:
	s_or_b32 exec_lo, exec_lo, s0
	scratch_load_b64 v[57:58], off, off offset:48
	s_mov_b32 s0, exec_lo
	s_waitcnt vmcnt(0)
	ds_store_b64 v60, v[57:58]
	s_waitcnt lgkmcnt(0)
	s_waitcnt_vscnt null, 0x0
	s_barrier
	buffer_gl0_inv
	v_cmpx_gt_u32_e32 6, v0
	s_cbranch_execz .LBB27_324
; %bb.315:
	v_cmp_ne_u32_e32 vcc_lo, 1, v62
	s_cbranch_vccnz .LBB27_317
; %bb.316:
	scratch_load_b64 v[57:58], v61, off
	ds_load_b64 v[63:64], v60
	s_waitcnt vmcnt(0) lgkmcnt(0)
	v_mul_f64 v[57:58], v[57:58], v[63:64]
	s_cbranch_execz .LBB27_318
	s_branch .LBB27_319
.LBB27_317:
                                        ; implicit-def: $vgpr57_vgpr58
.LBB27_318:
	ds_load_b64 v[57:58], v60
.LBB27_319:
	s_mov_b32 s1, exec_lo
	v_cmpx_ne_u32_e32 5, v0
	s_cbranch_execz .LBB27_323
; %bb.320:
	v_add_nc_u32_e32 v63, 0xe8, v59
	v_add3_u32 v64, 0, v59, 8
	v_mov_b32_e32 v65, v0
	s_mov_b32 s2, 0
.LBB27_321:                             ; =>This Inner Loop Header: Depth=1
	scratch_load_b64 v[66:67], v64, off
	ds_load_b64 v[68:69], v63
	v_add_nc_u32_e32 v65, 1, v65
	v_add_nc_u32_e32 v63, 8, v63
	v_add_nc_u32_e32 v64, 8, v64
	s_delay_alu instid0(VALU_DEP_3)
	v_cmp_lt_u32_e32 vcc_lo, 4, v65
	s_or_b32 s2, vcc_lo, s2
	s_waitcnt vmcnt(0) lgkmcnt(0)
	v_fma_f64 v[57:58], v[66:67], v[68:69], v[57:58]
	s_and_not1_b32 exec_lo, exec_lo, s2
	s_cbranch_execnz .LBB27_321
; %bb.322:
	s_or_b32 exec_lo, exec_lo, s2
.LBB27_323:
	s_delay_alu instid0(SALU_CYCLE_1)
	s_or_b32 exec_lo, exec_lo, s1
	v_mov_b32_e32 v63, 0
	ds_load_b64 v[63:64], v63 offset:48
	s_waitcnt lgkmcnt(0)
	v_mul_f64 v[57:58], v[57:58], v[63:64]
	scratch_store_b64 off, v[57:58], off offset:48
.LBB27_324:
	s_or_b32 exec_lo, exec_lo, s0
	scratch_load_b64 v[57:58], off, off offset:56
	s_mov_b32 s0, exec_lo
	s_waitcnt vmcnt(0)
	ds_store_b64 v60, v[57:58]
	s_waitcnt lgkmcnt(0)
	s_waitcnt_vscnt null, 0x0
	s_barrier
	buffer_gl0_inv
	v_cmpx_gt_u32_e32 7, v0
	s_cbranch_execz .LBB27_334
; %bb.325:
	v_cmp_ne_u32_e32 vcc_lo, 1, v62
	s_cbranch_vccnz .LBB27_327
; %bb.326:
	scratch_load_b64 v[57:58], v61, off
	ds_load_b64 v[63:64], v60
	s_waitcnt vmcnt(0) lgkmcnt(0)
	v_mul_f64 v[57:58], v[57:58], v[63:64]
	s_cbranch_execz .LBB27_328
	s_branch .LBB27_329
.LBB27_327:
                                        ; implicit-def: $vgpr57_vgpr58
.LBB27_328:
	ds_load_b64 v[57:58], v60
.LBB27_329:
	s_mov_b32 s1, exec_lo
	v_cmpx_ne_u32_e32 6, v0
	s_cbranch_execz .LBB27_333
; %bb.330:
	v_add_nc_u32_e32 v63, 0xe8, v59
	v_add3_u32 v64, 0, v59, 8
	v_mov_b32_e32 v65, v0
	s_mov_b32 s2, 0
.LBB27_331:                             ; =>This Inner Loop Header: Depth=1
	scratch_load_b64 v[66:67], v64, off
	ds_load_b64 v[68:69], v63
	v_add_nc_u32_e32 v65, 1, v65
	v_add_nc_u32_e32 v63, 8, v63
	v_add_nc_u32_e32 v64, 8, v64
	s_delay_alu instid0(VALU_DEP_3)
	v_cmp_lt_u32_e32 vcc_lo, 5, v65
	s_or_b32 s2, vcc_lo, s2
	s_waitcnt vmcnt(0) lgkmcnt(0)
	v_fma_f64 v[57:58], v[66:67], v[68:69], v[57:58]
	s_and_not1_b32 exec_lo, exec_lo, s2
	s_cbranch_execnz .LBB27_331
; %bb.332:
	s_or_b32 exec_lo, exec_lo, s2
.LBB27_333:
	s_delay_alu instid0(SALU_CYCLE_1)
	s_or_b32 exec_lo, exec_lo, s1
	v_mov_b32_e32 v63, 0
	ds_load_b64 v[63:64], v63 offset:56
	s_waitcnt lgkmcnt(0)
	v_mul_f64 v[57:58], v[57:58], v[63:64]
	scratch_store_b64 off, v[57:58], off offset:56
.LBB27_334:
	s_or_b32 exec_lo, exec_lo, s0
	scratch_load_b64 v[57:58], off, off offset:64
	s_mov_b32 s0, exec_lo
	s_waitcnt vmcnt(0)
	ds_store_b64 v60, v[57:58]
	s_waitcnt lgkmcnt(0)
	s_waitcnt_vscnt null, 0x0
	s_barrier
	buffer_gl0_inv
	v_cmpx_gt_u32_e32 8, v0
	s_cbranch_execz .LBB27_344
; %bb.335:
	v_cmp_ne_u32_e32 vcc_lo, 1, v62
	s_cbranch_vccnz .LBB27_337
; %bb.336:
	scratch_load_b64 v[57:58], v61, off
	ds_load_b64 v[63:64], v60
	s_waitcnt vmcnt(0) lgkmcnt(0)
	v_mul_f64 v[57:58], v[57:58], v[63:64]
	s_cbranch_execz .LBB27_338
	s_branch .LBB27_339
.LBB27_337:
                                        ; implicit-def: $vgpr57_vgpr58
.LBB27_338:
	ds_load_b64 v[57:58], v60
.LBB27_339:
	s_mov_b32 s1, exec_lo
	v_cmpx_ne_u32_e32 7, v0
	s_cbranch_execz .LBB27_343
; %bb.340:
	v_add_nc_u32_e32 v63, 0xe8, v59
	v_add3_u32 v64, 0, v59, 8
	v_mov_b32_e32 v65, v0
	s_mov_b32 s2, 0
.LBB27_341:                             ; =>This Inner Loop Header: Depth=1
	scratch_load_b64 v[66:67], v64, off
	ds_load_b64 v[68:69], v63
	v_add_nc_u32_e32 v65, 1, v65
	v_add_nc_u32_e32 v63, 8, v63
	v_add_nc_u32_e32 v64, 8, v64
	s_delay_alu instid0(VALU_DEP_3)
	v_cmp_lt_u32_e32 vcc_lo, 6, v65
	s_or_b32 s2, vcc_lo, s2
	s_waitcnt vmcnt(0) lgkmcnt(0)
	v_fma_f64 v[57:58], v[66:67], v[68:69], v[57:58]
	s_and_not1_b32 exec_lo, exec_lo, s2
	s_cbranch_execnz .LBB27_341
; %bb.342:
	s_or_b32 exec_lo, exec_lo, s2
.LBB27_343:
	s_delay_alu instid0(SALU_CYCLE_1)
	s_or_b32 exec_lo, exec_lo, s1
	v_mov_b32_e32 v63, 0
	ds_load_b64 v[63:64], v63 offset:64
	s_waitcnt lgkmcnt(0)
	v_mul_f64 v[57:58], v[57:58], v[63:64]
	scratch_store_b64 off, v[57:58], off offset:64
.LBB27_344:
	s_or_b32 exec_lo, exec_lo, s0
	scratch_load_b64 v[57:58], off, off offset:72
	s_mov_b32 s0, exec_lo
	s_waitcnt vmcnt(0)
	ds_store_b64 v60, v[57:58]
	s_waitcnt lgkmcnt(0)
	s_waitcnt_vscnt null, 0x0
	s_barrier
	buffer_gl0_inv
	v_cmpx_gt_u32_e32 9, v0
	s_cbranch_execz .LBB27_354
; %bb.345:
	v_cmp_ne_u32_e32 vcc_lo, 1, v62
	s_cbranch_vccnz .LBB27_347
; %bb.346:
	scratch_load_b64 v[57:58], v61, off
	ds_load_b64 v[63:64], v60
	s_waitcnt vmcnt(0) lgkmcnt(0)
	v_mul_f64 v[57:58], v[57:58], v[63:64]
	s_cbranch_execz .LBB27_348
	s_branch .LBB27_349
.LBB27_347:
                                        ; implicit-def: $vgpr57_vgpr58
.LBB27_348:
	ds_load_b64 v[57:58], v60
.LBB27_349:
	s_mov_b32 s1, exec_lo
	v_cmpx_ne_u32_e32 8, v0
	s_cbranch_execz .LBB27_353
; %bb.350:
	v_add_nc_u32_e32 v63, 0xe8, v59
	v_add3_u32 v64, 0, v59, 8
	v_mov_b32_e32 v65, v0
	s_mov_b32 s2, 0
.LBB27_351:                             ; =>This Inner Loop Header: Depth=1
	scratch_load_b64 v[66:67], v64, off
	ds_load_b64 v[68:69], v63
	v_add_nc_u32_e32 v65, 1, v65
	v_add_nc_u32_e32 v63, 8, v63
	v_add_nc_u32_e32 v64, 8, v64
	s_delay_alu instid0(VALU_DEP_3)
	v_cmp_lt_u32_e32 vcc_lo, 7, v65
	s_or_b32 s2, vcc_lo, s2
	s_waitcnt vmcnt(0) lgkmcnt(0)
	v_fma_f64 v[57:58], v[66:67], v[68:69], v[57:58]
	s_and_not1_b32 exec_lo, exec_lo, s2
	s_cbranch_execnz .LBB27_351
; %bb.352:
	s_or_b32 exec_lo, exec_lo, s2
.LBB27_353:
	s_delay_alu instid0(SALU_CYCLE_1)
	s_or_b32 exec_lo, exec_lo, s1
	v_mov_b32_e32 v63, 0
	ds_load_b64 v[63:64], v63 offset:72
	s_waitcnt lgkmcnt(0)
	v_mul_f64 v[57:58], v[57:58], v[63:64]
	scratch_store_b64 off, v[57:58], off offset:72
.LBB27_354:
	s_or_b32 exec_lo, exec_lo, s0
	scratch_load_b64 v[57:58], off, off offset:80
	s_mov_b32 s0, exec_lo
	s_waitcnt vmcnt(0)
	ds_store_b64 v60, v[57:58]
	s_waitcnt lgkmcnt(0)
	s_waitcnt_vscnt null, 0x0
	s_barrier
	buffer_gl0_inv
	v_cmpx_gt_u32_e32 10, v0
	s_cbranch_execz .LBB27_364
; %bb.355:
	v_cmp_ne_u32_e32 vcc_lo, 1, v62
	s_cbranch_vccnz .LBB27_357
; %bb.356:
	scratch_load_b64 v[57:58], v61, off
	ds_load_b64 v[63:64], v60
	s_waitcnt vmcnt(0) lgkmcnt(0)
	v_mul_f64 v[57:58], v[57:58], v[63:64]
	s_cbranch_execz .LBB27_358
	s_branch .LBB27_359
.LBB27_357:
                                        ; implicit-def: $vgpr57_vgpr58
.LBB27_358:
	ds_load_b64 v[57:58], v60
.LBB27_359:
	s_mov_b32 s1, exec_lo
	v_cmpx_ne_u32_e32 9, v0
	s_cbranch_execz .LBB27_363
; %bb.360:
	v_add_nc_u32_e32 v63, 0xe8, v59
	v_add3_u32 v64, 0, v59, 8
	v_mov_b32_e32 v65, v0
	s_mov_b32 s2, 0
.LBB27_361:                             ; =>This Inner Loop Header: Depth=1
	scratch_load_b64 v[66:67], v64, off
	ds_load_b64 v[68:69], v63
	v_add_nc_u32_e32 v65, 1, v65
	v_add_nc_u32_e32 v63, 8, v63
	v_add_nc_u32_e32 v64, 8, v64
	s_delay_alu instid0(VALU_DEP_3)
	v_cmp_lt_u32_e32 vcc_lo, 8, v65
	s_or_b32 s2, vcc_lo, s2
	s_waitcnt vmcnt(0) lgkmcnt(0)
	v_fma_f64 v[57:58], v[66:67], v[68:69], v[57:58]
	s_and_not1_b32 exec_lo, exec_lo, s2
	s_cbranch_execnz .LBB27_361
; %bb.362:
	s_or_b32 exec_lo, exec_lo, s2
.LBB27_363:
	s_delay_alu instid0(SALU_CYCLE_1)
	s_or_b32 exec_lo, exec_lo, s1
	v_mov_b32_e32 v63, 0
	ds_load_b64 v[63:64], v63 offset:80
	s_waitcnt lgkmcnt(0)
	v_mul_f64 v[57:58], v[57:58], v[63:64]
	scratch_store_b64 off, v[57:58], off offset:80
.LBB27_364:
	s_or_b32 exec_lo, exec_lo, s0
	scratch_load_b64 v[57:58], off, off offset:88
	s_mov_b32 s0, exec_lo
	s_waitcnt vmcnt(0)
	ds_store_b64 v60, v[57:58]
	s_waitcnt lgkmcnt(0)
	s_waitcnt_vscnt null, 0x0
	s_barrier
	buffer_gl0_inv
	v_cmpx_gt_u32_e32 11, v0
	s_cbranch_execz .LBB27_374
; %bb.365:
	v_cmp_ne_u32_e32 vcc_lo, 1, v62
	s_cbranch_vccnz .LBB27_367
; %bb.366:
	scratch_load_b64 v[57:58], v61, off
	ds_load_b64 v[63:64], v60
	s_waitcnt vmcnt(0) lgkmcnt(0)
	v_mul_f64 v[57:58], v[57:58], v[63:64]
	s_cbranch_execz .LBB27_368
	s_branch .LBB27_369
.LBB27_367:
                                        ; implicit-def: $vgpr57_vgpr58
.LBB27_368:
	ds_load_b64 v[57:58], v60
.LBB27_369:
	s_mov_b32 s1, exec_lo
	v_cmpx_ne_u32_e32 10, v0
	s_cbranch_execz .LBB27_373
; %bb.370:
	v_add_nc_u32_e32 v63, 0xe8, v59
	v_add3_u32 v64, 0, v59, 8
	v_mov_b32_e32 v65, v0
	s_mov_b32 s2, 0
.LBB27_371:                             ; =>This Inner Loop Header: Depth=1
	scratch_load_b64 v[66:67], v64, off
	ds_load_b64 v[68:69], v63
	v_add_nc_u32_e32 v65, 1, v65
	v_add_nc_u32_e32 v63, 8, v63
	v_add_nc_u32_e32 v64, 8, v64
	s_delay_alu instid0(VALU_DEP_3)
	v_cmp_lt_u32_e32 vcc_lo, 9, v65
	s_or_b32 s2, vcc_lo, s2
	s_waitcnt vmcnt(0) lgkmcnt(0)
	v_fma_f64 v[57:58], v[66:67], v[68:69], v[57:58]
	s_and_not1_b32 exec_lo, exec_lo, s2
	s_cbranch_execnz .LBB27_371
; %bb.372:
	s_or_b32 exec_lo, exec_lo, s2
.LBB27_373:
	s_delay_alu instid0(SALU_CYCLE_1)
	s_or_b32 exec_lo, exec_lo, s1
	v_mov_b32_e32 v63, 0
	ds_load_b64 v[63:64], v63 offset:88
	s_waitcnt lgkmcnt(0)
	v_mul_f64 v[57:58], v[57:58], v[63:64]
	scratch_store_b64 off, v[57:58], off offset:88
.LBB27_374:
	s_or_b32 exec_lo, exec_lo, s0
	scratch_load_b64 v[57:58], off, off offset:96
	s_mov_b32 s0, exec_lo
	s_waitcnt vmcnt(0)
	ds_store_b64 v60, v[57:58]
	s_waitcnt lgkmcnt(0)
	s_waitcnt_vscnt null, 0x0
	s_barrier
	buffer_gl0_inv
	v_cmpx_gt_u32_e32 12, v0
	s_cbranch_execz .LBB27_384
; %bb.375:
	v_cmp_ne_u32_e32 vcc_lo, 1, v62
	s_cbranch_vccnz .LBB27_377
; %bb.376:
	scratch_load_b64 v[57:58], v61, off
	ds_load_b64 v[63:64], v60
	s_waitcnt vmcnt(0) lgkmcnt(0)
	v_mul_f64 v[57:58], v[57:58], v[63:64]
	s_cbranch_execz .LBB27_378
	s_branch .LBB27_379
.LBB27_377:
                                        ; implicit-def: $vgpr57_vgpr58
.LBB27_378:
	ds_load_b64 v[57:58], v60
.LBB27_379:
	s_mov_b32 s1, exec_lo
	v_cmpx_ne_u32_e32 11, v0
	s_cbranch_execz .LBB27_383
; %bb.380:
	v_add_nc_u32_e32 v63, 0xe8, v59
	v_add3_u32 v64, 0, v59, 8
	v_mov_b32_e32 v65, v0
	s_mov_b32 s2, 0
.LBB27_381:                             ; =>This Inner Loop Header: Depth=1
	scratch_load_b64 v[66:67], v64, off
	ds_load_b64 v[68:69], v63
	v_add_nc_u32_e32 v65, 1, v65
	v_add_nc_u32_e32 v63, 8, v63
	v_add_nc_u32_e32 v64, 8, v64
	s_delay_alu instid0(VALU_DEP_3)
	v_cmp_lt_u32_e32 vcc_lo, 10, v65
	s_or_b32 s2, vcc_lo, s2
	s_waitcnt vmcnt(0) lgkmcnt(0)
	v_fma_f64 v[57:58], v[66:67], v[68:69], v[57:58]
	s_and_not1_b32 exec_lo, exec_lo, s2
	s_cbranch_execnz .LBB27_381
; %bb.382:
	s_or_b32 exec_lo, exec_lo, s2
.LBB27_383:
	s_delay_alu instid0(SALU_CYCLE_1)
	s_or_b32 exec_lo, exec_lo, s1
	v_mov_b32_e32 v63, 0
	ds_load_b64 v[63:64], v63 offset:96
	s_waitcnt lgkmcnt(0)
	v_mul_f64 v[57:58], v[57:58], v[63:64]
	scratch_store_b64 off, v[57:58], off offset:96
.LBB27_384:
	s_or_b32 exec_lo, exec_lo, s0
	scratch_load_b64 v[57:58], off, off offset:104
	s_mov_b32 s0, exec_lo
	s_waitcnt vmcnt(0)
	ds_store_b64 v60, v[57:58]
	s_waitcnt lgkmcnt(0)
	s_waitcnt_vscnt null, 0x0
	s_barrier
	buffer_gl0_inv
	v_cmpx_gt_u32_e32 13, v0
	s_cbranch_execz .LBB27_394
; %bb.385:
	v_cmp_ne_u32_e32 vcc_lo, 1, v62
	s_cbranch_vccnz .LBB27_387
; %bb.386:
	scratch_load_b64 v[57:58], v61, off
	ds_load_b64 v[63:64], v60
	s_waitcnt vmcnt(0) lgkmcnt(0)
	v_mul_f64 v[57:58], v[57:58], v[63:64]
	s_cbranch_execz .LBB27_388
	s_branch .LBB27_389
.LBB27_387:
                                        ; implicit-def: $vgpr57_vgpr58
.LBB27_388:
	ds_load_b64 v[57:58], v60
.LBB27_389:
	s_mov_b32 s1, exec_lo
	v_cmpx_ne_u32_e32 12, v0
	s_cbranch_execz .LBB27_393
; %bb.390:
	v_add_nc_u32_e32 v63, 0xe8, v59
	v_add3_u32 v64, 0, v59, 8
	v_mov_b32_e32 v65, v0
	s_mov_b32 s2, 0
.LBB27_391:                             ; =>This Inner Loop Header: Depth=1
	scratch_load_b64 v[66:67], v64, off
	ds_load_b64 v[68:69], v63
	v_add_nc_u32_e32 v65, 1, v65
	v_add_nc_u32_e32 v63, 8, v63
	v_add_nc_u32_e32 v64, 8, v64
	s_delay_alu instid0(VALU_DEP_3)
	v_cmp_lt_u32_e32 vcc_lo, 11, v65
	s_or_b32 s2, vcc_lo, s2
	s_waitcnt vmcnt(0) lgkmcnt(0)
	v_fma_f64 v[57:58], v[66:67], v[68:69], v[57:58]
	s_and_not1_b32 exec_lo, exec_lo, s2
	s_cbranch_execnz .LBB27_391
; %bb.392:
	s_or_b32 exec_lo, exec_lo, s2
.LBB27_393:
	s_delay_alu instid0(SALU_CYCLE_1)
	s_or_b32 exec_lo, exec_lo, s1
	v_mov_b32_e32 v63, 0
	ds_load_b64 v[63:64], v63 offset:104
	s_waitcnt lgkmcnt(0)
	v_mul_f64 v[57:58], v[57:58], v[63:64]
	scratch_store_b64 off, v[57:58], off offset:104
.LBB27_394:
	s_or_b32 exec_lo, exec_lo, s0
	scratch_load_b64 v[57:58], off, off offset:112
	s_mov_b32 s0, exec_lo
	s_waitcnt vmcnt(0)
	ds_store_b64 v60, v[57:58]
	s_waitcnt lgkmcnt(0)
	s_waitcnt_vscnt null, 0x0
	s_barrier
	buffer_gl0_inv
	v_cmpx_gt_u32_e32 14, v0
	s_cbranch_execz .LBB27_404
; %bb.395:
	v_cmp_ne_u32_e32 vcc_lo, 1, v62
	s_cbranch_vccnz .LBB27_397
; %bb.396:
	scratch_load_b64 v[57:58], v61, off
	ds_load_b64 v[63:64], v60
	s_waitcnt vmcnt(0) lgkmcnt(0)
	v_mul_f64 v[57:58], v[57:58], v[63:64]
	s_cbranch_execz .LBB27_398
	s_branch .LBB27_399
.LBB27_397:
                                        ; implicit-def: $vgpr57_vgpr58
.LBB27_398:
	ds_load_b64 v[57:58], v60
.LBB27_399:
	s_mov_b32 s1, exec_lo
	v_cmpx_ne_u32_e32 13, v0
	s_cbranch_execz .LBB27_403
; %bb.400:
	v_add_nc_u32_e32 v63, 0xe8, v59
	v_add3_u32 v64, 0, v59, 8
	v_mov_b32_e32 v65, v0
	s_mov_b32 s2, 0
.LBB27_401:                             ; =>This Inner Loop Header: Depth=1
	scratch_load_b64 v[66:67], v64, off
	ds_load_b64 v[68:69], v63
	v_add_nc_u32_e32 v65, 1, v65
	v_add_nc_u32_e32 v63, 8, v63
	v_add_nc_u32_e32 v64, 8, v64
	s_delay_alu instid0(VALU_DEP_3)
	v_cmp_lt_u32_e32 vcc_lo, 12, v65
	s_or_b32 s2, vcc_lo, s2
	s_waitcnt vmcnt(0) lgkmcnt(0)
	v_fma_f64 v[57:58], v[66:67], v[68:69], v[57:58]
	s_and_not1_b32 exec_lo, exec_lo, s2
	s_cbranch_execnz .LBB27_401
; %bb.402:
	s_or_b32 exec_lo, exec_lo, s2
.LBB27_403:
	s_delay_alu instid0(SALU_CYCLE_1)
	s_or_b32 exec_lo, exec_lo, s1
	v_mov_b32_e32 v63, 0
	ds_load_b64 v[63:64], v63 offset:112
	s_waitcnt lgkmcnt(0)
	v_mul_f64 v[57:58], v[57:58], v[63:64]
	scratch_store_b64 off, v[57:58], off offset:112
.LBB27_404:
	s_or_b32 exec_lo, exec_lo, s0
	scratch_load_b64 v[57:58], off, off offset:120
	s_mov_b32 s0, exec_lo
	s_waitcnt vmcnt(0)
	ds_store_b64 v60, v[57:58]
	s_waitcnt lgkmcnt(0)
	s_waitcnt_vscnt null, 0x0
	s_barrier
	buffer_gl0_inv
	v_cmpx_gt_u32_e32 15, v0
	s_cbranch_execz .LBB27_414
; %bb.405:
	v_cmp_ne_u32_e32 vcc_lo, 1, v62
	s_cbranch_vccnz .LBB27_407
; %bb.406:
	scratch_load_b64 v[57:58], v61, off
	ds_load_b64 v[63:64], v60
	s_waitcnt vmcnt(0) lgkmcnt(0)
	v_mul_f64 v[57:58], v[57:58], v[63:64]
	s_cbranch_execz .LBB27_408
	s_branch .LBB27_409
.LBB27_407:
                                        ; implicit-def: $vgpr57_vgpr58
.LBB27_408:
	ds_load_b64 v[57:58], v60
.LBB27_409:
	s_mov_b32 s1, exec_lo
	v_cmpx_ne_u32_e32 14, v0
	s_cbranch_execz .LBB27_413
; %bb.410:
	v_add_nc_u32_e32 v63, 0xe8, v59
	v_add3_u32 v64, 0, v59, 8
	v_mov_b32_e32 v65, v0
	s_mov_b32 s2, 0
.LBB27_411:                             ; =>This Inner Loop Header: Depth=1
	scratch_load_b64 v[66:67], v64, off
	ds_load_b64 v[68:69], v63
	v_add_nc_u32_e32 v65, 1, v65
	v_add_nc_u32_e32 v63, 8, v63
	v_add_nc_u32_e32 v64, 8, v64
	s_delay_alu instid0(VALU_DEP_3)
	v_cmp_lt_u32_e32 vcc_lo, 13, v65
	s_or_b32 s2, vcc_lo, s2
	s_waitcnt vmcnt(0) lgkmcnt(0)
	v_fma_f64 v[57:58], v[66:67], v[68:69], v[57:58]
	s_and_not1_b32 exec_lo, exec_lo, s2
	s_cbranch_execnz .LBB27_411
; %bb.412:
	s_or_b32 exec_lo, exec_lo, s2
.LBB27_413:
	s_delay_alu instid0(SALU_CYCLE_1)
	s_or_b32 exec_lo, exec_lo, s1
	v_mov_b32_e32 v63, 0
	ds_load_b64 v[63:64], v63 offset:120
	s_waitcnt lgkmcnt(0)
	v_mul_f64 v[57:58], v[57:58], v[63:64]
	scratch_store_b64 off, v[57:58], off offset:120
.LBB27_414:
	s_or_b32 exec_lo, exec_lo, s0
	scratch_load_b64 v[57:58], off, off offset:128
	s_mov_b32 s0, exec_lo
	s_waitcnt vmcnt(0)
	ds_store_b64 v60, v[57:58]
	s_waitcnt lgkmcnt(0)
	s_waitcnt_vscnt null, 0x0
	s_barrier
	buffer_gl0_inv
	v_cmpx_gt_u32_e32 16, v0
	s_cbranch_execz .LBB27_424
; %bb.415:
	v_cmp_ne_u32_e32 vcc_lo, 1, v62
	s_cbranch_vccnz .LBB27_417
; %bb.416:
	scratch_load_b64 v[57:58], v61, off
	ds_load_b64 v[63:64], v60
	s_waitcnt vmcnt(0) lgkmcnt(0)
	v_mul_f64 v[57:58], v[57:58], v[63:64]
	s_cbranch_execz .LBB27_418
	s_branch .LBB27_419
.LBB27_417:
                                        ; implicit-def: $vgpr57_vgpr58
.LBB27_418:
	ds_load_b64 v[57:58], v60
.LBB27_419:
	s_mov_b32 s1, exec_lo
	v_cmpx_ne_u32_e32 15, v0
	s_cbranch_execz .LBB27_423
; %bb.420:
	v_add_nc_u32_e32 v63, 0xe8, v59
	v_add3_u32 v64, 0, v59, 8
	v_mov_b32_e32 v65, v0
	s_mov_b32 s2, 0
.LBB27_421:                             ; =>This Inner Loop Header: Depth=1
	scratch_load_b64 v[66:67], v64, off
	ds_load_b64 v[68:69], v63
	v_add_nc_u32_e32 v65, 1, v65
	v_add_nc_u32_e32 v63, 8, v63
	v_add_nc_u32_e32 v64, 8, v64
	s_delay_alu instid0(VALU_DEP_3)
	v_cmp_lt_u32_e32 vcc_lo, 14, v65
	s_or_b32 s2, vcc_lo, s2
	s_waitcnt vmcnt(0) lgkmcnt(0)
	v_fma_f64 v[57:58], v[66:67], v[68:69], v[57:58]
	s_and_not1_b32 exec_lo, exec_lo, s2
	s_cbranch_execnz .LBB27_421
; %bb.422:
	s_or_b32 exec_lo, exec_lo, s2
.LBB27_423:
	s_delay_alu instid0(SALU_CYCLE_1)
	s_or_b32 exec_lo, exec_lo, s1
	v_mov_b32_e32 v63, 0
	ds_load_b64 v[63:64], v63 offset:128
	s_waitcnt lgkmcnt(0)
	v_mul_f64 v[57:58], v[57:58], v[63:64]
	scratch_store_b64 off, v[57:58], off offset:128
.LBB27_424:
	s_or_b32 exec_lo, exec_lo, s0
	scratch_load_b64 v[57:58], off, off offset:136
	s_mov_b32 s0, exec_lo
	s_waitcnt vmcnt(0)
	ds_store_b64 v60, v[57:58]
	s_waitcnt lgkmcnt(0)
	s_waitcnt_vscnt null, 0x0
	s_barrier
	buffer_gl0_inv
	v_cmpx_gt_u32_e32 17, v0
	s_cbranch_execz .LBB27_434
; %bb.425:
	v_cmp_ne_u32_e32 vcc_lo, 1, v62
	s_cbranch_vccnz .LBB27_427
; %bb.426:
	scratch_load_b64 v[57:58], v61, off
	ds_load_b64 v[63:64], v60
	s_waitcnt vmcnt(0) lgkmcnt(0)
	v_mul_f64 v[57:58], v[57:58], v[63:64]
	s_cbranch_execz .LBB27_428
	s_branch .LBB27_429
.LBB27_427:
                                        ; implicit-def: $vgpr57_vgpr58
.LBB27_428:
	ds_load_b64 v[57:58], v60
.LBB27_429:
	s_mov_b32 s1, exec_lo
	v_cmpx_ne_u32_e32 16, v0
	s_cbranch_execz .LBB27_433
; %bb.430:
	v_add_nc_u32_e32 v63, 0xe8, v59
	v_add3_u32 v64, 0, v59, 8
	v_mov_b32_e32 v65, v0
	s_mov_b32 s2, 0
.LBB27_431:                             ; =>This Inner Loop Header: Depth=1
	scratch_load_b64 v[66:67], v64, off
	ds_load_b64 v[68:69], v63
	v_add_nc_u32_e32 v65, 1, v65
	v_add_nc_u32_e32 v63, 8, v63
	v_add_nc_u32_e32 v64, 8, v64
	s_delay_alu instid0(VALU_DEP_3)
	v_cmp_lt_u32_e32 vcc_lo, 15, v65
	s_or_b32 s2, vcc_lo, s2
	s_waitcnt vmcnt(0) lgkmcnt(0)
	v_fma_f64 v[57:58], v[66:67], v[68:69], v[57:58]
	s_and_not1_b32 exec_lo, exec_lo, s2
	s_cbranch_execnz .LBB27_431
; %bb.432:
	s_or_b32 exec_lo, exec_lo, s2
.LBB27_433:
	s_delay_alu instid0(SALU_CYCLE_1)
	s_or_b32 exec_lo, exec_lo, s1
	v_mov_b32_e32 v63, 0
	ds_load_b64 v[63:64], v63 offset:136
	s_waitcnt lgkmcnt(0)
	v_mul_f64 v[57:58], v[57:58], v[63:64]
	scratch_store_b64 off, v[57:58], off offset:136
.LBB27_434:
	s_or_b32 exec_lo, exec_lo, s0
	scratch_load_b64 v[57:58], off, off offset:144
	s_mov_b32 s0, exec_lo
	s_waitcnt vmcnt(0)
	ds_store_b64 v60, v[57:58]
	s_waitcnt lgkmcnt(0)
	s_waitcnt_vscnt null, 0x0
	s_barrier
	buffer_gl0_inv
	v_cmpx_gt_u32_e32 18, v0
	s_cbranch_execz .LBB27_444
; %bb.435:
	v_cmp_ne_u32_e32 vcc_lo, 1, v62
	s_cbranch_vccnz .LBB27_437
; %bb.436:
	scratch_load_b64 v[57:58], v61, off
	ds_load_b64 v[63:64], v60
	s_waitcnt vmcnt(0) lgkmcnt(0)
	v_mul_f64 v[57:58], v[57:58], v[63:64]
	s_cbranch_execz .LBB27_438
	s_branch .LBB27_439
.LBB27_437:
                                        ; implicit-def: $vgpr57_vgpr58
.LBB27_438:
	ds_load_b64 v[57:58], v60
.LBB27_439:
	s_mov_b32 s1, exec_lo
	v_cmpx_ne_u32_e32 17, v0
	s_cbranch_execz .LBB27_443
; %bb.440:
	v_add_nc_u32_e32 v63, 0xe8, v59
	v_add3_u32 v64, 0, v59, 8
	v_mov_b32_e32 v65, v0
	s_mov_b32 s2, 0
.LBB27_441:                             ; =>This Inner Loop Header: Depth=1
	scratch_load_b64 v[66:67], v64, off
	ds_load_b64 v[68:69], v63
	v_add_nc_u32_e32 v65, 1, v65
	v_add_nc_u32_e32 v63, 8, v63
	v_add_nc_u32_e32 v64, 8, v64
	s_delay_alu instid0(VALU_DEP_3)
	v_cmp_lt_u32_e32 vcc_lo, 16, v65
	s_or_b32 s2, vcc_lo, s2
	s_waitcnt vmcnt(0) lgkmcnt(0)
	v_fma_f64 v[57:58], v[66:67], v[68:69], v[57:58]
	s_and_not1_b32 exec_lo, exec_lo, s2
	s_cbranch_execnz .LBB27_441
; %bb.442:
	s_or_b32 exec_lo, exec_lo, s2
.LBB27_443:
	s_delay_alu instid0(SALU_CYCLE_1)
	s_or_b32 exec_lo, exec_lo, s1
	v_mov_b32_e32 v63, 0
	ds_load_b64 v[63:64], v63 offset:144
	s_waitcnt lgkmcnt(0)
	v_mul_f64 v[57:58], v[57:58], v[63:64]
	scratch_store_b64 off, v[57:58], off offset:144
.LBB27_444:
	s_or_b32 exec_lo, exec_lo, s0
	scratch_load_b64 v[57:58], off, off offset:152
	s_mov_b32 s0, exec_lo
	s_waitcnt vmcnt(0)
	ds_store_b64 v60, v[57:58]
	s_waitcnt lgkmcnt(0)
	s_waitcnt_vscnt null, 0x0
	s_barrier
	buffer_gl0_inv
	v_cmpx_gt_u32_e32 19, v0
	s_cbranch_execz .LBB27_454
; %bb.445:
	v_cmp_ne_u32_e32 vcc_lo, 1, v62
	s_cbranch_vccnz .LBB27_447
; %bb.446:
	scratch_load_b64 v[57:58], v61, off
	ds_load_b64 v[63:64], v60
	s_waitcnt vmcnt(0) lgkmcnt(0)
	v_mul_f64 v[57:58], v[57:58], v[63:64]
	s_cbranch_execz .LBB27_448
	s_branch .LBB27_449
.LBB27_447:
                                        ; implicit-def: $vgpr57_vgpr58
.LBB27_448:
	ds_load_b64 v[57:58], v60
.LBB27_449:
	s_mov_b32 s1, exec_lo
	v_cmpx_ne_u32_e32 18, v0
	s_cbranch_execz .LBB27_453
; %bb.450:
	v_add_nc_u32_e32 v63, 0xe8, v59
	v_add3_u32 v64, 0, v59, 8
	v_mov_b32_e32 v65, v0
	s_mov_b32 s2, 0
.LBB27_451:                             ; =>This Inner Loop Header: Depth=1
	scratch_load_b64 v[66:67], v64, off
	ds_load_b64 v[68:69], v63
	v_add_nc_u32_e32 v65, 1, v65
	v_add_nc_u32_e32 v63, 8, v63
	v_add_nc_u32_e32 v64, 8, v64
	s_delay_alu instid0(VALU_DEP_3)
	v_cmp_lt_u32_e32 vcc_lo, 17, v65
	s_or_b32 s2, vcc_lo, s2
	s_waitcnt vmcnt(0) lgkmcnt(0)
	v_fma_f64 v[57:58], v[66:67], v[68:69], v[57:58]
	s_and_not1_b32 exec_lo, exec_lo, s2
	s_cbranch_execnz .LBB27_451
; %bb.452:
	s_or_b32 exec_lo, exec_lo, s2
.LBB27_453:
	s_delay_alu instid0(SALU_CYCLE_1)
	s_or_b32 exec_lo, exec_lo, s1
	v_mov_b32_e32 v63, 0
	ds_load_b64 v[63:64], v63 offset:152
	s_waitcnt lgkmcnt(0)
	v_mul_f64 v[57:58], v[57:58], v[63:64]
	scratch_store_b64 off, v[57:58], off offset:152
.LBB27_454:
	s_or_b32 exec_lo, exec_lo, s0
	scratch_load_b64 v[57:58], off, off offset:160
	s_mov_b32 s0, exec_lo
	s_waitcnt vmcnt(0)
	ds_store_b64 v60, v[57:58]
	s_waitcnt lgkmcnt(0)
	s_waitcnt_vscnt null, 0x0
	s_barrier
	buffer_gl0_inv
	v_cmpx_gt_u32_e32 20, v0
	s_cbranch_execz .LBB27_464
; %bb.455:
	v_cmp_ne_u32_e32 vcc_lo, 1, v62
	s_cbranch_vccnz .LBB27_457
; %bb.456:
	scratch_load_b64 v[57:58], v61, off
	ds_load_b64 v[63:64], v60
	s_waitcnt vmcnt(0) lgkmcnt(0)
	v_mul_f64 v[57:58], v[57:58], v[63:64]
	s_cbranch_execz .LBB27_458
	s_branch .LBB27_459
.LBB27_457:
                                        ; implicit-def: $vgpr57_vgpr58
.LBB27_458:
	ds_load_b64 v[57:58], v60
.LBB27_459:
	s_mov_b32 s1, exec_lo
	v_cmpx_ne_u32_e32 19, v0
	s_cbranch_execz .LBB27_463
; %bb.460:
	v_add_nc_u32_e32 v63, 0xe8, v59
	v_add3_u32 v64, 0, v59, 8
	v_mov_b32_e32 v65, v0
	s_mov_b32 s2, 0
.LBB27_461:                             ; =>This Inner Loop Header: Depth=1
	scratch_load_b64 v[66:67], v64, off
	ds_load_b64 v[68:69], v63
	v_add_nc_u32_e32 v65, 1, v65
	v_add_nc_u32_e32 v63, 8, v63
	v_add_nc_u32_e32 v64, 8, v64
	s_delay_alu instid0(VALU_DEP_3)
	v_cmp_lt_u32_e32 vcc_lo, 18, v65
	s_or_b32 s2, vcc_lo, s2
	s_waitcnt vmcnt(0) lgkmcnt(0)
	v_fma_f64 v[57:58], v[66:67], v[68:69], v[57:58]
	s_and_not1_b32 exec_lo, exec_lo, s2
	s_cbranch_execnz .LBB27_461
; %bb.462:
	s_or_b32 exec_lo, exec_lo, s2
.LBB27_463:
	s_delay_alu instid0(SALU_CYCLE_1)
	s_or_b32 exec_lo, exec_lo, s1
	v_mov_b32_e32 v63, 0
	ds_load_b64 v[63:64], v63 offset:160
	s_waitcnt lgkmcnt(0)
	v_mul_f64 v[57:58], v[57:58], v[63:64]
	scratch_store_b64 off, v[57:58], off offset:160
.LBB27_464:
	s_or_b32 exec_lo, exec_lo, s0
	scratch_load_b64 v[57:58], off, off offset:168
	s_mov_b32 s0, exec_lo
	s_waitcnt vmcnt(0)
	ds_store_b64 v60, v[57:58]
	s_waitcnt lgkmcnt(0)
	s_waitcnt_vscnt null, 0x0
	s_barrier
	buffer_gl0_inv
	v_cmpx_gt_u32_e32 21, v0
	s_cbranch_execz .LBB27_474
; %bb.465:
	v_cmp_ne_u32_e32 vcc_lo, 1, v62
	s_cbranch_vccnz .LBB27_467
; %bb.466:
	scratch_load_b64 v[57:58], v61, off
	ds_load_b64 v[63:64], v60
	s_waitcnt vmcnt(0) lgkmcnt(0)
	v_mul_f64 v[57:58], v[57:58], v[63:64]
	s_cbranch_execz .LBB27_468
	s_branch .LBB27_469
.LBB27_467:
                                        ; implicit-def: $vgpr57_vgpr58
.LBB27_468:
	ds_load_b64 v[57:58], v60
.LBB27_469:
	s_mov_b32 s1, exec_lo
	v_cmpx_ne_u32_e32 20, v0
	s_cbranch_execz .LBB27_473
; %bb.470:
	v_add_nc_u32_e32 v63, 0xe8, v59
	v_add3_u32 v64, 0, v59, 8
	v_mov_b32_e32 v65, v0
	s_mov_b32 s2, 0
.LBB27_471:                             ; =>This Inner Loop Header: Depth=1
	scratch_load_b64 v[66:67], v64, off
	ds_load_b64 v[68:69], v63
	v_add_nc_u32_e32 v65, 1, v65
	v_add_nc_u32_e32 v63, 8, v63
	v_add_nc_u32_e32 v64, 8, v64
	s_delay_alu instid0(VALU_DEP_3)
	v_cmp_lt_u32_e32 vcc_lo, 19, v65
	s_or_b32 s2, vcc_lo, s2
	s_waitcnt vmcnt(0) lgkmcnt(0)
	v_fma_f64 v[57:58], v[66:67], v[68:69], v[57:58]
	s_and_not1_b32 exec_lo, exec_lo, s2
	s_cbranch_execnz .LBB27_471
; %bb.472:
	s_or_b32 exec_lo, exec_lo, s2
.LBB27_473:
	s_delay_alu instid0(SALU_CYCLE_1)
	s_or_b32 exec_lo, exec_lo, s1
	v_mov_b32_e32 v63, 0
	ds_load_b64 v[63:64], v63 offset:168
	s_waitcnt lgkmcnt(0)
	v_mul_f64 v[57:58], v[57:58], v[63:64]
	scratch_store_b64 off, v[57:58], off offset:168
.LBB27_474:
	s_or_b32 exec_lo, exec_lo, s0
	scratch_load_b64 v[57:58], off, off offset:176
	s_mov_b32 s0, exec_lo
	s_waitcnt vmcnt(0)
	ds_store_b64 v60, v[57:58]
	s_waitcnt lgkmcnt(0)
	s_waitcnt_vscnt null, 0x0
	s_barrier
	buffer_gl0_inv
	v_cmpx_gt_u32_e32 22, v0
	s_cbranch_execz .LBB27_484
; %bb.475:
	v_cmp_ne_u32_e32 vcc_lo, 1, v62
	s_cbranch_vccnz .LBB27_477
; %bb.476:
	scratch_load_b64 v[57:58], v61, off
	ds_load_b64 v[63:64], v60
	s_waitcnt vmcnt(0) lgkmcnt(0)
	v_mul_f64 v[57:58], v[57:58], v[63:64]
	s_cbranch_execz .LBB27_478
	s_branch .LBB27_479
.LBB27_477:
                                        ; implicit-def: $vgpr57_vgpr58
.LBB27_478:
	ds_load_b64 v[57:58], v60
.LBB27_479:
	s_mov_b32 s1, exec_lo
	v_cmpx_ne_u32_e32 21, v0
	s_cbranch_execz .LBB27_483
; %bb.480:
	v_add_nc_u32_e32 v63, 0xe8, v59
	v_add3_u32 v64, 0, v59, 8
	v_mov_b32_e32 v65, v0
	s_mov_b32 s2, 0
.LBB27_481:                             ; =>This Inner Loop Header: Depth=1
	scratch_load_b64 v[66:67], v64, off
	ds_load_b64 v[68:69], v63
	v_add_nc_u32_e32 v65, 1, v65
	v_add_nc_u32_e32 v63, 8, v63
	v_add_nc_u32_e32 v64, 8, v64
	s_delay_alu instid0(VALU_DEP_3)
	v_cmp_lt_u32_e32 vcc_lo, 20, v65
	s_or_b32 s2, vcc_lo, s2
	s_waitcnt vmcnt(0) lgkmcnt(0)
	v_fma_f64 v[57:58], v[66:67], v[68:69], v[57:58]
	s_and_not1_b32 exec_lo, exec_lo, s2
	s_cbranch_execnz .LBB27_481
; %bb.482:
	s_or_b32 exec_lo, exec_lo, s2
.LBB27_483:
	s_delay_alu instid0(SALU_CYCLE_1)
	s_or_b32 exec_lo, exec_lo, s1
	v_mov_b32_e32 v63, 0
	ds_load_b64 v[63:64], v63 offset:176
	s_waitcnt lgkmcnt(0)
	v_mul_f64 v[57:58], v[57:58], v[63:64]
	scratch_store_b64 off, v[57:58], off offset:176
.LBB27_484:
	s_or_b32 exec_lo, exec_lo, s0
	scratch_load_b64 v[57:58], off, off offset:184
	s_mov_b32 s0, exec_lo
	s_waitcnt vmcnt(0)
	ds_store_b64 v60, v[57:58]
	s_waitcnt lgkmcnt(0)
	s_waitcnt_vscnt null, 0x0
	s_barrier
	buffer_gl0_inv
	v_cmpx_gt_u32_e32 23, v0
	s_cbranch_execz .LBB27_494
; %bb.485:
	v_cmp_ne_u32_e32 vcc_lo, 1, v62
	s_cbranch_vccnz .LBB27_487
; %bb.486:
	scratch_load_b64 v[57:58], v61, off
	ds_load_b64 v[63:64], v60
	s_waitcnt vmcnt(0) lgkmcnt(0)
	v_mul_f64 v[57:58], v[57:58], v[63:64]
	s_cbranch_execz .LBB27_488
	s_branch .LBB27_489
.LBB27_487:
                                        ; implicit-def: $vgpr57_vgpr58
.LBB27_488:
	ds_load_b64 v[57:58], v60
.LBB27_489:
	s_mov_b32 s1, exec_lo
	v_cmpx_ne_u32_e32 22, v0
	s_cbranch_execz .LBB27_493
; %bb.490:
	v_add_nc_u32_e32 v63, 0xe8, v59
	v_add3_u32 v64, 0, v59, 8
	v_mov_b32_e32 v65, v0
	s_mov_b32 s2, 0
.LBB27_491:                             ; =>This Inner Loop Header: Depth=1
	scratch_load_b64 v[66:67], v64, off
	ds_load_b64 v[68:69], v63
	v_add_nc_u32_e32 v65, 1, v65
	v_add_nc_u32_e32 v63, 8, v63
	v_add_nc_u32_e32 v64, 8, v64
	s_delay_alu instid0(VALU_DEP_3)
	v_cmp_lt_u32_e32 vcc_lo, 21, v65
	s_or_b32 s2, vcc_lo, s2
	s_waitcnt vmcnt(0) lgkmcnt(0)
	v_fma_f64 v[57:58], v[66:67], v[68:69], v[57:58]
	s_and_not1_b32 exec_lo, exec_lo, s2
	s_cbranch_execnz .LBB27_491
; %bb.492:
	s_or_b32 exec_lo, exec_lo, s2
.LBB27_493:
	s_delay_alu instid0(SALU_CYCLE_1)
	s_or_b32 exec_lo, exec_lo, s1
	v_mov_b32_e32 v63, 0
	ds_load_b64 v[63:64], v63 offset:184
	s_waitcnt lgkmcnt(0)
	v_mul_f64 v[57:58], v[57:58], v[63:64]
	scratch_store_b64 off, v[57:58], off offset:184
.LBB27_494:
	s_or_b32 exec_lo, exec_lo, s0
	scratch_load_b64 v[57:58], off, off offset:192
	s_mov_b32 s0, exec_lo
	s_waitcnt vmcnt(0)
	ds_store_b64 v60, v[57:58]
	s_waitcnt lgkmcnt(0)
	s_waitcnt_vscnt null, 0x0
	s_barrier
	buffer_gl0_inv
	v_cmpx_gt_u32_e32 24, v0
	s_cbranch_execz .LBB27_504
; %bb.495:
	v_cmp_ne_u32_e32 vcc_lo, 1, v62
	s_cbranch_vccnz .LBB27_497
; %bb.496:
	scratch_load_b64 v[57:58], v61, off
	ds_load_b64 v[63:64], v60
	s_waitcnt vmcnt(0) lgkmcnt(0)
	v_mul_f64 v[57:58], v[57:58], v[63:64]
	s_cbranch_execz .LBB27_498
	s_branch .LBB27_499
.LBB27_497:
                                        ; implicit-def: $vgpr57_vgpr58
.LBB27_498:
	ds_load_b64 v[57:58], v60
.LBB27_499:
	s_mov_b32 s1, exec_lo
	v_cmpx_ne_u32_e32 23, v0
	s_cbranch_execz .LBB27_503
; %bb.500:
	v_add_nc_u32_e32 v63, 0xe8, v59
	v_add3_u32 v64, 0, v59, 8
	v_mov_b32_e32 v65, v0
	s_mov_b32 s2, 0
.LBB27_501:                             ; =>This Inner Loop Header: Depth=1
	scratch_load_b64 v[66:67], v64, off
	ds_load_b64 v[68:69], v63
	v_add_nc_u32_e32 v65, 1, v65
	v_add_nc_u32_e32 v63, 8, v63
	v_add_nc_u32_e32 v64, 8, v64
	s_delay_alu instid0(VALU_DEP_3)
	v_cmp_lt_u32_e32 vcc_lo, 22, v65
	s_or_b32 s2, vcc_lo, s2
	s_waitcnt vmcnt(0) lgkmcnt(0)
	v_fma_f64 v[57:58], v[66:67], v[68:69], v[57:58]
	s_and_not1_b32 exec_lo, exec_lo, s2
	s_cbranch_execnz .LBB27_501
; %bb.502:
	s_or_b32 exec_lo, exec_lo, s2
.LBB27_503:
	s_delay_alu instid0(SALU_CYCLE_1)
	s_or_b32 exec_lo, exec_lo, s1
	v_mov_b32_e32 v63, 0
	ds_load_b64 v[63:64], v63 offset:192
	s_waitcnt lgkmcnt(0)
	v_mul_f64 v[57:58], v[57:58], v[63:64]
	scratch_store_b64 off, v[57:58], off offset:192
.LBB27_504:
	s_or_b32 exec_lo, exec_lo, s0
	scratch_load_b64 v[57:58], off, off offset:200
	s_mov_b32 s0, exec_lo
	s_waitcnt vmcnt(0)
	ds_store_b64 v60, v[57:58]
	s_waitcnt lgkmcnt(0)
	s_waitcnt_vscnt null, 0x0
	s_barrier
	buffer_gl0_inv
	v_cmpx_gt_u32_e32 25, v0
	s_cbranch_execz .LBB27_514
; %bb.505:
	v_cmp_ne_u32_e32 vcc_lo, 1, v62
	s_cbranch_vccnz .LBB27_507
; %bb.506:
	scratch_load_b64 v[57:58], v61, off
	ds_load_b64 v[63:64], v60
	s_waitcnt vmcnt(0) lgkmcnt(0)
	v_mul_f64 v[57:58], v[57:58], v[63:64]
	s_cbranch_execz .LBB27_508
	s_branch .LBB27_509
.LBB27_507:
                                        ; implicit-def: $vgpr57_vgpr58
.LBB27_508:
	ds_load_b64 v[57:58], v60
.LBB27_509:
	s_mov_b32 s1, exec_lo
	v_cmpx_ne_u32_e32 24, v0
	s_cbranch_execz .LBB27_513
; %bb.510:
	v_add_nc_u32_e32 v63, 0xe8, v59
	v_add3_u32 v64, 0, v59, 8
	v_mov_b32_e32 v65, v0
	s_mov_b32 s2, 0
.LBB27_511:                             ; =>This Inner Loop Header: Depth=1
	scratch_load_b64 v[66:67], v64, off
	ds_load_b64 v[68:69], v63
	v_add_nc_u32_e32 v65, 1, v65
	v_add_nc_u32_e32 v63, 8, v63
	v_add_nc_u32_e32 v64, 8, v64
	s_delay_alu instid0(VALU_DEP_3)
	v_cmp_lt_u32_e32 vcc_lo, 23, v65
	s_or_b32 s2, vcc_lo, s2
	s_waitcnt vmcnt(0) lgkmcnt(0)
	v_fma_f64 v[57:58], v[66:67], v[68:69], v[57:58]
	s_and_not1_b32 exec_lo, exec_lo, s2
	s_cbranch_execnz .LBB27_511
; %bb.512:
	s_or_b32 exec_lo, exec_lo, s2
.LBB27_513:
	s_delay_alu instid0(SALU_CYCLE_1)
	s_or_b32 exec_lo, exec_lo, s1
	v_mov_b32_e32 v63, 0
	ds_load_b64 v[63:64], v63 offset:200
	s_waitcnt lgkmcnt(0)
	v_mul_f64 v[57:58], v[57:58], v[63:64]
	scratch_store_b64 off, v[57:58], off offset:200
.LBB27_514:
	s_or_b32 exec_lo, exec_lo, s0
	scratch_load_b64 v[57:58], off, off offset:208
	v_cmp_gt_u32_e64 s0, 26, v0
	s_waitcnt vmcnt(0)
	ds_store_b64 v60, v[57:58]
	s_waitcnt lgkmcnt(0)
	s_waitcnt_vscnt null, 0x0
	s_barrier
	buffer_gl0_inv
	s_and_saveexec_b32 s1, s0
	s_cbranch_execz .LBB27_524
; %bb.515:
	v_cmp_ne_u32_e32 vcc_lo, 1, v62
	s_cbranch_vccnz .LBB27_517
; %bb.516:
	scratch_load_b64 v[57:58], v61, off
	ds_load_b64 v[63:64], v60
	s_waitcnt vmcnt(0) lgkmcnt(0)
	v_mul_f64 v[57:58], v[57:58], v[63:64]
	s_cbranch_execz .LBB27_518
	s_branch .LBB27_519
.LBB27_517:
                                        ; implicit-def: $vgpr57_vgpr58
.LBB27_518:
	ds_load_b64 v[57:58], v60
.LBB27_519:
	s_mov_b32 s2, exec_lo
	v_cmpx_ne_u32_e32 25, v0
	s_cbranch_execz .LBB27_523
; %bb.520:
	v_add_nc_u32_e32 v63, 0xe8, v59
	v_add3_u32 v64, 0, v59, 8
	v_mov_b32_e32 v65, v0
	s_mov_b32 s3, 0
.LBB27_521:                             ; =>This Inner Loop Header: Depth=1
	scratch_load_b64 v[66:67], v64, off
	ds_load_b64 v[68:69], v63
	v_add_nc_u32_e32 v65, 1, v65
	v_add_nc_u32_e32 v63, 8, v63
	;; [unrolled: 1-line block ×3, first 2 shown]
	s_delay_alu instid0(VALU_DEP_3)
	v_cmp_lt_u32_e32 vcc_lo, 24, v65
	s_or_b32 s3, vcc_lo, s3
	s_waitcnt vmcnt(0) lgkmcnt(0)
	v_fma_f64 v[57:58], v[66:67], v[68:69], v[57:58]
	s_and_not1_b32 exec_lo, exec_lo, s3
	s_cbranch_execnz .LBB27_521
; %bb.522:
	s_or_b32 exec_lo, exec_lo, s3
.LBB27_523:
	s_delay_alu instid0(SALU_CYCLE_1)
	s_or_b32 exec_lo, exec_lo, s2
	v_mov_b32_e32 v63, 0
	ds_load_b64 v[63:64], v63 offset:208
	s_waitcnt lgkmcnt(0)
	v_mul_f64 v[57:58], v[57:58], v[63:64]
	scratch_store_b64 off, v[57:58], off offset:208
.LBB27_524:
	s_or_b32 exec_lo, exec_lo, s1
	scratch_load_b64 v[57:58], off, off offset:216
	s_mov_b32 s1, exec_lo
	s_waitcnt vmcnt(0)
	ds_store_b64 v60, v[57:58]
	s_waitcnt lgkmcnt(0)
	s_waitcnt_vscnt null, 0x0
	s_barrier
	buffer_gl0_inv
	v_cmpx_ne_u32_e32 27, v0
	s_cbranch_execz .LBB27_534
; %bb.525:
	v_cmp_ne_u32_e32 vcc_lo, 1, v62
	s_cbranch_vccnz .LBB27_527
; %bb.526:
	scratch_load_b64 v[57:58], v61, off
	ds_load_b64 v[61:62], v60
	s_waitcnt vmcnt(0) lgkmcnt(0)
	v_mul_f64 v[57:58], v[57:58], v[61:62]
	s_cbranch_execz .LBB27_528
	s_branch .LBB27_529
.LBB27_527:
                                        ; implicit-def: $vgpr57_vgpr58
.LBB27_528:
	ds_load_b64 v[57:58], v60
.LBB27_529:
	s_and_saveexec_b32 s2, s0
	s_cbranch_execz .LBB27_533
; %bb.530:
	v_add_nc_u32_e32 v60, 0xe8, v59
	v_add3_u32 v59, 0, v59, 8
	s_mov_b32 s0, 0
.LBB27_531:                             ; =>This Inner Loop Header: Depth=1
	scratch_load_b64 v[61:62], v59, off
	ds_load_b64 v[63:64], v60
	v_add_nc_u32_e32 v0, 1, v0
	v_add_nc_u32_e32 v60, 8, v60
	;; [unrolled: 1-line block ×3, first 2 shown]
	s_delay_alu instid0(VALU_DEP_3)
	v_cmp_lt_u32_e32 vcc_lo, 25, v0
	s_or_b32 s0, vcc_lo, s0
	s_waitcnt vmcnt(0) lgkmcnt(0)
	v_fma_f64 v[57:58], v[61:62], v[63:64], v[57:58]
	s_and_not1_b32 exec_lo, exec_lo, s0
	s_cbranch_execnz .LBB27_531
; %bb.532:
	s_or_b32 exec_lo, exec_lo, s0
.LBB27_533:
	s_delay_alu instid0(SALU_CYCLE_1)
	s_or_b32 exec_lo, exec_lo, s2
	v_mov_b32_e32 v0, 0
	ds_load_b64 v[59:60], v0 offset:216
	s_waitcnt lgkmcnt(0)
	v_mul_f64 v[57:58], v[57:58], v[59:60]
	scratch_store_b64 off, v[57:58], off offset:216
.LBB27_534:
	s_or_b32 exec_lo, exec_lo, s1
.LBB27_535:
	s_clause 0x9
	scratch_load_b128 v[57:60], off, off
	scratch_load_b128 v[61:64], off, off offset:16
	scratch_load_b128 v[65:68], off, off offset:32
	;; [unrolled: 1-line block ×9, first 2 shown]
	s_waitcnt vmcnt(9)
	s_clause 0x1
	global_store_b64 v[11:12], v[57:58], off
	global_store_b64 v[5:6], v[59:60], off
	scratch_load_b128 v[57:60], off, off offset:144
	s_waitcnt vmcnt(9)
	global_store_b64 v[3:4], v[61:62], off
	scratch_load_b128 v[3:6], off, off offset:160
	global_store_b64 v[1:2], v[63:64], off
	scratch_load_b128 v[61:64], off, off offset:176
	s_waitcnt vmcnt(10)
	s_clause 0x1
	global_store_b64 v[15:16], v[65:66], off
	global_store_b64 v[13:14], v[67:68], off
	scratch_load_b128 v[11:14], off, off offset:208
	s_waitcnt vmcnt(10)
	s_clause 0x1
	global_store_b64 v[7:8], v[69:70], off
	global_store_b64 v[9:10], v[71:72], off
	s_waitcnt vmcnt(9)
	s_clause 0x1
	global_store_b64 v[17:18], v[73:74], off
	global_store_b64 v[19:20], v[75:76], off
	;; [unrolled: 4-line block ×9, first 2 shown]
	global_store_b64 v[53:54], v[93:94], off
	global_store_b64 v[55:56], v[95:96], off
	s_waitcnt vmcnt(0)
	s_clause 0x1
	global_store_b64 v[49:50], v[11:12], off
	global_store_b64 v[27:28], v[13:14], off
.LBB27_536:
	s_endpgm
	.section	.rodata,"a",@progbits
	.p2align	6, 0x0
	.amdhsa_kernel _ZN9rocsolver6v33100L18trti2_kernel_smallILi28EdPdEEv13rocblas_fill_17rocblas_diagonal_T1_iil
		.amdhsa_group_segment_fixed_size 448
		.amdhsa_private_segment_fixed_size 240
		.amdhsa_kernarg_size 32
		.amdhsa_user_sgpr_count 15
		.amdhsa_user_sgpr_dispatch_ptr 0
		.amdhsa_user_sgpr_queue_ptr 0
		.amdhsa_user_sgpr_kernarg_segment_ptr 1
		.amdhsa_user_sgpr_dispatch_id 0
		.amdhsa_user_sgpr_private_segment_size 0
		.amdhsa_wavefront_size32 1
		.amdhsa_uses_dynamic_stack 0
		.amdhsa_enable_private_segment 1
		.amdhsa_system_sgpr_workgroup_id_x 1
		.amdhsa_system_sgpr_workgroup_id_y 0
		.amdhsa_system_sgpr_workgroup_id_z 0
		.amdhsa_system_sgpr_workgroup_info 0
		.amdhsa_system_vgpr_workitem_id 0
		.amdhsa_next_free_vgpr 98
		.amdhsa_next_free_sgpr 16
		.amdhsa_reserve_vcc 1
		.amdhsa_float_round_mode_32 0
		.amdhsa_float_round_mode_16_64 0
		.amdhsa_float_denorm_mode_32 3
		.amdhsa_float_denorm_mode_16_64 3
		.amdhsa_dx10_clamp 1
		.amdhsa_ieee_mode 1
		.amdhsa_fp16_overflow 0
		.amdhsa_workgroup_processor_mode 1
		.amdhsa_memory_ordered 1
		.amdhsa_forward_progress 0
		.amdhsa_shared_vgpr_count 0
		.amdhsa_exception_fp_ieee_invalid_op 0
		.amdhsa_exception_fp_denorm_src 0
		.amdhsa_exception_fp_ieee_div_zero 0
		.amdhsa_exception_fp_ieee_overflow 0
		.amdhsa_exception_fp_ieee_underflow 0
		.amdhsa_exception_fp_ieee_inexact 0
		.amdhsa_exception_int_div_zero 0
	.end_amdhsa_kernel
	.section	.text._ZN9rocsolver6v33100L18trti2_kernel_smallILi28EdPdEEv13rocblas_fill_17rocblas_diagonal_T1_iil,"axG",@progbits,_ZN9rocsolver6v33100L18trti2_kernel_smallILi28EdPdEEv13rocblas_fill_17rocblas_diagonal_T1_iil,comdat
.Lfunc_end27:
	.size	_ZN9rocsolver6v33100L18trti2_kernel_smallILi28EdPdEEv13rocblas_fill_17rocblas_diagonal_T1_iil, .Lfunc_end27-_ZN9rocsolver6v33100L18trti2_kernel_smallILi28EdPdEEv13rocblas_fill_17rocblas_diagonal_T1_iil
                                        ; -- End function
	.section	.AMDGPU.csdata,"",@progbits
; Kernel info:
; codeLenInByte = 15048
; NumSgprs: 18
; NumVgprs: 98
; ScratchSize: 240
; MemoryBound: 0
; FloatMode: 240
; IeeeMode: 1
; LDSByteSize: 448 bytes/workgroup (compile time only)
; SGPRBlocks: 2
; VGPRBlocks: 12
; NumSGPRsForWavesPerEU: 18
; NumVGPRsForWavesPerEU: 98
; Occupancy: 12
; WaveLimiterHint : 0
; COMPUTE_PGM_RSRC2:SCRATCH_EN: 1
; COMPUTE_PGM_RSRC2:USER_SGPR: 15
; COMPUTE_PGM_RSRC2:TRAP_HANDLER: 0
; COMPUTE_PGM_RSRC2:TGID_X_EN: 1
; COMPUTE_PGM_RSRC2:TGID_Y_EN: 0
; COMPUTE_PGM_RSRC2:TGID_Z_EN: 0
; COMPUTE_PGM_RSRC2:TIDIG_COMP_CNT: 0
	.section	.text._ZN9rocsolver6v33100L18trti2_kernel_smallILi29EdPdEEv13rocblas_fill_17rocblas_diagonal_T1_iil,"axG",@progbits,_ZN9rocsolver6v33100L18trti2_kernel_smallILi29EdPdEEv13rocblas_fill_17rocblas_diagonal_T1_iil,comdat
	.globl	_ZN9rocsolver6v33100L18trti2_kernel_smallILi29EdPdEEv13rocblas_fill_17rocblas_diagonal_T1_iil ; -- Begin function _ZN9rocsolver6v33100L18trti2_kernel_smallILi29EdPdEEv13rocblas_fill_17rocblas_diagonal_T1_iil
	.p2align	8
	.type	_ZN9rocsolver6v33100L18trti2_kernel_smallILi29EdPdEEv13rocblas_fill_17rocblas_diagonal_T1_iil,@function
_ZN9rocsolver6v33100L18trti2_kernel_smallILi29EdPdEEv13rocblas_fill_17rocblas_diagonal_T1_iil: ; @_ZN9rocsolver6v33100L18trti2_kernel_smallILi29EdPdEEv13rocblas_fill_17rocblas_diagonal_T1_iil
; %bb.0:
	s_mov_b32 s2, exec_lo
	v_cmpx_gt_u32_e32 29, v0
	s_cbranch_execz .LBB28_556
; %bb.1:
	s_load_b256 s[0:7], s[0:1], 0x0
	s_ashr_i32 s10, s15, 31
	v_lshlrev_b32_e32 v61, 3, v0
	v_mov_b32_e32 v59, 0
	v_mov_b32_e32 v60, 0xbff00000
	s_waitcnt lgkmcnt(0)
	s_ashr_i32 s9, s4, 31
	s_mov_b32 s8, s4
	s_mul_i32 s4, s15, s7
	s_mul_hi_u32 s7, s15, s6
	v_add3_u32 v1, s5, s5, v0
	s_mul_i32 s11, s10, s6
	s_add_i32 s4, s7, s4
	s_mul_i32 s6, s15, s6
	s_add_i32 s7, s4, s11
	v_add_nc_u32_e32 v3, s5, v1
	s_lshl_b64 s[6:7], s[6:7], 3
	v_ashrrev_i32_e32 v2, 31, v1
	s_add_u32 s4, s2, s6
	s_addc_u32 s6, s3, s7
	s_lshl_b64 s[2:3], s[8:9], 3
	v_add_nc_u32_e32 v5, s5, v3
	s_add_u32 s2, s4, s2
	v_ashrrev_i32_e32 v4, 31, v3
	s_addc_u32 s3, s6, s3
	v_add_co_u32 v9, s4, s2, v61
	s_mov_b32 s10, s5
	s_ashr_i32 s11, s5, 31
	v_lshlrev_b64 v[1:2], 3, v[1:2]
	v_add_co_ci_u32_e64 v10, null, s3, 0, s4
	s_lshl_b64 s[6:7], s[10:11], 3
	v_ashrrev_i32_e32 v6, 31, v5
	v_lshlrev_b64 v[3:4], 3, v[3:4]
	v_add_co_u32 v7, vcc_lo, v9, s6
	v_add_nc_u32_e32 v13, s5, v5
	v_add_co_ci_u32_e32 v8, vcc_lo, s7, v10, vcc_lo
	v_add_co_u32 v1, vcc_lo, s2, v1
	v_lshlrev_b64 v[11:12], 3, v[5:6]
	v_add_co_ci_u32_e32 v2, vcc_lo, s3, v2, vcc_lo
	v_add_co_u32 v3, vcc_lo, s2, v3
	v_ashrrev_i32_e32 v14, 31, v13
	v_add_nc_u32_e32 v15, s5, v13
	v_add_co_ci_u32_e32 v4, vcc_lo, s3, v4, vcc_lo
	v_add_co_u32 v5, vcc_lo, s2, v11
	v_add_co_ci_u32_e32 v6, vcc_lo, s3, v12, vcc_lo
	v_lshlrev_b64 v[11:12], 3, v[13:14]
	v_add_nc_u32_e32 v13, s5, v15
	v_ashrrev_i32_e32 v16, 31, v15
	s_clause 0x4
	global_load_b64 v[62:63], v61, s[2:3]
	global_load_b64 v[64:65], v[7:8], off
	global_load_b64 v[66:67], v[1:2], off
	;; [unrolled: 1-line block ×4, first 2 shown]
	s_cmpk_lg_i32 s1, 0x84
	v_add_nc_u32_e32 v19, s5, v13
	v_lshlrev_b64 v[17:18], 3, v[15:16]
	v_add_co_u32 v15, vcc_lo, s2, v11
	v_add_co_ci_u32_e32 v16, vcc_lo, s3, v12, vcc_lo
	s_delay_alu instid0(VALU_DEP_4) | instskip(SKIP_3) | instid1(VALU_DEP_4)
	v_add_nc_u32_e32 v21, s5, v19
	v_ashrrev_i32_e32 v20, 31, v19
	v_add_co_u32 v11, vcc_lo, s2, v17
	v_add_co_ci_u32_e32 v12, vcc_lo, s3, v18, vcc_lo
	v_ashrrev_i32_e32 v22, 31, v21
	s_delay_alu instid0(VALU_DEP_4) | instskip(SKIP_1) | instid1(VALU_DEP_3)
	v_lshlrev_b64 v[17:18], 3, v[19:20]
	v_ashrrev_i32_e32 v14, 31, v13
	v_lshlrev_b64 v[19:20], 3, v[21:22]
	v_add_nc_u32_e32 v21, s5, v21
	s_delay_alu instid0(VALU_DEP_3) | instskip(NEXT) | instid1(VALU_DEP_2)
	v_lshlrev_b64 v[13:14], 3, v[13:14]
	v_add_nc_u32_e32 v23, s5, v21
	v_ashrrev_i32_e32 v22, 31, v21
	s_delay_alu instid0(VALU_DEP_3) | instskip(NEXT) | instid1(VALU_DEP_4)
	v_add_co_u32 v13, vcc_lo, s2, v13
	v_add_co_ci_u32_e32 v14, vcc_lo, s3, v14, vcc_lo
	s_delay_alu instid0(VALU_DEP_4) | instskip(SKIP_3) | instid1(VALU_DEP_4)
	v_add_nc_u32_e32 v25, s5, v23
	v_ashrrev_i32_e32 v24, 31, v23
	v_add_co_u32 v17, vcc_lo, s2, v17
	v_lshlrev_b64 v[21:22], 3, v[21:22]
	v_add_nc_u32_e32 v29, s5, v25
	v_ashrrev_i32_e32 v26, 31, v25
	v_add_co_ci_u32_e32 v18, vcc_lo, s3, v18, vcc_lo
	v_add_co_u32 v19, vcc_lo, s2, v19
	v_lshlrev_b64 v[23:24], 3, v[23:24]
	v_ashrrev_i32_e32 v30, 31, v29
	v_add_co_ci_u32_e32 v20, vcc_lo, s3, v20, vcc_lo
	v_add_co_u32 v21, vcc_lo, s2, v21
	v_lshlrev_b64 v[25:26], 3, v[25:26]
	v_add_co_ci_u32_e32 v22, vcc_lo, s3, v22, vcc_lo
	v_add_co_u32 v23, vcc_lo, s2, v23
	v_lshlrev_b64 v[27:28], 3, v[29:30]
	v_add_co_ci_u32_e32 v24, vcc_lo, s3, v24, vcc_lo
	v_add_co_u32 v25, vcc_lo, s2, v25
	v_add_co_ci_u32_e32 v26, vcc_lo, s3, v26, vcc_lo
	s_delay_alu instid0(VALU_DEP_4)
	v_add_co_u32 v27, vcc_lo, s2, v27
	v_add_co_ci_u32_e32 v28, vcc_lo, s3, v28, vcc_lo
	s_clause 0x8
	global_load_b64 v[72:73], v[15:16], off
	global_load_b64 v[74:75], v[11:12], off
	;; [unrolled: 1-line block ×9, first 2 shown]
	v_add_nc_u32_e32 v29, s5, v29
	s_delay_alu instid0(VALU_DEP_1) | instskip(SKIP_1) | instid1(VALU_DEP_2)
	v_add_nc_u32_e32 v31, s5, v29
	v_ashrrev_i32_e32 v30, 31, v29
	v_add_nc_u32_e32 v33, s5, v31
	v_ashrrev_i32_e32 v32, 31, v31
	s_delay_alu instid0(VALU_DEP_3) | instskip(NEXT) | instid1(VALU_DEP_3)
	v_lshlrev_b64 v[29:30], 3, v[29:30]
	v_add_nc_u32_e32 v35, s5, v33
	v_ashrrev_i32_e32 v34, 31, v33
	s_delay_alu instid0(VALU_DEP_4) | instskip(NEXT) | instid1(VALU_DEP_4)
	v_lshlrev_b64 v[31:32], 3, v[31:32]
	v_add_co_u32 v29, vcc_lo, s2, v29
	s_delay_alu instid0(VALU_DEP_4) | instskip(SKIP_3) | instid1(VALU_DEP_4)
	v_add_nc_u32_e32 v37, s5, v35
	v_ashrrev_i32_e32 v36, 31, v35
	v_lshlrev_b64 v[33:34], 3, v[33:34]
	v_add_co_ci_u32_e32 v30, vcc_lo, s3, v30, vcc_lo
	v_add_nc_u32_e32 v39, s5, v37
	v_ashrrev_i32_e32 v38, 31, v37
	v_add_co_u32 v31, vcc_lo, s2, v31
	v_lshlrev_b64 v[35:36], 3, v[35:36]
	s_delay_alu instid0(VALU_DEP_4) | instskip(SKIP_3) | instid1(VALU_DEP_4)
	v_add_nc_u32_e32 v41, s5, v39
	v_ashrrev_i32_e32 v40, 31, v39
	v_add_co_ci_u32_e32 v32, vcc_lo, s3, v32, vcc_lo
	v_add_co_u32 v33, vcc_lo, s2, v33
	v_add_nc_u32_e32 v43, s5, v41
	v_lshlrev_b64 v[37:38], 3, v[37:38]
	v_ashrrev_i32_e32 v42, 31, v41
	v_add_co_ci_u32_e32 v34, vcc_lo, s3, v34, vcc_lo
	s_delay_alu instid0(VALU_DEP_4) | instskip(SKIP_3) | instid1(VALU_DEP_4)
	v_add_nc_u32_e32 v45, s5, v43
	v_add_co_u32 v35, vcc_lo, s2, v35
	v_lshlrev_b64 v[39:40], 3, v[39:40]
	v_ashrrev_i32_e32 v44, 31, v43
	v_add_nc_u32_e32 v47, s5, v45
	v_add_co_ci_u32_e32 v36, vcc_lo, s3, v36, vcc_lo
	v_add_co_u32 v37, vcc_lo, s2, v37
	s_delay_alu instid0(VALU_DEP_3) | instskip(SKIP_3) | instid1(VALU_DEP_4)
	v_add_nc_u32_e32 v49, s5, v47
	v_lshlrev_b64 v[41:42], 3, v[41:42]
	v_ashrrev_i32_e32 v46, 31, v45
	v_add_co_ci_u32_e32 v38, vcc_lo, s3, v38, vcc_lo
	v_add_nc_u32_e32 v51, s5, v49
	v_add_co_u32 v39, vcc_lo, s2, v39
	v_lshlrev_b64 v[43:44], 3, v[43:44]
	v_ashrrev_i32_e32 v48, 31, v47
	s_delay_alu instid0(VALU_DEP_4)
	v_add_nc_u32_e32 v53, s5, v51
	v_add_co_ci_u32_e32 v40, vcc_lo, s3, v40, vcc_lo
	v_add_co_u32 v41, vcc_lo, s2, v41
	v_lshlrev_b64 v[45:46], 3, v[45:46]
	v_ashrrev_i32_e32 v50, 31, v49
	v_add_co_ci_u32_e32 v42, vcc_lo, s3, v42, vcc_lo
	v_add_co_u32 v43, vcc_lo, s2, v43
	v_lshlrev_b64 v[47:48], 3, v[47:48]
	v_add_nc_u32_e32 v55, s5, v53
	v_ashrrev_i32_e32 v52, 31, v51
	v_add_co_ci_u32_e32 v44, vcc_lo, s3, v44, vcc_lo
	v_add_co_u32 v45, vcc_lo, s2, v45
	v_lshlrev_b64 v[49:50], 3, v[49:50]
	v_ashrrev_i32_e32 v54, 31, v53
	v_add_co_ci_u32_e32 v46, vcc_lo, s3, v46, vcc_lo
	v_add_nc_u32_e32 v57, s5, v55
	v_add_co_u32 v47, vcc_lo, s2, v47
	v_lshlrev_b64 v[51:52], 3, v[51:52]
	v_ashrrev_i32_e32 v56, 31, v55
	v_add_co_ci_u32_e32 v48, vcc_lo, s3, v48, vcc_lo
	v_add_co_u32 v49, vcc_lo, s2, v49
	v_lshlrev_b64 v[53:54], 3, v[53:54]
	v_ashrrev_i32_e32 v58, 31, v57
	v_add_co_ci_u32_e32 v50, vcc_lo, s3, v50, vcc_lo
	v_add_co_u32 v51, vcc_lo, s2, v51
	v_lshlrev_b64 v[55:56], 3, v[55:56]
	v_add_co_ci_u32_e32 v52, vcc_lo, s3, v52, vcc_lo
	v_add_co_u32 v53, vcc_lo, s2, v53
	v_lshlrev_b64 v[57:58], 3, v[57:58]
	v_add_co_ci_u32_e32 v54, vcc_lo, s3, v54, vcc_lo
	v_add_co_u32 v55, vcc_lo, s2, v55
	v_add_co_ci_u32_e32 v56, vcc_lo, s3, v56, vcc_lo
	s_delay_alu instid0(VALU_DEP_4)
	v_add_co_u32 v57, vcc_lo, s2, v57
	v_add_co_ci_u32_e32 v58, vcc_lo, s3, v58, vcc_lo
	s_cselect_b32 s2, -1, 0
	s_cmpk_eq_i32 s1, 0x84
	s_waitcnt vmcnt(12)
	scratch_store_b128 off, v[62:65], off
	s_clause 0x2
	global_load_b64 v[62:63], v[29:30], off
	global_load_b64 v[64:65], v[31:32], off
	global_load_b64 v[90:91], v[33:34], off
	s_waitcnt vmcnt(13)
	scratch_store_b128 off, v[66:69], off offset:16
	s_waitcnt vmcnt(11)
	scratch_store_b128 off, v[70:73], off offset:32
	s_clause 0x3
	global_load_b64 v[92:93], v[35:36], off
	global_load_b64 v[66:67], v[37:38], off
	global_load_b64 v[68:69], v[39:40], off
	global_load_b64 v[70:71], v[41:42], off
	s_waitcnt vmcnt(13)
	scratch_store_b128 off, v[74:77], off offset:48
	s_waitcnt vmcnt(11)
	scratch_store_b128 off, v[78:81], off offset:64
	s_clause 0x3
	global_load_b64 v[72:73], v[43:44], off
	;; [unrolled: 9-line block ×3, first 2 shown]
	global_load_b64 v[82:83], v[53:54], off
	global_load_b64 v[84:85], v[55:56], off
	;; [unrolled: 1-line block ×3, first 2 shown]
	s_waitcnt vmcnt(13)
	scratch_store_b128 off, v[62:65], off offset:112
	s_waitcnt vmcnt(11)
	scratch_store_b128 off, v[90:93], off offset:128
	;; [unrolled: 2-line block ×7, first 2 shown]
	s_waitcnt vmcnt(0)
	scratch_store_b64 off, v[86:87], off offset:224
	s_cbranch_scc1 .LBB28_3
; %bb.2:
	scratch_load_b64 v[59:60], v61, off
	s_waitcnt vmcnt(0)
	v_div_scale_f64 v[62:63], null, v[59:60], v[59:60], 1.0
	v_div_scale_f64 v[68:69], vcc_lo, 1.0, v[59:60], 1.0
	s_delay_alu instid0(VALU_DEP_2) | instskip(SKIP_2) | instid1(VALU_DEP_1)
	v_rcp_f64_e32 v[64:65], v[62:63]
	s_waitcnt_depctr 0xfff
	v_fma_f64 v[66:67], -v[62:63], v[64:65], 1.0
	v_fma_f64 v[64:65], v[64:65], v[66:67], v[64:65]
	s_delay_alu instid0(VALU_DEP_1) | instskip(NEXT) | instid1(VALU_DEP_1)
	v_fma_f64 v[66:67], -v[62:63], v[64:65], 1.0
	v_fma_f64 v[64:65], v[64:65], v[66:67], v[64:65]
	s_delay_alu instid0(VALU_DEP_1) | instskip(NEXT) | instid1(VALU_DEP_1)
	v_mul_f64 v[66:67], v[68:69], v[64:65]
	v_fma_f64 v[62:63], -v[62:63], v[66:67], v[68:69]
	s_delay_alu instid0(VALU_DEP_1) | instskip(NEXT) | instid1(VALU_DEP_1)
	v_div_fmas_f64 v[62:63], v[62:63], v[64:65], v[66:67]
	v_div_fixup_f64 v[59:60], v[62:63], v[59:60], 1.0
	scratch_store_b64 v61, v[59:60], off
	v_xor_b32_e32 v60, 0x80000000, v60
.LBB28_3:
	v_add_nc_u32_e32 v62, 0xf0, v61
	v_add_nc_u32_e32 v63, 0, v61
	s_cmpk_eq_i32 s0, 0x79
	s_mov_b32 s0, -1
	ds_store_b64 v61, v[59:60]
	s_cbranch_scc1 .LBB28_279
; %bb.4:
	scratch_load_b64 v[59:60], off, off offset:216
	v_cmp_eq_u32_e64 s1, 28, v0
	s_movk_i32 s0, 0x50
	s_movk_i32 s3, 0x60
	;; [unrolled: 1-line block ×9, first 2 shown]
	s_waitcnt vmcnt(0)
	ds_store_b64 v62, v[59:60]
	s_waitcnt lgkmcnt(0)
	s_waitcnt_vscnt null, 0x0
	s_barrier
	buffer_gl0_inv
	s_and_saveexec_b32 s11, s1
	s_cbranch_execz .LBB28_10
; %bb.5:
	s_and_b32 vcc_lo, exec_lo, s2
	s_cbranch_vccz .LBB28_7
; %bb.6:
	scratch_load_b64 v[59:60], v63, off
	ds_load_b64 v[64:65], v62
	s_waitcnt vmcnt(0) lgkmcnt(0)
	v_mul_f64 v[59:60], v[59:60], v[64:65]
	s_cbranch_execz .LBB28_8
	s_branch .LBB28_9
.LBB28_7:
                                        ; implicit-def: $vgpr59_vgpr60
.LBB28_8:
	ds_load_b64 v[59:60], v62
.LBB28_9:
	v_mov_b32_e32 v64, 0
	ds_load_b64 v[64:65], v64 offset:216
	s_waitcnt lgkmcnt(0)
	v_mul_f64 v[59:60], v[59:60], v[64:65]
	scratch_store_b64 off, v[59:60], off offset:216
.LBB28_10:
	s_or_b32 exec_lo, exec_lo, s11
	scratch_load_b64 v[59:60], off, off offset:208
	v_add_nc_u32_e64 v64, 0, 16
	v_add_nc_u32_e64 v65, 0, 32
	;; [unrolled: 1-line block ×13, first 2 shown]
	v_cmp_lt_u32_e64 s0, 26, v0
	s_waitcnt vmcnt(0)
	ds_store_b64 v62, v[59:60]
	s_waitcnt lgkmcnt(0)
	s_waitcnt_vscnt null, 0x0
	s_barrier
	buffer_gl0_inv
	s_and_saveexec_b32 s3, s0
	s_cbranch_execz .LBB28_18
; %bb.11:
	s_and_not1_b32 vcc_lo, exec_lo, s2
	s_cbranch_vccnz .LBB28_13
; %bb.12:
	scratch_load_b64 v[59:60], v63, off
	ds_load_b64 v[77:78], v62
	s_waitcnt vmcnt(0) lgkmcnt(0)
	v_mul_f64 v[59:60], v[59:60], v[77:78]
	s_cbranch_execz .LBB28_14
	s_branch .LBB28_15
.LBB28_13:
                                        ; implicit-def: $vgpr59_vgpr60
.LBB28_14:
	ds_load_b64 v[59:60], v62
.LBB28_15:
	s_and_saveexec_b32 s4, s1
	s_cbranch_execz .LBB28_17
; %bb.16:
	scratch_load_b64 v[77:78], off, off offset:216
	v_mov_b32_e32 v79, 0
	ds_load_b64 v[79:80], v79 offset:456
	s_waitcnt vmcnt(0) lgkmcnt(0)
	v_fma_f64 v[59:60], v[77:78], v[79:80], v[59:60]
.LBB28_17:
	s_or_b32 exec_lo, exec_lo, s4
	v_mov_b32_e32 v77, 0
	ds_load_b64 v[77:78], v77 offset:208
	s_waitcnt lgkmcnt(0)
	v_mul_f64 v[59:60], v[59:60], v[77:78]
	scratch_store_b64 off, v[59:60], off offset:208
.LBB28_18:
	s_or_b32 exec_lo, exec_lo, s3
	scratch_load_b64 v[59:60], off, off offset:200
	v_cmp_lt_u32_e64 s1, 25, v0
	s_waitcnt vmcnt(0)
	ds_store_b64 v62, v[59:60]
	s_waitcnt lgkmcnt(0)
	s_waitcnt_vscnt null, 0x0
	s_barrier
	buffer_gl0_inv
	s_and_saveexec_b32 s3, s1
	s_cbranch_execz .LBB28_28
; %bb.19:
	s_and_not1_b32 vcc_lo, exec_lo, s2
	s_cbranch_vccnz .LBB28_21
; %bb.20:
	scratch_load_b64 v[59:60], v63, off
	ds_load_b64 v[77:78], v62
	s_waitcnt vmcnt(0) lgkmcnt(0)
	v_mul_f64 v[59:60], v[59:60], v[77:78]
	s_cbranch_execz .LBB28_22
	s_branch .LBB28_23
.LBB28_21:
                                        ; implicit-def: $vgpr59_vgpr60
.LBB28_22:
	ds_load_b64 v[59:60], v62
.LBB28_23:
	s_and_saveexec_b32 s4, s0
	s_cbranch_execz .LBB28_27
; %bb.24:
	v_subrev_nc_u32_e32 v77, 26, v0
	s_movk_i32 s5, 0x1c0
	s_mov_b32 s0, 0
.LBB28_25:                              ; =>This Inner Loop Header: Depth=1
	scratch_load_b64 v[78:79], v76, off
	v_dual_mov_b32 v80, s5 :: v_dual_add_nc_u32 v77, -1, v77
	v_add_nc_u32_e32 v76, 8, v76
	s_add_i32 s5, s5, 8
	ds_load_b64 v[80:81], v80
	v_cmp_eq_u32_e32 vcc_lo, 0, v77
	s_or_b32 s0, vcc_lo, s0
	s_waitcnt vmcnt(0) lgkmcnt(0)
	v_fma_f64 v[59:60], v[78:79], v[80:81], v[59:60]
	s_and_not1_b32 exec_lo, exec_lo, s0
	s_cbranch_execnz .LBB28_25
; %bb.26:
	s_or_b32 exec_lo, exec_lo, s0
.LBB28_27:
	s_delay_alu instid0(SALU_CYCLE_1)
	s_or_b32 exec_lo, exec_lo, s4
	v_mov_b32_e32 v76, 0
	ds_load_b64 v[76:77], v76 offset:200
	s_waitcnt lgkmcnt(0)
	v_mul_f64 v[59:60], v[59:60], v[76:77]
	scratch_store_b64 off, v[59:60], off offset:200
.LBB28_28:
	s_or_b32 exec_lo, exec_lo, s3
	scratch_load_b64 v[59:60], off, off offset:192
	v_cmp_lt_u32_e64 s0, 24, v0
	s_waitcnt vmcnt(0)
	ds_store_b64 v62, v[59:60]
	s_waitcnt lgkmcnt(0)
	s_waitcnt_vscnt null, 0x0
	s_barrier
	buffer_gl0_inv
	s_and_saveexec_b32 s3, s0
	s_cbranch_execz .LBB28_38
; %bb.29:
	s_and_not1_b32 vcc_lo, exec_lo, s2
	s_cbranch_vccnz .LBB28_31
; %bb.30:
	scratch_load_b64 v[59:60], v63, off
	ds_load_b64 v[76:77], v62
	s_waitcnt vmcnt(0) lgkmcnt(0)
	v_mul_f64 v[59:60], v[59:60], v[76:77]
	s_cbranch_execz .LBB28_32
	s_branch .LBB28_33
.LBB28_31:
                                        ; implicit-def: $vgpr59_vgpr60
.LBB28_32:
	ds_load_b64 v[59:60], v62
.LBB28_33:
	s_and_saveexec_b32 s4, s1
	s_cbranch_execz .LBB28_37
; %bb.34:
	v_mov_b32_e32 v76, 0
	v_subrev_nc_u32_e32 v77, 25, v0
	s_movk_i32 s5, 0x1b8
	s_mov_b32 s1, 0
	s_delay_alu instid0(VALU_DEP_2)
	v_add_nc_u32_e32 v76, 0xc8, v76
.LBB28_35:                              ; =>This Inner Loop Header: Depth=1
	scratch_load_b64 v[78:79], v76, off
	v_dual_mov_b32 v80, s5 :: v_dual_add_nc_u32 v77, -1, v77
	v_add_nc_u32_e32 v76, 8, v76
	s_add_i32 s5, s5, 8
	ds_load_b64 v[80:81], v80
	v_cmp_eq_u32_e32 vcc_lo, 0, v77
	s_or_b32 s1, vcc_lo, s1
	s_waitcnt vmcnt(0) lgkmcnt(0)
	v_fma_f64 v[59:60], v[78:79], v[80:81], v[59:60]
	s_and_not1_b32 exec_lo, exec_lo, s1
	s_cbranch_execnz .LBB28_35
; %bb.36:
	s_or_b32 exec_lo, exec_lo, s1
.LBB28_37:
	s_delay_alu instid0(SALU_CYCLE_1)
	s_or_b32 exec_lo, exec_lo, s4
	v_mov_b32_e32 v76, 0
	ds_load_b64 v[76:77], v76 offset:192
	s_waitcnt lgkmcnt(0)
	v_mul_f64 v[59:60], v[59:60], v[76:77]
	scratch_store_b64 off, v[59:60], off offset:192
.LBB28_38:
	s_or_b32 exec_lo, exec_lo, s3
	scratch_load_b64 v[59:60], off, off offset:184
	v_cmp_lt_u32_e64 s1, 23, v0
	s_waitcnt vmcnt(0)
	ds_store_b64 v62, v[59:60]
	s_waitcnt lgkmcnt(0)
	s_waitcnt_vscnt null, 0x0
	s_barrier
	buffer_gl0_inv
	s_and_saveexec_b32 s3, s1
	s_cbranch_execz .LBB28_48
; %bb.39:
	s_and_not1_b32 vcc_lo, exec_lo, s2
	s_cbranch_vccnz .LBB28_41
; %bb.40:
	scratch_load_b64 v[59:60], v63, off
	ds_load_b64 v[76:77], v62
	s_waitcnt vmcnt(0) lgkmcnt(0)
	v_mul_f64 v[59:60], v[59:60], v[76:77]
	s_cbranch_execz .LBB28_42
	s_branch .LBB28_43
.LBB28_41:
                                        ; implicit-def: $vgpr59_vgpr60
.LBB28_42:
	ds_load_b64 v[59:60], v62
.LBB28_43:
	s_and_saveexec_b32 s4, s0
	s_cbranch_execz .LBB28_47
; %bb.44:
	v_subrev_nc_u32_e32 v76, 24, v0
	s_movk_i32 s5, 0x1b0
	s_mov_b32 s0, 0
.LBB28_45:                              ; =>This Inner Loop Header: Depth=1
	scratch_load_b64 v[77:78], v75, off
	v_dual_mov_b32 v79, s5 :: v_dual_add_nc_u32 v76, -1, v76
	v_add_nc_u32_e32 v75, 8, v75
	s_add_i32 s5, s5, 8
	ds_load_b64 v[79:80], v79
	v_cmp_eq_u32_e32 vcc_lo, 0, v76
	s_or_b32 s0, vcc_lo, s0
	s_waitcnt vmcnt(0) lgkmcnt(0)
	v_fma_f64 v[59:60], v[77:78], v[79:80], v[59:60]
	s_and_not1_b32 exec_lo, exec_lo, s0
	s_cbranch_execnz .LBB28_45
; %bb.46:
	s_or_b32 exec_lo, exec_lo, s0
.LBB28_47:
	s_delay_alu instid0(SALU_CYCLE_1)
	s_or_b32 exec_lo, exec_lo, s4
	v_mov_b32_e32 v75, 0
	ds_load_b64 v[75:76], v75 offset:184
	s_waitcnt lgkmcnt(0)
	v_mul_f64 v[59:60], v[59:60], v[75:76]
	scratch_store_b64 off, v[59:60], off offset:184
.LBB28_48:
	s_or_b32 exec_lo, exec_lo, s3
	scratch_load_b64 v[59:60], off, off offset:176
	v_cmp_lt_u32_e64 s0, 22, v0
	s_waitcnt vmcnt(0)
	ds_store_b64 v62, v[59:60]
	s_waitcnt lgkmcnt(0)
	s_waitcnt_vscnt null, 0x0
	s_barrier
	buffer_gl0_inv
	s_and_saveexec_b32 s3, s0
	s_cbranch_execz .LBB28_58
; %bb.49:
	s_and_not1_b32 vcc_lo, exec_lo, s2
	s_cbranch_vccnz .LBB28_51
; %bb.50:
	scratch_load_b64 v[59:60], v63, off
	ds_load_b64 v[75:76], v62
	s_waitcnt vmcnt(0) lgkmcnt(0)
	v_mul_f64 v[59:60], v[59:60], v[75:76]
	s_cbranch_execz .LBB28_52
	s_branch .LBB28_53
.LBB28_51:
                                        ; implicit-def: $vgpr59_vgpr60
.LBB28_52:
	ds_load_b64 v[59:60], v62
.LBB28_53:
	s_and_saveexec_b32 s4, s1
	s_cbranch_execz .LBB28_57
; %bb.54:
	v_mov_b32_e32 v75, 0
	v_subrev_nc_u32_e32 v76, 23, v0
	s_movk_i32 s5, 0x1a8
	s_mov_b32 s1, 0
	s_delay_alu instid0(VALU_DEP_2)
	v_add_nc_u32_e32 v75, 0xb8, v75
.LBB28_55:                              ; =>This Inner Loop Header: Depth=1
	scratch_load_b64 v[77:78], v75, off
	v_dual_mov_b32 v79, s5 :: v_dual_add_nc_u32 v76, -1, v76
	v_add_nc_u32_e32 v75, 8, v75
	s_add_i32 s5, s5, 8
	ds_load_b64 v[79:80], v79
	v_cmp_eq_u32_e32 vcc_lo, 0, v76
	s_or_b32 s1, vcc_lo, s1
	s_waitcnt vmcnt(0) lgkmcnt(0)
	v_fma_f64 v[59:60], v[77:78], v[79:80], v[59:60]
	s_and_not1_b32 exec_lo, exec_lo, s1
	s_cbranch_execnz .LBB28_55
; %bb.56:
	s_or_b32 exec_lo, exec_lo, s1
.LBB28_57:
	s_delay_alu instid0(SALU_CYCLE_1)
	s_or_b32 exec_lo, exec_lo, s4
	v_mov_b32_e32 v75, 0
	ds_load_b64 v[75:76], v75 offset:176
	s_waitcnt lgkmcnt(0)
	v_mul_f64 v[59:60], v[59:60], v[75:76]
	scratch_store_b64 off, v[59:60], off offset:176
.LBB28_58:
	s_or_b32 exec_lo, exec_lo, s3
	scratch_load_b64 v[59:60], off, off offset:168
	v_cmp_lt_u32_e64 s1, 21, v0
	s_waitcnt vmcnt(0)
	ds_store_b64 v62, v[59:60]
	s_waitcnt lgkmcnt(0)
	s_waitcnt_vscnt null, 0x0
	s_barrier
	buffer_gl0_inv
	s_and_saveexec_b32 s3, s1
	s_cbranch_execz .LBB28_68
; %bb.59:
	s_and_not1_b32 vcc_lo, exec_lo, s2
	s_cbranch_vccnz .LBB28_61
; %bb.60:
	scratch_load_b64 v[59:60], v63, off
	ds_load_b64 v[75:76], v62
	s_waitcnt vmcnt(0) lgkmcnt(0)
	v_mul_f64 v[59:60], v[59:60], v[75:76]
	s_cbranch_execz .LBB28_62
	s_branch .LBB28_63
.LBB28_61:
                                        ; implicit-def: $vgpr59_vgpr60
.LBB28_62:
	ds_load_b64 v[59:60], v62
.LBB28_63:
	s_and_saveexec_b32 s4, s0
	s_cbranch_execz .LBB28_67
; %bb.64:
	v_subrev_nc_u32_e32 v75, 22, v0
	s_movk_i32 s5, 0x1a0
	s_mov_b32 s0, 0
.LBB28_65:                              ; =>This Inner Loop Header: Depth=1
	scratch_load_b64 v[76:77], v74, off
	v_dual_mov_b32 v78, s5 :: v_dual_add_nc_u32 v75, -1, v75
	v_add_nc_u32_e32 v74, 8, v74
	s_add_i32 s5, s5, 8
	ds_load_b64 v[78:79], v78
	v_cmp_eq_u32_e32 vcc_lo, 0, v75
	s_or_b32 s0, vcc_lo, s0
	s_waitcnt vmcnt(0) lgkmcnt(0)
	v_fma_f64 v[59:60], v[76:77], v[78:79], v[59:60]
	s_and_not1_b32 exec_lo, exec_lo, s0
	s_cbranch_execnz .LBB28_65
; %bb.66:
	s_or_b32 exec_lo, exec_lo, s0
.LBB28_67:
	s_delay_alu instid0(SALU_CYCLE_1)
	s_or_b32 exec_lo, exec_lo, s4
	v_mov_b32_e32 v74, 0
	ds_load_b64 v[74:75], v74 offset:168
	s_waitcnt lgkmcnt(0)
	v_mul_f64 v[59:60], v[59:60], v[74:75]
	scratch_store_b64 off, v[59:60], off offset:168
.LBB28_68:
	s_or_b32 exec_lo, exec_lo, s3
	scratch_load_b64 v[59:60], off, off offset:160
	v_cmp_lt_u32_e64 s0, 20, v0
	s_waitcnt vmcnt(0)
	ds_store_b64 v62, v[59:60]
	s_waitcnt lgkmcnt(0)
	s_waitcnt_vscnt null, 0x0
	s_barrier
	buffer_gl0_inv
	s_and_saveexec_b32 s3, s0
	s_cbranch_execz .LBB28_78
; %bb.69:
	s_and_not1_b32 vcc_lo, exec_lo, s2
	s_cbranch_vccnz .LBB28_71
; %bb.70:
	scratch_load_b64 v[59:60], v63, off
	ds_load_b64 v[74:75], v62
	s_waitcnt vmcnt(0) lgkmcnt(0)
	v_mul_f64 v[59:60], v[59:60], v[74:75]
	s_cbranch_execz .LBB28_72
	s_branch .LBB28_73
.LBB28_71:
                                        ; implicit-def: $vgpr59_vgpr60
.LBB28_72:
	ds_load_b64 v[59:60], v62
.LBB28_73:
	s_and_saveexec_b32 s4, s1
	s_cbranch_execz .LBB28_77
; %bb.74:
	v_mov_b32_e32 v74, 0
	v_subrev_nc_u32_e32 v75, 21, v0
	s_movk_i32 s5, 0x198
	s_mov_b32 s1, 0
	s_delay_alu instid0(VALU_DEP_2)
	v_add_nc_u32_e32 v74, 0xa8, v74
.LBB28_75:                              ; =>This Inner Loop Header: Depth=1
	scratch_load_b64 v[76:77], v74, off
	v_dual_mov_b32 v78, s5 :: v_dual_add_nc_u32 v75, -1, v75
	v_add_nc_u32_e32 v74, 8, v74
	s_add_i32 s5, s5, 8
	ds_load_b64 v[78:79], v78
	v_cmp_eq_u32_e32 vcc_lo, 0, v75
	s_or_b32 s1, vcc_lo, s1
	s_waitcnt vmcnt(0) lgkmcnt(0)
	v_fma_f64 v[59:60], v[76:77], v[78:79], v[59:60]
	s_and_not1_b32 exec_lo, exec_lo, s1
	s_cbranch_execnz .LBB28_75
; %bb.76:
	s_or_b32 exec_lo, exec_lo, s1
.LBB28_77:
	s_delay_alu instid0(SALU_CYCLE_1)
	s_or_b32 exec_lo, exec_lo, s4
	v_mov_b32_e32 v74, 0
	ds_load_b64 v[74:75], v74 offset:160
	s_waitcnt lgkmcnt(0)
	v_mul_f64 v[59:60], v[59:60], v[74:75]
	scratch_store_b64 off, v[59:60], off offset:160
.LBB28_78:
	s_or_b32 exec_lo, exec_lo, s3
	scratch_load_b64 v[59:60], off, off offset:152
	v_cmp_lt_u32_e64 s1, 19, v0
	s_waitcnt vmcnt(0)
	ds_store_b64 v62, v[59:60]
	s_waitcnt lgkmcnt(0)
	s_waitcnt_vscnt null, 0x0
	s_barrier
	buffer_gl0_inv
	s_and_saveexec_b32 s3, s1
	s_cbranch_execz .LBB28_88
; %bb.79:
	s_and_not1_b32 vcc_lo, exec_lo, s2
	s_cbranch_vccnz .LBB28_81
; %bb.80:
	scratch_load_b64 v[59:60], v63, off
	ds_load_b64 v[74:75], v62
	s_waitcnt vmcnt(0) lgkmcnt(0)
	v_mul_f64 v[59:60], v[59:60], v[74:75]
	s_cbranch_execz .LBB28_82
	s_branch .LBB28_83
.LBB28_81:
                                        ; implicit-def: $vgpr59_vgpr60
.LBB28_82:
	ds_load_b64 v[59:60], v62
.LBB28_83:
	s_and_saveexec_b32 s4, s0
	s_cbranch_execz .LBB28_87
; %bb.84:
	v_subrev_nc_u32_e32 v74, 20, v0
	s_movk_i32 s5, 0x190
	s_mov_b32 s0, 0
.LBB28_85:                              ; =>This Inner Loop Header: Depth=1
	scratch_load_b64 v[75:76], v73, off
	v_dual_mov_b32 v77, s5 :: v_dual_add_nc_u32 v74, -1, v74
	v_add_nc_u32_e32 v73, 8, v73
	s_add_i32 s5, s5, 8
	ds_load_b64 v[77:78], v77
	v_cmp_eq_u32_e32 vcc_lo, 0, v74
	s_or_b32 s0, vcc_lo, s0
	s_waitcnt vmcnt(0) lgkmcnt(0)
	v_fma_f64 v[59:60], v[75:76], v[77:78], v[59:60]
	s_and_not1_b32 exec_lo, exec_lo, s0
	s_cbranch_execnz .LBB28_85
; %bb.86:
	s_or_b32 exec_lo, exec_lo, s0
.LBB28_87:
	s_delay_alu instid0(SALU_CYCLE_1)
	s_or_b32 exec_lo, exec_lo, s4
	v_mov_b32_e32 v73, 0
	ds_load_b64 v[73:74], v73 offset:152
	s_waitcnt lgkmcnt(0)
	v_mul_f64 v[59:60], v[59:60], v[73:74]
	scratch_store_b64 off, v[59:60], off offset:152
.LBB28_88:
	s_or_b32 exec_lo, exec_lo, s3
	scratch_load_b64 v[59:60], off, off offset:144
	v_cmp_lt_u32_e64 s0, 18, v0
	s_waitcnt vmcnt(0)
	ds_store_b64 v62, v[59:60]
	s_waitcnt lgkmcnt(0)
	s_waitcnt_vscnt null, 0x0
	s_barrier
	buffer_gl0_inv
	s_and_saveexec_b32 s3, s0
	s_cbranch_execz .LBB28_98
; %bb.89:
	s_and_not1_b32 vcc_lo, exec_lo, s2
	s_cbranch_vccnz .LBB28_91
; %bb.90:
	scratch_load_b64 v[59:60], v63, off
	ds_load_b64 v[73:74], v62
	s_waitcnt vmcnt(0) lgkmcnt(0)
	v_mul_f64 v[59:60], v[59:60], v[73:74]
	s_cbranch_execz .LBB28_92
	s_branch .LBB28_93
.LBB28_91:
                                        ; implicit-def: $vgpr59_vgpr60
.LBB28_92:
	ds_load_b64 v[59:60], v62
.LBB28_93:
	s_and_saveexec_b32 s4, s1
	s_cbranch_execz .LBB28_97
; %bb.94:
	v_mov_b32_e32 v73, 0
	v_subrev_nc_u32_e32 v74, 19, v0
	s_movk_i32 s5, 0x188
	s_mov_b32 s1, 0
	s_delay_alu instid0(VALU_DEP_2)
	v_add_nc_u32_e32 v73, 0x98, v73
.LBB28_95:                              ; =>This Inner Loop Header: Depth=1
	scratch_load_b64 v[75:76], v73, off
	v_dual_mov_b32 v77, s5 :: v_dual_add_nc_u32 v74, -1, v74
	v_add_nc_u32_e32 v73, 8, v73
	s_add_i32 s5, s5, 8
	ds_load_b64 v[77:78], v77
	v_cmp_eq_u32_e32 vcc_lo, 0, v74
	s_or_b32 s1, vcc_lo, s1
	s_waitcnt vmcnt(0) lgkmcnt(0)
	v_fma_f64 v[59:60], v[75:76], v[77:78], v[59:60]
	s_and_not1_b32 exec_lo, exec_lo, s1
	s_cbranch_execnz .LBB28_95
; %bb.96:
	s_or_b32 exec_lo, exec_lo, s1
.LBB28_97:
	s_delay_alu instid0(SALU_CYCLE_1)
	s_or_b32 exec_lo, exec_lo, s4
	v_mov_b32_e32 v73, 0
	ds_load_b64 v[73:74], v73 offset:144
	s_waitcnt lgkmcnt(0)
	v_mul_f64 v[59:60], v[59:60], v[73:74]
	scratch_store_b64 off, v[59:60], off offset:144
.LBB28_98:
	s_or_b32 exec_lo, exec_lo, s3
	scratch_load_b64 v[59:60], off, off offset:136
	v_cmp_lt_u32_e64 s1, 17, v0
	s_waitcnt vmcnt(0)
	ds_store_b64 v62, v[59:60]
	s_waitcnt lgkmcnt(0)
	s_waitcnt_vscnt null, 0x0
	s_barrier
	buffer_gl0_inv
	s_and_saveexec_b32 s3, s1
	s_cbranch_execz .LBB28_108
; %bb.99:
	s_and_not1_b32 vcc_lo, exec_lo, s2
	s_cbranch_vccnz .LBB28_101
; %bb.100:
	scratch_load_b64 v[59:60], v63, off
	ds_load_b64 v[73:74], v62
	s_waitcnt vmcnt(0) lgkmcnt(0)
	v_mul_f64 v[59:60], v[59:60], v[73:74]
	s_cbranch_execz .LBB28_102
	s_branch .LBB28_103
.LBB28_101:
                                        ; implicit-def: $vgpr59_vgpr60
.LBB28_102:
	ds_load_b64 v[59:60], v62
.LBB28_103:
	s_and_saveexec_b32 s4, s0
	s_cbranch_execz .LBB28_107
; %bb.104:
	v_subrev_nc_u32_e32 v73, 18, v0
	s_movk_i32 s5, 0x180
	s_mov_b32 s0, 0
.LBB28_105:                             ; =>This Inner Loop Header: Depth=1
	scratch_load_b64 v[74:75], v72, off
	v_dual_mov_b32 v76, s5 :: v_dual_add_nc_u32 v73, -1, v73
	v_add_nc_u32_e32 v72, 8, v72
	s_add_i32 s5, s5, 8
	ds_load_b64 v[76:77], v76
	v_cmp_eq_u32_e32 vcc_lo, 0, v73
	s_or_b32 s0, vcc_lo, s0
	s_waitcnt vmcnt(0) lgkmcnt(0)
	v_fma_f64 v[59:60], v[74:75], v[76:77], v[59:60]
	s_and_not1_b32 exec_lo, exec_lo, s0
	s_cbranch_execnz .LBB28_105
; %bb.106:
	s_or_b32 exec_lo, exec_lo, s0
.LBB28_107:
	s_delay_alu instid0(SALU_CYCLE_1)
	s_or_b32 exec_lo, exec_lo, s4
	v_mov_b32_e32 v72, 0
	ds_load_b64 v[72:73], v72 offset:136
	s_waitcnt lgkmcnt(0)
	v_mul_f64 v[59:60], v[59:60], v[72:73]
	scratch_store_b64 off, v[59:60], off offset:136
.LBB28_108:
	s_or_b32 exec_lo, exec_lo, s3
	scratch_load_b64 v[59:60], off, off offset:128
	v_cmp_lt_u32_e64 s0, 16, v0
	s_waitcnt vmcnt(0)
	ds_store_b64 v62, v[59:60]
	s_waitcnt lgkmcnt(0)
	s_waitcnt_vscnt null, 0x0
	s_barrier
	buffer_gl0_inv
	s_and_saveexec_b32 s3, s0
	s_cbranch_execz .LBB28_118
; %bb.109:
	s_and_not1_b32 vcc_lo, exec_lo, s2
	s_cbranch_vccnz .LBB28_111
; %bb.110:
	scratch_load_b64 v[59:60], v63, off
	ds_load_b64 v[72:73], v62
	s_waitcnt vmcnt(0) lgkmcnt(0)
	v_mul_f64 v[59:60], v[59:60], v[72:73]
	s_cbranch_execz .LBB28_112
	s_branch .LBB28_113
.LBB28_111:
                                        ; implicit-def: $vgpr59_vgpr60
.LBB28_112:
	ds_load_b64 v[59:60], v62
.LBB28_113:
	s_and_saveexec_b32 s4, s1
	s_cbranch_execz .LBB28_117
; %bb.114:
	v_mov_b32_e32 v72, 0
	v_subrev_nc_u32_e32 v73, 17, v0
	s_movk_i32 s5, 0x178
	s_mov_b32 s1, 0
	s_delay_alu instid0(VALU_DEP_2)
	v_add_nc_u32_e32 v72, 0x88, v72
.LBB28_115:                             ; =>This Inner Loop Header: Depth=1
	scratch_load_b64 v[74:75], v72, off
	v_dual_mov_b32 v76, s5 :: v_dual_add_nc_u32 v73, -1, v73
	v_add_nc_u32_e32 v72, 8, v72
	s_add_i32 s5, s5, 8
	ds_load_b64 v[76:77], v76
	v_cmp_eq_u32_e32 vcc_lo, 0, v73
	s_or_b32 s1, vcc_lo, s1
	s_waitcnt vmcnt(0) lgkmcnt(0)
	v_fma_f64 v[59:60], v[74:75], v[76:77], v[59:60]
	s_and_not1_b32 exec_lo, exec_lo, s1
	s_cbranch_execnz .LBB28_115
; %bb.116:
	s_or_b32 exec_lo, exec_lo, s1
.LBB28_117:
	s_delay_alu instid0(SALU_CYCLE_1)
	s_or_b32 exec_lo, exec_lo, s4
	v_mov_b32_e32 v72, 0
	ds_load_b64 v[72:73], v72 offset:128
	s_waitcnt lgkmcnt(0)
	v_mul_f64 v[59:60], v[59:60], v[72:73]
	scratch_store_b64 off, v[59:60], off offset:128
.LBB28_118:
	s_or_b32 exec_lo, exec_lo, s3
	scratch_load_b64 v[59:60], off, off offset:120
	v_cmp_lt_u32_e64 s1, 15, v0
	s_waitcnt vmcnt(0)
	ds_store_b64 v62, v[59:60]
	s_waitcnt lgkmcnt(0)
	s_waitcnt_vscnt null, 0x0
	s_barrier
	buffer_gl0_inv
	s_and_saveexec_b32 s3, s1
	s_cbranch_execz .LBB28_128
; %bb.119:
	s_and_not1_b32 vcc_lo, exec_lo, s2
	s_cbranch_vccnz .LBB28_121
; %bb.120:
	scratch_load_b64 v[59:60], v63, off
	ds_load_b64 v[72:73], v62
	s_waitcnt vmcnt(0) lgkmcnt(0)
	v_mul_f64 v[59:60], v[59:60], v[72:73]
	s_cbranch_execz .LBB28_122
	s_branch .LBB28_123
.LBB28_121:
                                        ; implicit-def: $vgpr59_vgpr60
.LBB28_122:
	ds_load_b64 v[59:60], v62
.LBB28_123:
	s_and_saveexec_b32 s4, s0
	s_cbranch_execz .LBB28_127
; %bb.124:
	v_add_nc_u32_e32 v72, -16, v0
	s_movk_i32 s5, 0x170
	s_mov_b32 s0, 0
.LBB28_125:                             ; =>This Inner Loop Header: Depth=1
	scratch_load_b64 v[73:74], v71, off
	v_dual_mov_b32 v75, s5 :: v_dual_add_nc_u32 v72, -1, v72
	v_add_nc_u32_e32 v71, 8, v71
	s_add_i32 s5, s5, 8
	ds_load_b64 v[75:76], v75
	v_cmp_eq_u32_e32 vcc_lo, 0, v72
	s_or_b32 s0, vcc_lo, s0
	s_waitcnt vmcnt(0) lgkmcnt(0)
	v_fma_f64 v[59:60], v[73:74], v[75:76], v[59:60]
	s_and_not1_b32 exec_lo, exec_lo, s0
	s_cbranch_execnz .LBB28_125
; %bb.126:
	s_or_b32 exec_lo, exec_lo, s0
.LBB28_127:
	s_delay_alu instid0(SALU_CYCLE_1)
	s_or_b32 exec_lo, exec_lo, s4
	v_mov_b32_e32 v71, 0
	ds_load_b64 v[71:72], v71 offset:120
	s_waitcnt lgkmcnt(0)
	v_mul_f64 v[59:60], v[59:60], v[71:72]
	scratch_store_b64 off, v[59:60], off offset:120
.LBB28_128:
	s_or_b32 exec_lo, exec_lo, s3
	scratch_load_b64 v[59:60], off, off offset:112
	v_cmp_lt_u32_e64 s0, 14, v0
	s_waitcnt vmcnt(0)
	ds_store_b64 v62, v[59:60]
	s_waitcnt lgkmcnt(0)
	s_waitcnt_vscnt null, 0x0
	s_barrier
	buffer_gl0_inv
	s_and_saveexec_b32 s3, s0
	s_cbranch_execz .LBB28_138
; %bb.129:
	s_and_not1_b32 vcc_lo, exec_lo, s2
	s_cbranch_vccnz .LBB28_131
; %bb.130:
	scratch_load_b64 v[59:60], v63, off
	ds_load_b64 v[71:72], v62
	s_waitcnt vmcnt(0) lgkmcnt(0)
	v_mul_f64 v[59:60], v[59:60], v[71:72]
	s_cbranch_execz .LBB28_132
	s_branch .LBB28_133
.LBB28_131:
                                        ; implicit-def: $vgpr59_vgpr60
.LBB28_132:
	ds_load_b64 v[59:60], v62
.LBB28_133:
	s_and_saveexec_b32 s4, s1
	s_cbranch_execz .LBB28_137
; %bb.134:
	v_dual_mov_b32 v71, 0 :: v_dual_add_nc_u32 v72, -15, v0
	s_movk_i32 s5, 0x168
	s_mov_b32 s1, 0
	s_delay_alu instid0(VALU_DEP_1)
	v_add_nc_u32_e32 v71, 0x78, v71
.LBB28_135:                             ; =>This Inner Loop Header: Depth=1
	scratch_load_b64 v[73:74], v71, off
	v_dual_mov_b32 v75, s5 :: v_dual_add_nc_u32 v72, -1, v72
	v_add_nc_u32_e32 v71, 8, v71
	s_add_i32 s5, s5, 8
	ds_load_b64 v[75:76], v75
	v_cmp_eq_u32_e32 vcc_lo, 0, v72
	s_or_b32 s1, vcc_lo, s1
	s_waitcnt vmcnt(0) lgkmcnt(0)
	v_fma_f64 v[59:60], v[73:74], v[75:76], v[59:60]
	s_and_not1_b32 exec_lo, exec_lo, s1
	s_cbranch_execnz .LBB28_135
; %bb.136:
	s_or_b32 exec_lo, exec_lo, s1
.LBB28_137:
	s_delay_alu instid0(SALU_CYCLE_1)
	s_or_b32 exec_lo, exec_lo, s4
	v_mov_b32_e32 v71, 0
	ds_load_b64 v[71:72], v71 offset:112
	s_waitcnt lgkmcnt(0)
	v_mul_f64 v[59:60], v[59:60], v[71:72]
	scratch_store_b64 off, v[59:60], off offset:112
.LBB28_138:
	s_or_b32 exec_lo, exec_lo, s3
	scratch_load_b64 v[59:60], off, off offset:104
	v_cmp_lt_u32_e64 s1, 13, v0
	s_waitcnt vmcnt(0)
	ds_store_b64 v62, v[59:60]
	s_waitcnt lgkmcnt(0)
	s_waitcnt_vscnt null, 0x0
	s_barrier
	buffer_gl0_inv
	s_and_saveexec_b32 s3, s1
	s_cbranch_execz .LBB28_148
; %bb.139:
	s_and_not1_b32 vcc_lo, exec_lo, s2
	s_cbranch_vccnz .LBB28_141
; %bb.140:
	scratch_load_b64 v[59:60], v63, off
	ds_load_b64 v[71:72], v62
	s_waitcnt vmcnt(0) lgkmcnt(0)
	v_mul_f64 v[59:60], v[59:60], v[71:72]
	s_cbranch_execz .LBB28_142
	s_branch .LBB28_143
.LBB28_141:
                                        ; implicit-def: $vgpr59_vgpr60
.LBB28_142:
	ds_load_b64 v[59:60], v62
.LBB28_143:
	s_and_saveexec_b32 s4, s0
	s_cbranch_execz .LBB28_147
; %bb.144:
	v_add_nc_u32_e32 v71, -14, v0
	s_movk_i32 s5, 0x160
	s_mov_b32 s0, 0
.LBB28_145:                             ; =>This Inner Loop Header: Depth=1
	scratch_load_b64 v[72:73], v70, off
	v_dual_mov_b32 v74, s5 :: v_dual_add_nc_u32 v71, -1, v71
	v_add_nc_u32_e32 v70, 8, v70
	s_add_i32 s5, s5, 8
	ds_load_b64 v[74:75], v74
	v_cmp_eq_u32_e32 vcc_lo, 0, v71
	s_or_b32 s0, vcc_lo, s0
	s_waitcnt vmcnt(0) lgkmcnt(0)
	v_fma_f64 v[59:60], v[72:73], v[74:75], v[59:60]
	s_and_not1_b32 exec_lo, exec_lo, s0
	s_cbranch_execnz .LBB28_145
; %bb.146:
	s_or_b32 exec_lo, exec_lo, s0
.LBB28_147:
	s_delay_alu instid0(SALU_CYCLE_1)
	s_or_b32 exec_lo, exec_lo, s4
	v_mov_b32_e32 v70, 0
	ds_load_b64 v[70:71], v70 offset:104
	s_waitcnt lgkmcnt(0)
	v_mul_f64 v[59:60], v[59:60], v[70:71]
	scratch_store_b64 off, v[59:60], off offset:104
.LBB28_148:
	s_or_b32 exec_lo, exec_lo, s3
	scratch_load_b64 v[59:60], off, off offset:96
	v_cmp_lt_u32_e64 s0, 12, v0
	s_waitcnt vmcnt(0)
	ds_store_b64 v62, v[59:60]
	s_waitcnt lgkmcnt(0)
	s_waitcnt_vscnt null, 0x0
	s_barrier
	buffer_gl0_inv
	s_and_saveexec_b32 s3, s0
	s_cbranch_execz .LBB28_158
; %bb.149:
	s_and_not1_b32 vcc_lo, exec_lo, s2
	s_cbranch_vccnz .LBB28_151
; %bb.150:
	scratch_load_b64 v[59:60], v63, off
	ds_load_b64 v[70:71], v62
	s_waitcnt vmcnt(0) lgkmcnt(0)
	v_mul_f64 v[59:60], v[59:60], v[70:71]
	s_cbranch_execz .LBB28_152
	s_branch .LBB28_153
.LBB28_151:
                                        ; implicit-def: $vgpr59_vgpr60
.LBB28_152:
	ds_load_b64 v[59:60], v62
.LBB28_153:
	s_and_saveexec_b32 s4, s1
	s_cbranch_execz .LBB28_157
; %bb.154:
	v_dual_mov_b32 v70, 0 :: v_dual_add_nc_u32 v71, -13, v0
	s_movk_i32 s5, 0x158
	s_mov_b32 s1, 0
	s_delay_alu instid0(VALU_DEP_1)
	v_add_nc_u32_e32 v70, 0x68, v70
.LBB28_155:                             ; =>This Inner Loop Header: Depth=1
	scratch_load_b64 v[72:73], v70, off
	v_dual_mov_b32 v74, s5 :: v_dual_add_nc_u32 v71, -1, v71
	v_add_nc_u32_e32 v70, 8, v70
	s_add_i32 s5, s5, 8
	ds_load_b64 v[74:75], v74
	v_cmp_eq_u32_e32 vcc_lo, 0, v71
	s_or_b32 s1, vcc_lo, s1
	s_waitcnt vmcnt(0) lgkmcnt(0)
	v_fma_f64 v[59:60], v[72:73], v[74:75], v[59:60]
	s_and_not1_b32 exec_lo, exec_lo, s1
	s_cbranch_execnz .LBB28_155
; %bb.156:
	s_or_b32 exec_lo, exec_lo, s1
.LBB28_157:
	s_delay_alu instid0(SALU_CYCLE_1)
	s_or_b32 exec_lo, exec_lo, s4
	v_mov_b32_e32 v70, 0
	ds_load_b64 v[70:71], v70 offset:96
	s_waitcnt lgkmcnt(0)
	v_mul_f64 v[59:60], v[59:60], v[70:71]
	scratch_store_b64 off, v[59:60], off offset:96
.LBB28_158:
	s_or_b32 exec_lo, exec_lo, s3
	scratch_load_b64 v[59:60], off, off offset:88
	v_cmp_lt_u32_e64 s1, 11, v0
	s_waitcnt vmcnt(0)
	ds_store_b64 v62, v[59:60]
	s_waitcnt lgkmcnt(0)
	s_waitcnt_vscnt null, 0x0
	s_barrier
	buffer_gl0_inv
	s_and_saveexec_b32 s3, s1
	s_cbranch_execz .LBB28_168
; %bb.159:
	s_and_not1_b32 vcc_lo, exec_lo, s2
	s_cbranch_vccnz .LBB28_161
; %bb.160:
	scratch_load_b64 v[59:60], v63, off
	ds_load_b64 v[70:71], v62
	s_waitcnt vmcnt(0) lgkmcnt(0)
	v_mul_f64 v[59:60], v[59:60], v[70:71]
	s_cbranch_execz .LBB28_162
	s_branch .LBB28_163
.LBB28_161:
                                        ; implicit-def: $vgpr59_vgpr60
.LBB28_162:
	ds_load_b64 v[59:60], v62
.LBB28_163:
	s_and_saveexec_b32 s4, s0
	s_cbranch_execz .LBB28_167
; %bb.164:
	v_add_nc_u32_e32 v70, -12, v0
	s_movk_i32 s5, 0x150
	s_mov_b32 s0, 0
.LBB28_165:                             ; =>This Inner Loop Header: Depth=1
	scratch_load_b64 v[71:72], v69, off
	v_dual_mov_b32 v73, s5 :: v_dual_add_nc_u32 v70, -1, v70
	v_add_nc_u32_e32 v69, 8, v69
	s_add_i32 s5, s5, 8
	ds_load_b64 v[73:74], v73
	v_cmp_eq_u32_e32 vcc_lo, 0, v70
	s_or_b32 s0, vcc_lo, s0
	s_waitcnt vmcnt(0) lgkmcnt(0)
	v_fma_f64 v[59:60], v[71:72], v[73:74], v[59:60]
	s_and_not1_b32 exec_lo, exec_lo, s0
	s_cbranch_execnz .LBB28_165
; %bb.166:
	s_or_b32 exec_lo, exec_lo, s0
.LBB28_167:
	s_delay_alu instid0(SALU_CYCLE_1)
	s_or_b32 exec_lo, exec_lo, s4
	v_mov_b32_e32 v69, 0
	ds_load_b64 v[69:70], v69 offset:88
	s_waitcnt lgkmcnt(0)
	v_mul_f64 v[59:60], v[59:60], v[69:70]
	scratch_store_b64 off, v[59:60], off offset:88
.LBB28_168:
	s_or_b32 exec_lo, exec_lo, s3
	scratch_load_b64 v[59:60], off, off offset:80
	v_cmp_lt_u32_e64 s0, 10, v0
	s_waitcnt vmcnt(0)
	ds_store_b64 v62, v[59:60]
	s_waitcnt lgkmcnt(0)
	s_waitcnt_vscnt null, 0x0
	s_barrier
	buffer_gl0_inv
	s_and_saveexec_b32 s3, s0
	s_cbranch_execz .LBB28_178
; %bb.169:
	s_and_not1_b32 vcc_lo, exec_lo, s2
	s_cbranch_vccnz .LBB28_171
; %bb.170:
	scratch_load_b64 v[59:60], v63, off
	ds_load_b64 v[69:70], v62
	s_waitcnt vmcnt(0) lgkmcnt(0)
	v_mul_f64 v[59:60], v[59:60], v[69:70]
	s_cbranch_execz .LBB28_172
	s_branch .LBB28_173
.LBB28_171:
                                        ; implicit-def: $vgpr59_vgpr60
.LBB28_172:
	ds_load_b64 v[59:60], v62
.LBB28_173:
	s_and_saveexec_b32 s4, s1
	s_cbranch_execz .LBB28_177
; %bb.174:
	v_dual_mov_b32 v69, 0 :: v_dual_add_nc_u32 v70, -11, v0
	s_movk_i32 s5, 0x148
	s_mov_b32 s1, 0
	s_delay_alu instid0(VALU_DEP_1)
	v_add_nc_u32_e32 v69, 0x58, v69
.LBB28_175:                             ; =>This Inner Loop Header: Depth=1
	scratch_load_b64 v[71:72], v69, off
	v_dual_mov_b32 v73, s5 :: v_dual_add_nc_u32 v70, -1, v70
	v_add_nc_u32_e32 v69, 8, v69
	s_add_i32 s5, s5, 8
	ds_load_b64 v[73:74], v73
	v_cmp_eq_u32_e32 vcc_lo, 0, v70
	s_or_b32 s1, vcc_lo, s1
	s_waitcnt vmcnt(0) lgkmcnt(0)
	v_fma_f64 v[59:60], v[71:72], v[73:74], v[59:60]
	s_and_not1_b32 exec_lo, exec_lo, s1
	s_cbranch_execnz .LBB28_175
; %bb.176:
	s_or_b32 exec_lo, exec_lo, s1
.LBB28_177:
	s_delay_alu instid0(SALU_CYCLE_1)
	s_or_b32 exec_lo, exec_lo, s4
	v_mov_b32_e32 v69, 0
	ds_load_b64 v[69:70], v69 offset:80
	s_waitcnt lgkmcnt(0)
	v_mul_f64 v[59:60], v[59:60], v[69:70]
	scratch_store_b64 off, v[59:60], off offset:80
.LBB28_178:
	s_or_b32 exec_lo, exec_lo, s3
	scratch_load_b64 v[59:60], off, off offset:72
	v_cmp_lt_u32_e64 s1, 9, v0
	s_waitcnt vmcnt(0)
	ds_store_b64 v62, v[59:60]
	s_waitcnt lgkmcnt(0)
	s_waitcnt_vscnt null, 0x0
	s_barrier
	buffer_gl0_inv
	s_and_saveexec_b32 s3, s1
	s_cbranch_execz .LBB28_188
; %bb.179:
	s_and_not1_b32 vcc_lo, exec_lo, s2
	s_cbranch_vccnz .LBB28_181
; %bb.180:
	scratch_load_b64 v[59:60], v63, off
	ds_load_b64 v[69:70], v62
	s_waitcnt vmcnt(0) lgkmcnt(0)
	v_mul_f64 v[59:60], v[59:60], v[69:70]
	s_cbranch_execz .LBB28_182
	s_branch .LBB28_183
.LBB28_181:
                                        ; implicit-def: $vgpr59_vgpr60
.LBB28_182:
	ds_load_b64 v[59:60], v62
.LBB28_183:
	s_and_saveexec_b32 s4, s0
	s_cbranch_execz .LBB28_187
; %bb.184:
	v_add_nc_u32_e32 v69, -10, v0
	s_movk_i32 s5, 0x140
	s_mov_b32 s0, 0
.LBB28_185:                             ; =>This Inner Loop Header: Depth=1
	scratch_load_b64 v[70:71], v68, off
	v_dual_mov_b32 v72, s5 :: v_dual_add_nc_u32 v69, -1, v69
	v_add_nc_u32_e32 v68, 8, v68
	s_add_i32 s5, s5, 8
	ds_load_b64 v[72:73], v72
	v_cmp_eq_u32_e32 vcc_lo, 0, v69
	s_or_b32 s0, vcc_lo, s0
	s_waitcnt vmcnt(0) lgkmcnt(0)
	v_fma_f64 v[59:60], v[70:71], v[72:73], v[59:60]
	s_and_not1_b32 exec_lo, exec_lo, s0
	s_cbranch_execnz .LBB28_185
; %bb.186:
	s_or_b32 exec_lo, exec_lo, s0
.LBB28_187:
	s_delay_alu instid0(SALU_CYCLE_1)
	s_or_b32 exec_lo, exec_lo, s4
	v_mov_b32_e32 v68, 0
	ds_load_b64 v[68:69], v68 offset:72
	s_waitcnt lgkmcnt(0)
	v_mul_f64 v[59:60], v[59:60], v[68:69]
	scratch_store_b64 off, v[59:60], off offset:72
.LBB28_188:
	s_or_b32 exec_lo, exec_lo, s3
	scratch_load_b64 v[59:60], off, off offset:64
	v_cmp_lt_u32_e64 s0, 8, v0
	s_waitcnt vmcnt(0)
	ds_store_b64 v62, v[59:60]
	s_waitcnt lgkmcnt(0)
	s_waitcnt_vscnt null, 0x0
	s_barrier
	buffer_gl0_inv
	s_and_saveexec_b32 s3, s0
	s_cbranch_execz .LBB28_198
; %bb.189:
	s_and_not1_b32 vcc_lo, exec_lo, s2
	s_cbranch_vccnz .LBB28_191
; %bb.190:
	scratch_load_b64 v[59:60], v63, off
	ds_load_b64 v[68:69], v62
	s_waitcnt vmcnt(0) lgkmcnt(0)
	v_mul_f64 v[59:60], v[59:60], v[68:69]
	s_cbranch_execz .LBB28_192
	s_branch .LBB28_193
.LBB28_191:
                                        ; implicit-def: $vgpr59_vgpr60
.LBB28_192:
	ds_load_b64 v[59:60], v62
.LBB28_193:
	s_and_saveexec_b32 s4, s1
	s_cbranch_execz .LBB28_197
; %bb.194:
	v_dual_mov_b32 v68, 0 :: v_dual_add_nc_u32 v69, -9, v0
	s_movk_i32 s5, 0x138
	s_mov_b32 s1, 0
	s_delay_alu instid0(VALU_DEP_1)
	v_add_nc_u32_e32 v68, 0x48, v68
.LBB28_195:                             ; =>This Inner Loop Header: Depth=1
	scratch_load_b64 v[70:71], v68, off
	v_dual_mov_b32 v72, s5 :: v_dual_add_nc_u32 v69, -1, v69
	v_add_nc_u32_e32 v68, 8, v68
	s_add_i32 s5, s5, 8
	ds_load_b64 v[72:73], v72
	v_cmp_eq_u32_e32 vcc_lo, 0, v69
	s_or_b32 s1, vcc_lo, s1
	s_waitcnt vmcnt(0) lgkmcnt(0)
	v_fma_f64 v[59:60], v[70:71], v[72:73], v[59:60]
	s_and_not1_b32 exec_lo, exec_lo, s1
	s_cbranch_execnz .LBB28_195
; %bb.196:
	s_or_b32 exec_lo, exec_lo, s1
.LBB28_197:
	s_delay_alu instid0(SALU_CYCLE_1)
	s_or_b32 exec_lo, exec_lo, s4
	v_mov_b32_e32 v68, 0
	ds_load_b64 v[68:69], v68 offset:64
	s_waitcnt lgkmcnt(0)
	v_mul_f64 v[59:60], v[59:60], v[68:69]
	scratch_store_b64 off, v[59:60], off offset:64
.LBB28_198:
	s_or_b32 exec_lo, exec_lo, s3
	scratch_load_b64 v[59:60], off, off offset:56
	v_cmp_lt_u32_e64 s1, 7, v0
	s_waitcnt vmcnt(0)
	ds_store_b64 v62, v[59:60]
	s_waitcnt lgkmcnt(0)
	s_waitcnt_vscnt null, 0x0
	s_barrier
	buffer_gl0_inv
	s_and_saveexec_b32 s3, s1
	s_cbranch_execz .LBB28_208
; %bb.199:
	s_and_not1_b32 vcc_lo, exec_lo, s2
	s_cbranch_vccnz .LBB28_201
; %bb.200:
	scratch_load_b64 v[59:60], v63, off
	ds_load_b64 v[68:69], v62
	s_waitcnt vmcnt(0) lgkmcnt(0)
	v_mul_f64 v[59:60], v[59:60], v[68:69]
	s_cbranch_execz .LBB28_202
	s_branch .LBB28_203
.LBB28_201:
                                        ; implicit-def: $vgpr59_vgpr60
.LBB28_202:
	ds_load_b64 v[59:60], v62
.LBB28_203:
	s_and_saveexec_b32 s4, s0
	s_cbranch_execz .LBB28_207
; %bb.204:
	v_add_nc_u32_e32 v68, -8, v0
	s_movk_i32 s5, 0x130
	s_mov_b32 s0, 0
.LBB28_205:                             ; =>This Inner Loop Header: Depth=1
	scratch_load_b64 v[69:70], v67, off
	v_dual_mov_b32 v71, s5 :: v_dual_add_nc_u32 v68, -1, v68
	v_add_nc_u32_e32 v67, 8, v67
	s_add_i32 s5, s5, 8
	ds_load_b64 v[71:72], v71
	v_cmp_eq_u32_e32 vcc_lo, 0, v68
	s_or_b32 s0, vcc_lo, s0
	s_waitcnt vmcnt(0) lgkmcnt(0)
	v_fma_f64 v[59:60], v[69:70], v[71:72], v[59:60]
	s_and_not1_b32 exec_lo, exec_lo, s0
	s_cbranch_execnz .LBB28_205
; %bb.206:
	s_or_b32 exec_lo, exec_lo, s0
.LBB28_207:
	s_delay_alu instid0(SALU_CYCLE_1)
	s_or_b32 exec_lo, exec_lo, s4
	v_mov_b32_e32 v67, 0
	ds_load_b64 v[67:68], v67 offset:56
	s_waitcnt lgkmcnt(0)
	v_mul_f64 v[59:60], v[59:60], v[67:68]
	scratch_store_b64 off, v[59:60], off offset:56
.LBB28_208:
	s_or_b32 exec_lo, exec_lo, s3
	scratch_load_b64 v[59:60], off, off offset:48
	v_cmp_lt_u32_e64 s0, 6, v0
	s_waitcnt vmcnt(0)
	ds_store_b64 v62, v[59:60]
	s_waitcnt lgkmcnt(0)
	s_waitcnt_vscnt null, 0x0
	s_barrier
	buffer_gl0_inv
	s_and_saveexec_b32 s3, s0
	s_cbranch_execz .LBB28_218
; %bb.209:
	s_and_not1_b32 vcc_lo, exec_lo, s2
	s_cbranch_vccnz .LBB28_211
; %bb.210:
	scratch_load_b64 v[59:60], v63, off
	ds_load_b64 v[67:68], v62
	s_waitcnt vmcnt(0) lgkmcnt(0)
	v_mul_f64 v[59:60], v[59:60], v[67:68]
	s_cbranch_execz .LBB28_212
	s_branch .LBB28_213
.LBB28_211:
                                        ; implicit-def: $vgpr59_vgpr60
.LBB28_212:
	ds_load_b64 v[59:60], v62
.LBB28_213:
	s_and_saveexec_b32 s4, s1
	s_cbranch_execz .LBB28_217
; %bb.214:
	v_add_nc_u32_e64 v67, 0, 56
	v_add_nc_u32_e32 v68, -7, v0
	s_movk_i32 s5, 0x128
	s_mov_b32 s1, 0
.LBB28_215:                             ; =>This Inner Loop Header: Depth=1
	scratch_load_b64 v[69:70], v67, off
	v_dual_mov_b32 v71, s5 :: v_dual_add_nc_u32 v68, -1, v68
	v_add_nc_u32_e32 v67, 8, v67
	s_add_i32 s5, s5, 8
	ds_load_b64 v[71:72], v71
	v_cmp_eq_u32_e32 vcc_lo, 0, v68
	s_or_b32 s1, vcc_lo, s1
	s_waitcnt vmcnt(0) lgkmcnt(0)
	v_fma_f64 v[59:60], v[69:70], v[71:72], v[59:60]
	s_and_not1_b32 exec_lo, exec_lo, s1
	s_cbranch_execnz .LBB28_215
; %bb.216:
	s_or_b32 exec_lo, exec_lo, s1
.LBB28_217:
	s_delay_alu instid0(SALU_CYCLE_1)
	s_or_b32 exec_lo, exec_lo, s4
	v_mov_b32_e32 v67, 0
	ds_load_b64 v[67:68], v67 offset:48
	s_waitcnt lgkmcnt(0)
	v_mul_f64 v[59:60], v[59:60], v[67:68]
	scratch_store_b64 off, v[59:60], off offset:48
.LBB28_218:
	s_or_b32 exec_lo, exec_lo, s3
	scratch_load_b64 v[59:60], off, off offset:40
	v_cmp_lt_u32_e64 s1, 5, v0
	s_waitcnt vmcnt(0)
	ds_store_b64 v62, v[59:60]
	s_waitcnt lgkmcnt(0)
	s_waitcnt_vscnt null, 0x0
	s_barrier
	buffer_gl0_inv
	s_and_saveexec_b32 s3, s1
	s_cbranch_execz .LBB28_228
; %bb.219:
	s_and_not1_b32 vcc_lo, exec_lo, s2
	s_cbranch_vccnz .LBB28_221
; %bb.220:
	scratch_load_b64 v[59:60], v63, off
	ds_load_b64 v[67:68], v62
	s_waitcnt vmcnt(0) lgkmcnt(0)
	v_mul_f64 v[59:60], v[59:60], v[67:68]
	s_cbranch_execz .LBB28_222
	s_branch .LBB28_223
.LBB28_221:
                                        ; implicit-def: $vgpr59_vgpr60
.LBB28_222:
	ds_load_b64 v[59:60], v62
.LBB28_223:
	s_and_saveexec_b32 s4, s0
	s_cbranch_execz .LBB28_227
; %bb.224:
	v_add_nc_u32_e32 v67, -6, v0
	s_movk_i32 s5, 0x120
	s_mov_b32 s0, 0
.LBB28_225:                             ; =>This Inner Loop Header: Depth=1
	scratch_load_b64 v[68:69], v66, off
	v_dual_mov_b32 v70, s5 :: v_dual_add_nc_u32 v67, -1, v67
	v_add_nc_u32_e32 v66, 8, v66
	s_add_i32 s5, s5, 8
	ds_load_b64 v[70:71], v70
	v_cmp_eq_u32_e32 vcc_lo, 0, v67
	s_or_b32 s0, vcc_lo, s0
	s_waitcnt vmcnt(0) lgkmcnt(0)
	v_fma_f64 v[59:60], v[68:69], v[70:71], v[59:60]
	s_and_not1_b32 exec_lo, exec_lo, s0
	s_cbranch_execnz .LBB28_225
; %bb.226:
	s_or_b32 exec_lo, exec_lo, s0
.LBB28_227:
	s_delay_alu instid0(SALU_CYCLE_1)
	s_or_b32 exec_lo, exec_lo, s4
	v_mov_b32_e32 v66, 0
	ds_load_b64 v[66:67], v66 offset:40
	s_waitcnt lgkmcnt(0)
	v_mul_f64 v[59:60], v[59:60], v[66:67]
	scratch_store_b64 off, v[59:60], off offset:40
.LBB28_228:
	s_or_b32 exec_lo, exec_lo, s3
	scratch_load_b64 v[59:60], off, off offset:32
	v_cmp_lt_u32_e64 s0, 4, v0
	s_waitcnt vmcnt(0)
	ds_store_b64 v62, v[59:60]
	s_waitcnt lgkmcnt(0)
	s_waitcnt_vscnt null, 0x0
	s_barrier
	buffer_gl0_inv
	s_and_saveexec_b32 s3, s0
	s_cbranch_execz .LBB28_238
; %bb.229:
	s_and_not1_b32 vcc_lo, exec_lo, s2
	s_cbranch_vccnz .LBB28_231
; %bb.230:
	scratch_load_b64 v[59:60], v63, off
	ds_load_b64 v[66:67], v62
	s_waitcnt vmcnt(0) lgkmcnt(0)
	v_mul_f64 v[59:60], v[59:60], v[66:67]
	s_cbranch_execz .LBB28_232
	s_branch .LBB28_233
.LBB28_231:
                                        ; implicit-def: $vgpr59_vgpr60
.LBB28_232:
	ds_load_b64 v[59:60], v62
.LBB28_233:
	s_and_saveexec_b32 s4, s1
	s_cbranch_execz .LBB28_237
; %bb.234:
	v_add_nc_u32_e64 v66, 0, 40
	v_add_nc_u32_e32 v67, -5, v0
	s_movk_i32 s5, 0x118
	s_mov_b32 s1, 0
.LBB28_235:                             ; =>This Inner Loop Header: Depth=1
	scratch_load_b64 v[68:69], v66, off
	v_dual_mov_b32 v70, s5 :: v_dual_add_nc_u32 v67, -1, v67
	v_add_nc_u32_e32 v66, 8, v66
	s_add_i32 s5, s5, 8
	ds_load_b64 v[70:71], v70
	v_cmp_eq_u32_e32 vcc_lo, 0, v67
	s_or_b32 s1, vcc_lo, s1
	s_waitcnt vmcnt(0) lgkmcnt(0)
	v_fma_f64 v[59:60], v[68:69], v[70:71], v[59:60]
	s_and_not1_b32 exec_lo, exec_lo, s1
	s_cbranch_execnz .LBB28_235
; %bb.236:
	s_or_b32 exec_lo, exec_lo, s1
.LBB28_237:
	s_delay_alu instid0(SALU_CYCLE_1)
	s_or_b32 exec_lo, exec_lo, s4
	v_mov_b32_e32 v66, 0
	ds_load_b64 v[66:67], v66 offset:32
	s_waitcnt lgkmcnt(0)
	v_mul_f64 v[59:60], v[59:60], v[66:67]
	scratch_store_b64 off, v[59:60], off offset:32
.LBB28_238:
	s_or_b32 exec_lo, exec_lo, s3
	scratch_load_b64 v[59:60], off, off offset:24
	v_cmp_lt_u32_e64 s1, 3, v0
	s_waitcnt vmcnt(0)
	ds_store_b64 v62, v[59:60]
	s_waitcnt lgkmcnt(0)
	s_waitcnt_vscnt null, 0x0
	s_barrier
	buffer_gl0_inv
	s_and_saveexec_b32 s3, s1
	s_cbranch_execz .LBB28_248
; %bb.239:
	s_and_not1_b32 vcc_lo, exec_lo, s2
	s_cbranch_vccnz .LBB28_241
; %bb.240:
	scratch_load_b64 v[59:60], v63, off
	ds_load_b64 v[66:67], v62
	s_waitcnt vmcnt(0) lgkmcnt(0)
	v_mul_f64 v[59:60], v[59:60], v[66:67]
	s_cbranch_execz .LBB28_242
	s_branch .LBB28_243
.LBB28_241:
                                        ; implicit-def: $vgpr59_vgpr60
.LBB28_242:
	ds_load_b64 v[59:60], v62
.LBB28_243:
	s_and_saveexec_b32 s4, s0
	s_cbranch_execz .LBB28_247
; %bb.244:
	v_add_nc_u32_e32 v66, -4, v0
	s_movk_i32 s5, 0x110
	s_mov_b32 s0, 0
.LBB28_245:                             ; =>This Inner Loop Header: Depth=1
	scratch_load_b64 v[67:68], v65, off
	v_dual_mov_b32 v69, s5 :: v_dual_add_nc_u32 v66, -1, v66
	v_add_nc_u32_e32 v65, 8, v65
	s_add_i32 s5, s5, 8
	ds_load_b64 v[69:70], v69
	v_cmp_eq_u32_e32 vcc_lo, 0, v66
	s_or_b32 s0, vcc_lo, s0
	s_waitcnt vmcnt(0) lgkmcnt(0)
	v_fma_f64 v[59:60], v[67:68], v[69:70], v[59:60]
	s_and_not1_b32 exec_lo, exec_lo, s0
	s_cbranch_execnz .LBB28_245
; %bb.246:
	s_or_b32 exec_lo, exec_lo, s0
.LBB28_247:
	s_delay_alu instid0(SALU_CYCLE_1)
	s_or_b32 exec_lo, exec_lo, s4
	v_mov_b32_e32 v65, 0
	ds_load_b64 v[65:66], v65 offset:24
	s_waitcnt lgkmcnt(0)
	v_mul_f64 v[59:60], v[59:60], v[65:66]
	scratch_store_b64 off, v[59:60], off offset:24
.LBB28_248:
	s_or_b32 exec_lo, exec_lo, s3
	scratch_load_b64 v[59:60], off, off offset:16
	v_cmp_lt_u32_e64 s0, 2, v0
	s_waitcnt vmcnt(0)
	ds_store_b64 v62, v[59:60]
	s_waitcnt lgkmcnt(0)
	s_waitcnt_vscnt null, 0x0
	s_barrier
	buffer_gl0_inv
	s_and_saveexec_b32 s3, s0
	s_cbranch_execz .LBB28_258
; %bb.249:
	s_and_not1_b32 vcc_lo, exec_lo, s2
	s_cbranch_vccnz .LBB28_251
; %bb.250:
	scratch_load_b64 v[59:60], v63, off
	ds_load_b64 v[65:66], v62
	s_waitcnt vmcnt(0) lgkmcnt(0)
	v_mul_f64 v[59:60], v[59:60], v[65:66]
	s_cbranch_execz .LBB28_252
	s_branch .LBB28_253
.LBB28_251:
                                        ; implicit-def: $vgpr59_vgpr60
.LBB28_252:
	ds_load_b64 v[59:60], v62
.LBB28_253:
	s_and_saveexec_b32 s4, s1
	s_cbranch_execz .LBB28_257
; %bb.254:
	v_add_nc_u32_e64 v65, 0, 24
	v_add_nc_u32_e32 v66, -3, v0
	s_movk_i32 s5, 0x108
	s_mov_b32 s1, 0
.LBB28_255:                             ; =>This Inner Loop Header: Depth=1
	scratch_load_b64 v[67:68], v65, off
	v_dual_mov_b32 v69, s5 :: v_dual_add_nc_u32 v66, -1, v66
	v_add_nc_u32_e32 v65, 8, v65
	s_add_i32 s5, s5, 8
	ds_load_b64 v[69:70], v69
	v_cmp_eq_u32_e32 vcc_lo, 0, v66
	s_or_b32 s1, vcc_lo, s1
	s_waitcnt vmcnt(0) lgkmcnt(0)
	v_fma_f64 v[59:60], v[67:68], v[69:70], v[59:60]
	s_and_not1_b32 exec_lo, exec_lo, s1
	s_cbranch_execnz .LBB28_255
; %bb.256:
	s_or_b32 exec_lo, exec_lo, s1
.LBB28_257:
	s_delay_alu instid0(SALU_CYCLE_1)
	s_or_b32 exec_lo, exec_lo, s4
	v_mov_b32_e32 v65, 0
	ds_load_b64 v[65:66], v65 offset:16
	s_waitcnt lgkmcnt(0)
	v_mul_f64 v[59:60], v[59:60], v[65:66]
	scratch_store_b64 off, v[59:60], off offset:16
.LBB28_258:
	s_or_b32 exec_lo, exec_lo, s3
	scratch_load_b64 v[59:60], off, off offset:8
	v_cmp_lt_u32_e64 s1, 1, v0
	s_waitcnt vmcnt(0)
	ds_store_b64 v62, v[59:60]
	s_waitcnt lgkmcnt(0)
	s_waitcnt_vscnt null, 0x0
	s_barrier
	buffer_gl0_inv
	s_and_saveexec_b32 s3, s1
	s_cbranch_execz .LBB28_268
; %bb.259:
	s_and_not1_b32 vcc_lo, exec_lo, s2
	s_cbranch_vccnz .LBB28_261
; %bb.260:
	scratch_load_b64 v[59:60], v63, off
	ds_load_b64 v[65:66], v62
	s_waitcnt vmcnt(0) lgkmcnt(0)
	v_mul_f64 v[59:60], v[59:60], v[65:66]
	s_cbranch_execz .LBB28_262
	s_branch .LBB28_263
.LBB28_261:
                                        ; implicit-def: $vgpr59_vgpr60
.LBB28_262:
	ds_load_b64 v[59:60], v62
.LBB28_263:
	s_and_saveexec_b32 s4, s0
	s_cbranch_execz .LBB28_267
; %bb.264:
	v_add_nc_u32_e32 v65, -2, v0
	s_movk_i32 s5, 0x100
	s_mov_b32 s0, 0
.LBB28_265:                             ; =>This Inner Loop Header: Depth=1
	scratch_load_b64 v[66:67], v64, off
	v_dual_mov_b32 v68, s5 :: v_dual_add_nc_u32 v65, -1, v65
	v_add_nc_u32_e32 v64, 8, v64
	s_add_i32 s5, s5, 8
	ds_load_b64 v[68:69], v68
	v_cmp_eq_u32_e32 vcc_lo, 0, v65
	s_or_b32 s0, vcc_lo, s0
	s_waitcnt vmcnt(0) lgkmcnt(0)
	v_fma_f64 v[59:60], v[66:67], v[68:69], v[59:60]
	s_and_not1_b32 exec_lo, exec_lo, s0
	s_cbranch_execnz .LBB28_265
; %bb.266:
	s_or_b32 exec_lo, exec_lo, s0
.LBB28_267:
	s_delay_alu instid0(SALU_CYCLE_1)
	s_or_b32 exec_lo, exec_lo, s4
	v_mov_b32_e32 v64, 0
	ds_load_b64 v[64:65], v64 offset:8
	s_waitcnt lgkmcnt(0)
	v_mul_f64 v[59:60], v[59:60], v[64:65]
	scratch_store_b64 off, v[59:60], off offset:8
.LBB28_268:
	s_or_b32 exec_lo, exec_lo, s3
	scratch_load_b64 v[59:60], off, off
	s_mov_b32 s0, 0
	s_mov_b32 s3, exec_lo
	s_waitcnt vmcnt(0)
	ds_store_b64 v62, v[59:60]
	s_waitcnt lgkmcnt(0)
	s_waitcnt_vscnt null, 0x0
	s_barrier
	buffer_gl0_inv
	v_cmpx_ne_u32_e32 0, v0
	s_cbranch_execz .LBB28_278
; %bb.269:
	s_and_not1_b32 vcc_lo, exec_lo, s2
	s_cbranch_vccnz .LBB28_271
; %bb.270:
	scratch_load_b64 v[59:60], v63, off
	ds_load_b64 v[64:65], v62
	s_waitcnt vmcnt(0) lgkmcnt(0)
	v_mul_f64 v[59:60], v[59:60], v[64:65]
	s_cbranch_execz .LBB28_272
	s_branch .LBB28_273
.LBB28_271:
                                        ; implicit-def: $vgpr59_vgpr60
.LBB28_272:
	ds_load_b64 v[59:60], v62
.LBB28_273:
	s_and_saveexec_b32 s4, s1
	s_cbranch_execz .LBB28_277
; %bb.274:
	v_or_b32_e64 v64, 0, 8
	v_add_nc_u32_e32 v65, -1, v0
	s_movk_i32 s5, 0xf8
	s_mov_b32 s1, 0
.LBB28_275:                             ; =>This Inner Loop Header: Depth=1
	scratch_load_b64 v[66:67], v64, off
	v_dual_mov_b32 v68, s5 :: v_dual_add_nc_u32 v65, -1, v65
	v_add_nc_u32_e32 v64, 8, v64
	s_add_i32 s5, s5, 8
	ds_load_b64 v[68:69], v68
	v_cmp_eq_u32_e32 vcc_lo, 0, v65
	s_or_b32 s1, vcc_lo, s1
	s_waitcnt vmcnt(0) lgkmcnt(0)
	v_fma_f64 v[59:60], v[66:67], v[68:69], v[59:60]
	s_and_not1_b32 exec_lo, exec_lo, s1
	s_cbranch_execnz .LBB28_275
; %bb.276:
	s_or_b32 exec_lo, exec_lo, s1
.LBB28_277:
	s_delay_alu instid0(SALU_CYCLE_1)
	s_or_b32 exec_lo, exec_lo, s4
	v_mov_b32_e32 v64, 0
	ds_load_b64 v[64:65], v64
	s_waitcnt lgkmcnt(0)
	v_mul_f64 v[59:60], v[59:60], v[64:65]
	scratch_store_b64 off, v[59:60], off
.LBB28_278:
	s_or_b32 exec_lo, exec_lo, s3
.LBB28_279:
	s_delay_alu instid0(SALU_CYCLE_1)
	s_and_b32 vcc_lo, exec_lo, s0
	s_cbranch_vccz .LBB28_555
; %bb.280:
	scratch_load_b64 v[59:60], off, off offset:8
	v_cmp_eq_u32_e64 s0, 0, v0
	s_waitcnt vmcnt(0)
	ds_store_b64 v62, v[59:60]
	s_waitcnt lgkmcnt(0)
	s_waitcnt_vscnt null, 0x0
	s_barrier
	buffer_gl0_inv
	s_and_saveexec_b32 s1, s0
	s_cbranch_execz .LBB28_286
; %bb.281:
	s_and_b32 vcc_lo, exec_lo, s2
	s_cbranch_vccz .LBB28_283
; %bb.282:
	scratch_load_b64 v[59:60], v63, off
	ds_load_b64 v[64:65], v62
	s_waitcnt vmcnt(0) lgkmcnt(0)
	v_mul_f64 v[59:60], v[59:60], v[64:65]
	s_cbranch_execz .LBB28_284
	s_branch .LBB28_285
.LBB28_283:
                                        ; implicit-def: $vgpr59_vgpr60
.LBB28_284:
	ds_load_b64 v[59:60], v62
.LBB28_285:
	v_mov_b32_e32 v64, 0
	ds_load_b64 v[64:65], v64 offset:8
	s_waitcnt lgkmcnt(0)
	v_mul_f64 v[59:60], v[59:60], v[64:65]
	scratch_store_b64 off, v[59:60], off offset:8
.LBB28_286:
	s_or_b32 exec_lo, exec_lo, s1
	scratch_load_b64 v[59:60], off, off offset:16
	v_cndmask_b32_e64 v64, 0, 1, s2
	s_mov_b32 s1, exec_lo
	s_waitcnt vmcnt(0)
	ds_store_b64 v62, v[59:60]
	s_waitcnt lgkmcnt(0)
	s_waitcnt_vscnt null, 0x0
	s_barrier
	buffer_gl0_inv
	v_cmpx_gt_u32_e32 2, v0
	s_cbranch_execz .LBB28_294
; %bb.287:
	s_and_not1_b32 vcc_lo, exec_lo, s2
	s_cbranch_vccnz .LBB28_289
; %bb.288:
	scratch_load_b64 v[59:60], v63, off
	ds_load_b64 v[65:66], v62
	s_waitcnt vmcnt(0) lgkmcnt(0)
	v_mul_f64 v[59:60], v[59:60], v[65:66]
	s_cbranch_execz .LBB28_290
	s_branch .LBB28_291
.LBB28_289:
                                        ; implicit-def: $vgpr59_vgpr60
.LBB28_290:
	ds_load_b64 v[59:60], v62
.LBB28_291:
	s_and_saveexec_b32 s2, s0
	s_cbranch_execz .LBB28_293
; %bb.292:
	scratch_load_b64 v[65:66], v63, off offset:8
	ds_load_b64 v[67:68], v62 offset:8
	s_waitcnt vmcnt(0) lgkmcnt(0)
	v_fma_f64 v[59:60], v[65:66], v[67:68], v[59:60]
.LBB28_293:
	s_or_b32 exec_lo, exec_lo, s2
	v_mov_b32_e32 v65, 0
	ds_load_b64 v[65:66], v65 offset:16
	s_waitcnt lgkmcnt(0)
	v_mul_f64 v[59:60], v[59:60], v[65:66]
	scratch_store_b64 off, v[59:60], off offset:16
.LBB28_294:
	s_or_b32 exec_lo, exec_lo, s1
	scratch_load_b64 v[59:60], off, off offset:24
	s_mov_b32 s1, exec_lo
	s_waitcnt vmcnt(0)
	ds_store_b64 v62, v[59:60]
	s_waitcnt lgkmcnt(0)
	s_waitcnt_vscnt null, 0x0
	s_barrier
	buffer_gl0_inv
	v_cmpx_gt_u32_e32 3, v0
	s_cbranch_execz .LBB28_304
; %bb.295:
	v_cmp_ne_u32_e32 vcc_lo, 1, v64
	s_cbranch_vccnz .LBB28_297
; %bb.296:
	scratch_load_b64 v[59:60], v63, off
	ds_load_b64 v[65:66], v62
	s_waitcnt vmcnt(0) lgkmcnt(0)
	v_mul_f64 v[59:60], v[59:60], v[65:66]
	s_cbranch_execz .LBB28_298
	s_branch .LBB28_299
.LBB28_297:
                                        ; implicit-def: $vgpr59_vgpr60
.LBB28_298:
	ds_load_b64 v[59:60], v62
.LBB28_299:
	s_mov_b32 s2, exec_lo
	v_cmpx_ne_u32_e32 2, v0
	s_cbranch_execz .LBB28_303
; %bb.300:
	scratch_load_b64 v[65:66], v63, off offset:8
	ds_load_b64 v[67:68], v62 offset:8
	s_waitcnt vmcnt(0) lgkmcnt(0)
	v_fma_f64 v[59:60], v[65:66], v[67:68], v[59:60]
	s_and_saveexec_b32 s3, s0
	s_cbranch_execz .LBB28_302
; %bb.301:
	scratch_load_b64 v[65:66], off, off offset:16
	v_mov_b32_e32 v67, 0
	ds_load_b64 v[67:68], v67 offset:256
	s_waitcnt vmcnt(0) lgkmcnt(0)
	v_fma_f64 v[59:60], v[65:66], v[67:68], v[59:60]
.LBB28_302:
	s_or_b32 exec_lo, exec_lo, s3
.LBB28_303:
	s_delay_alu instid0(SALU_CYCLE_1)
	s_or_b32 exec_lo, exec_lo, s2
	v_mov_b32_e32 v65, 0
	ds_load_b64 v[65:66], v65 offset:24
	s_waitcnt lgkmcnt(0)
	v_mul_f64 v[59:60], v[59:60], v[65:66]
	scratch_store_b64 off, v[59:60], off offset:24
.LBB28_304:
	s_or_b32 exec_lo, exec_lo, s1
	scratch_load_b64 v[59:60], off, off offset:32
	s_mov_b32 s0, exec_lo
	s_waitcnt vmcnt(0)
	ds_store_b64 v62, v[59:60]
	s_waitcnt lgkmcnt(0)
	s_waitcnt_vscnt null, 0x0
	s_barrier
	buffer_gl0_inv
	v_cmpx_gt_u32_e32 4, v0
	s_cbranch_execz .LBB28_314
; %bb.305:
	v_cmp_ne_u32_e32 vcc_lo, 1, v64
	s_cbranch_vccnz .LBB28_307
; %bb.306:
	scratch_load_b64 v[59:60], v63, off
	ds_load_b64 v[65:66], v62
	s_waitcnt vmcnt(0) lgkmcnt(0)
	v_mul_f64 v[59:60], v[59:60], v[65:66]
	s_cbranch_execz .LBB28_308
	s_branch .LBB28_309
.LBB28_307:
                                        ; implicit-def: $vgpr59_vgpr60
.LBB28_308:
	ds_load_b64 v[59:60], v62
.LBB28_309:
	s_mov_b32 s1, exec_lo
	v_cmpx_ne_u32_e32 3, v0
	s_cbranch_execz .LBB28_313
; %bb.310:
	v_add_nc_u32_e32 v65, 0xf8, v61
	v_add3_u32 v66, 0, v61, 8
	v_mov_b32_e32 v67, v0
	s_mov_b32 s2, 0
.LBB28_311:                             ; =>This Inner Loop Header: Depth=1
	scratch_load_b64 v[68:69], v66, off
	ds_load_b64 v[70:71], v65
	v_add_nc_u32_e32 v67, 1, v67
	v_add_nc_u32_e32 v65, 8, v65
	v_add_nc_u32_e32 v66, 8, v66
	s_delay_alu instid0(VALU_DEP_3)
	v_cmp_lt_u32_e32 vcc_lo, 2, v67
	s_or_b32 s2, vcc_lo, s2
	s_waitcnt vmcnt(0) lgkmcnt(0)
	v_fma_f64 v[59:60], v[68:69], v[70:71], v[59:60]
	s_and_not1_b32 exec_lo, exec_lo, s2
	s_cbranch_execnz .LBB28_311
; %bb.312:
	s_or_b32 exec_lo, exec_lo, s2
.LBB28_313:
	s_delay_alu instid0(SALU_CYCLE_1)
	s_or_b32 exec_lo, exec_lo, s1
	v_mov_b32_e32 v65, 0
	ds_load_b64 v[65:66], v65 offset:32
	s_waitcnt lgkmcnt(0)
	v_mul_f64 v[59:60], v[59:60], v[65:66]
	scratch_store_b64 off, v[59:60], off offset:32
.LBB28_314:
	s_or_b32 exec_lo, exec_lo, s0
	scratch_load_b64 v[59:60], off, off offset:40
	s_mov_b32 s0, exec_lo
	s_waitcnt vmcnt(0)
	ds_store_b64 v62, v[59:60]
	s_waitcnt lgkmcnt(0)
	s_waitcnt_vscnt null, 0x0
	s_barrier
	buffer_gl0_inv
	v_cmpx_gt_u32_e32 5, v0
	s_cbranch_execz .LBB28_324
; %bb.315:
	v_cmp_ne_u32_e32 vcc_lo, 1, v64
	s_cbranch_vccnz .LBB28_317
; %bb.316:
	scratch_load_b64 v[59:60], v63, off
	ds_load_b64 v[65:66], v62
	s_waitcnt vmcnt(0) lgkmcnt(0)
	v_mul_f64 v[59:60], v[59:60], v[65:66]
	s_cbranch_execz .LBB28_318
	s_branch .LBB28_319
.LBB28_317:
                                        ; implicit-def: $vgpr59_vgpr60
.LBB28_318:
	ds_load_b64 v[59:60], v62
.LBB28_319:
	s_mov_b32 s1, exec_lo
	v_cmpx_ne_u32_e32 4, v0
	s_cbranch_execz .LBB28_323
; %bb.320:
	v_add_nc_u32_e32 v65, 0xf8, v61
	v_add3_u32 v66, 0, v61, 8
	v_mov_b32_e32 v67, v0
	s_mov_b32 s2, 0
.LBB28_321:                             ; =>This Inner Loop Header: Depth=1
	scratch_load_b64 v[68:69], v66, off
	ds_load_b64 v[70:71], v65
	v_add_nc_u32_e32 v67, 1, v67
	v_add_nc_u32_e32 v65, 8, v65
	v_add_nc_u32_e32 v66, 8, v66
	s_delay_alu instid0(VALU_DEP_3)
	v_cmp_lt_u32_e32 vcc_lo, 3, v67
	s_or_b32 s2, vcc_lo, s2
	s_waitcnt vmcnt(0) lgkmcnt(0)
	v_fma_f64 v[59:60], v[68:69], v[70:71], v[59:60]
	s_and_not1_b32 exec_lo, exec_lo, s2
	s_cbranch_execnz .LBB28_321
; %bb.322:
	s_or_b32 exec_lo, exec_lo, s2
.LBB28_323:
	s_delay_alu instid0(SALU_CYCLE_1)
	s_or_b32 exec_lo, exec_lo, s1
	v_mov_b32_e32 v65, 0
	ds_load_b64 v[65:66], v65 offset:40
	s_waitcnt lgkmcnt(0)
	v_mul_f64 v[59:60], v[59:60], v[65:66]
	scratch_store_b64 off, v[59:60], off offset:40
.LBB28_324:
	;; [unrolled: 58-line block ×23, first 2 shown]
	s_or_b32 exec_lo, exec_lo, s0
	scratch_load_b64 v[59:60], off, off offset:216
	v_cmp_gt_u32_e64 s0, 27, v0
	s_waitcnt vmcnt(0)
	ds_store_b64 v62, v[59:60]
	s_waitcnt lgkmcnt(0)
	s_waitcnt_vscnt null, 0x0
	s_barrier
	buffer_gl0_inv
	s_and_saveexec_b32 s1, s0
	s_cbranch_execz .LBB28_544
; %bb.535:
	v_cmp_ne_u32_e32 vcc_lo, 1, v64
	s_cbranch_vccnz .LBB28_537
; %bb.536:
	scratch_load_b64 v[59:60], v63, off
	ds_load_b64 v[65:66], v62
	s_waitcnt vmcnt(0) lgkmcnt(0)
	v_mul_f64 v[59:60], v[59:60], v[65:66]
	s_cbranch_execz .LBB28_538
	s_branch .LBB28_539
.LBB28_537:
                                        ; implicit-def: $vgpr59_vgpr60
.LBB28_538:
	ds_load_b64 v[59:60], v62
.LBB28_539:
	s_mov_b32 s2, exec_lo
	v_cmpx_ne_u32_e32 26, v0
	s_cbranch_execz .LBB28_543
; %bb.540:
	v_add_nc_u32_e32 v65, 0xf8, v61
	v_add3_u32 v66, 0, v61, 8
	v_mov_b32_e32 v67, v0
	s_mov_b32 s3, 0
.LBB28_541:                             ; =>This Inner Loop Header: Depth=1
	scratch_load_b64 v[68:69], v66, off
	ds_load_b64 v[70:71], v65
	v_add_nc_u32_e32 v67, 1, v67
	v_add_nc_u32_e32 v65, 8, v65
	;; [unrolled: 1-line block ×3, first 2 shown]
	s_delay_alu instid0(VALU_DEP_3)
	v_cmp_lt_u32_e32 vcc_lo, 25, v67
	s_or_b32 s3, vcc_lo, s3
	s_waitcnt vmcnt(0) lgkmcnt(0)
	v_fma_f64 v[59:60], v[68:69], v[70:71], v[59:60]
	s_and_not1_b32 exec_lo, exec_lo, s3
	s_cbranch_execnz .LBB28_541
; %bb.542:
	s_or_b32 exec_lo, exec_lo, s3
.LBB28_543:
	s_delay_alu instid0(SALU_CYCLE_1)
	s_or_b32 exec_lo, exec_lo, s2
	v_mov_b32_e32 v65, 0
	ds_load_b64 v[65:66], v65 offset:216
	s_waitcnt lgkmcnt(0)
	v_mul_f64 v[59:60], v[59:60], v[65:66]
	scratch_store_b64 off, v[59:60], off offset:216
.LBB28_544:
	s_or_b32 exec_lo, exec_lo, s1
	scratch_load_b64 v[59:60], off, off offset:224
	s_mov_b32 s1, exec_lo
	s_waitcnt vmcnt(0)
	ds_store_b64 v62, v[59:60]
	s_waitcnt lgkmcnt(0)
	s_waitcnt_vscnt null, 0x0
	s_barrier
	buffer_gl0_inv
	v_cmpx_ne_u32_e32 28, v0
	s_cbranch_execz .LBB28_554
; %bb.545:
	v_cmp_ne_u32_e32 vcc_lo, 1, v64
	s_cbranch_vccnz .LBB28_547
; %bb.546:
	scratch_load_b64 v[59:60], v63, off
	ds_load_b64 v[63:64], v62
	s_waitcnt vmcnt(0) lgkmcnt(0)
	v_mul_f64 v[59:60], v[59:60], v[63:64]
	s_cbranch_execz .LBB28_548
	s_branch .LBB28_549
.LBB28_547:
                                        ; implicit-def: $vgpr59_vgpr60
.LBB28_548:
	ds_load_b64 v[59:60], v62
.LBB28_549:
	s_and_saveexec_b32 s2, s0
	s_cbranch_execz .LBB28_553
; %bb.550:
	v_add_nc_u32_e32 v62, 0xf8, v61
	v_add3_u32 v61, 0, v61, 8
	s_mov_b32 s0, 0
.LBB28_551:                             ; =>This Inner Loop Header: Depth=1
	scratch_load_b64 v[63:64], v61, off
	ds_load_b64 v[65:66], v62
	v_add_nc_u32_e32 v0, 1, v0
	v_add_nc_u32_e32 v62, 8, v62
	;; [unrolled: 1-line block ×3, first 2 shown]
	s_delay_alu instid0(VALU_DEP_3)
	v_cmp_lt_u32_e32 vcc_lo, 26, v0
	s_or_b32 s0, vcc_lo, s0
	s_waitcnt vmcnt(0) lgkmcnt(0)
	v_fma_f64 v[59:60], v[63:64], v[65:66], v[59:60]
	s_and_not1_b32 exec_lo, exec_lo, s0
	s_cbranch_execnz .LBB28_551
; %bb.552:
	s_or_b32 exec_lo, exec_lo, s0
.LBB28_553:
	s_delay_alu instid0(SALU_CYCLE_1)
	s_or_b32 exec_lo, exec_lo, s2
	v_mov_b32_e32 v0, 0
	ds_load_b64 v[61:62], v0 offset:224
	s_waitcnt lgkmcnt(0)
	v_mul_f64 v[59:60], v[59:60], v[61:62]
	scratch_store_b64 off, v[59:60], off offset:224
.LBB28_554:
	s_or_b32 exec_lo, exec_lo, s1
.LBB28_555:
	s_clause 0x8
	scratch_load_b128 v[59:62], off, off
	scratch_load_b128 v[63:66], off, off offset:16
	scratch_load_b128 v[67:70], off, off offset:32
	;; [unrolled: 1-line block ×8, first 2 shown]
	s_waitcnt vmcnt(8)
	s_clause 0x1
	global_store_b64 v[9:10], v[59:60], off
	global_store_b64 v[7:8], v[61:62], off
	scratch_load_b128 v[7:10], off, off offset:144
	s_waitcnt vmcnt(8)
	s_clause 0x1
	global_store_b64 v[1:2], v[63:64], off
	global_store_b64 v[3:4], v[65:66], off
	s_waitcnt vmcnt(7)
	s_clause 0x1
	global_store_b64 v[5:6], v[67:68], off
	global_store_b64 v[15:16], v[69:70], off
	s_clause 0x4
	scratch_load_b128 v[59:62], off, off offset:160
	scratch_load_b128 v[0:3], off, off offset:176
	scratch_load_b128 v[63:66], off, off offset:192
	scratch_load_b128 v[67:70], off, off offset:208
	scratch_load_b64 v[4:5], off, off offset:224
	s_waitcnt vmcnt(11)
	s_clause 0x1
	global_store_b64 v[11:12], v[71:72], off
	global_store_b64 v[13:14], v[73:74], off
	s_waitcnt vmcnt(10)
	s_clause 0x1
	global_store_b64 v[17:18], v[75:76], off
	global_store_b64 v[19:20], v[77:78], off
	;; [unrolled: 4-line block ×11, first 2 shown]
	s_waitcnt vmcnt(0)
	global_store_b64 v[57:58], v[4:5], off
.LBB28_556:
	s_endpgm
	.section	.rodata,"a",@progbits
	.p2align	6, 0x0
	.amdhsa_kernel _ZN9rocsolver6v33100L18trti2_kernel_smallILi29EdPdEEv13rocblas_fill_17rocblas_diagonal_T1_iil
		.amdhsa_group_segment_fixed_size 472
		.amdhsa_private_segment_fixed_size 240
		.amdhsa_kernarg_size 32
		.amdhsa_user_sgpr_count 15
		.amdhsa_user_sgpr_dispatch_ptr 0
		.amdhsa_user_sgpr_queue_ptr 0
		.amdhsa_user_sgpr_kernarg_segment_ptr 1
		.amdhsa_user_sgpr_dispatch_id 0
		.amdhsa_user_sgpr_private_segment_size 0
		.amdhsa_wavefront_size32 1
		.amdhsa_uses_dynamic_stack 0
		.amdhsa_enable_private_segment 1
		.amdhsa_system_sgpr_workgroup_id_x 1
		.amdhsa_system_sgpr_workgroup_id_y 0
		.amdhsa_system_sgpr_workgroup_id_z 0
		.amdhsa_system_sgpr_workgroup_info 0
		.amdhsa_system_vgpr_workitem_id 0
		.amdhsa_next_free_vgpr 95
		.amdhsa_next_free_sgpr 16
		.amdhsa_reserve_vcc 1
		.amdhsa_float_round_mode_32 0
		.amdhsa_float_round_mode_16_64 0
		.amdhsa_float_denorm_mode_32 3
		.amdhsa_float_denorm_mode_16_64 3
		.amdhsa_dx10_clamp 1
		.amdhsa_ieee_mode 1
		.amdhsa_fp16_overflow 0
		.amdhsa_workgroup_processor_mode 1
		.amdhsa_memory_ordered 1
		.amdhsa_forward_progress 0
		.amdhsa_shared_vgpr_count 0
		.amdhsa_exception_fp_ieee_invalid_op 0
		.amdhsa_exception_fp_denorm_src 0
		.amdhsa_exception_fp_ieee_div_zero 0
		.amdhsa_exception_fp_ieee_overflow 0
		.amdhsa_exception_fp_ieee_underflow 0
		.amdhsa_exception_fp_ieee_inexact 0
		.amdhsa_exception_int_div_zero 0
	.end_amdhsa_kernel
	.section	.text._ZN9rocsolver6v33100L18trti2_kernel_smallILi29EdPdEEv13rocblas_fill_17rocblas_diagonal_T1_iil,"axG",@progbits,_ZN9rocsolver6v33100L18trti2_kernel_smallILi29EdPdEEv13rocblas_fill_17rocblas_diagonal_T1_iil,comdat
.Lfunc_end28:
	.size	_ZN9rocsolver6v33100L18trti2_kernel_smallILi29EdPdEEv13rocblas_fill_17rocblas_diagonal_T1_iil, .Lfunc_end28-_ZN9rocsolver6v33100L18trti2_kernel_smallILi29EdPdEEv13rocblas_fill_17rocblas_diagonal_T1_iil
                                        ; -- End function
	.section	.AMDGPU.csdata,"",@progbits
; Kernel info:
; codeLenInByte = 15612
; NumSgprs: 18
; NumVgprs: 95
; ScratchSize: 240
; MemoryBound: 0
; FloatMode: 240
; IeeeMode: 1
; LDSByteSize: 472 bytes/workgroup (compile time only)
; SGPRBlocks: 2
; VGPRBlocks: 11
; NumSGPRsForWavesPerEU: 18
; NumVGPRsForWavesPerEU: 95
; Occupancy: 16
; WaveLimiterHint : 0
; COMPUTE_PGM_RSRC2:SCRATCH_EN: 1
; COMPUTE_PGM_RSRC2:USER_SGPR: 15
; COMPUTE_PGM_RSRC2:TRAP_HANDLER: 0
; COMPUTE_PGM_RSRC2:TGID_X_EN: 1
; COMPUTE_PGM_RSRC2:TGID_Y_EN: 0
; COMPUTE_PGM_RSRC2:TGID_Z_EN: 0
; COMPUTE_PGM_RSRC2:TIDIG_COMP_CNT: 0
	.section	.text._ZN9rocsolver6v33100L18trti2_kernel_smallILi30EdPdEEv13rocblas_fill_17rocblas_diagonal_T1_iil,"axG",@progbits,_ZN9rocsolver6v33100L18trti2_kernel_smallILi30EdPdEEv13rocblas_fill_17rocblas_diagonal_T1_iil,comdat
	.globl	_ZN9rocsolver6v33100L18trti2_kernel_smallILi30EdPdEEv13rocblas_fill_17rocblas_diagonal_T1_iil ; -- Begin function _ZN9rocsolver6v33100L18trti2_kernel_smallILi30EdPdEEv13rocblas_fill_17rocblas_diagonal_T1_iil
	.p2align	8
	.type	_ZN9rocsolver6v33100L18trti2_kernel_smallILi30EdPdEEv13rocblas_fill_17rocblas_diagonal_T1_iil,@function
_ZN9rocsolver6v33100L18trti2_kernel_smallILi30EdPdEEv13rocblas_fill_17rocblas_diagonal_T1_iil: ; @_ZN9rocsolver6v33100L18trti2_kernel_smallILi30EdPdEEv13rocblas_fill_17rocblas_diagonal_T1_iil
; %bb.0:
	s_mov_b32 s2, exec_lo
	v_cmpx_gt_u32_e32 30, v0
	s_cbranch_execz .LBB29_576
; %bb.1:
	s_load_b256 s[0:7], s[0:1], 0x0
	s_ashr_i32 s8, s15, 31
	v_lshlrev_b32_e32 v63, 3, v0
	s_waitcnt lgkmcnt(0)
	s_mul_i32 s7, s15, s7
	s_mul_hi_u32 s9, s15, s6
	s_mul_i32 s8, s8, s6
	s_add_i32 s7, s9, s7
	s_mul_i32 s6, s15, s6
	s_add_i32 s7, s7, s8
	s_ashr_i32 s9, s4, 31
	s_lshl_b64 s[6:7], s[6:7], 3
	s_mov_b32 s8, s4
	s_add_u32 s4, s2, s6
	s_addc_u32 s7, s3, s7
	s_lshl_b64 s[2:3], s[8:9], 3
	v_add3_u32 v5, s5, s5, v0
	s_add_u32 s2, s4, s2
	s_addc_u32 s3, s7, s3
	v_add_co_u32 v1, s4, s2, v63
	s_mov_b32 s6, s5
	s_ashr_i32 s7, s5, 31
	v_add_co_ci_u32_e64 v2, null, s3, 0, s4
	s_lshl_b64 s[6:7], s[6:7], 3
	v_add_nc_u32_e32 v9, s5, v5
	v_add_co_u32 v3, vcc_lo, v1, s6
	v_ashrrev_i32_e32 v6, 31, v5
	v_add_co_ci_u32_e32 v4, vcc_lo, s7, v2, vcc_lo
	s_delay_alu instid0(VALU_DEP_4)
	v_ashrrev_i32_e32 v10, 31, v9
	s_clause 0x1
	global_load_b64 v[31:32], v63, s[2:3]
	global_load_b64 v[33:34], v[3:4], off
	v_lshlrev_b64 v[5:6], 3, v[5:6]
	s_cmpk_lg_i32 s1, 0x84
	v_lshlrev_b64 v[7:8], 3, v[9:10]
	v_add_nc_u32_e32 v9, s5, v9
	s_delay_alu instid0(VALU_DEP_3) | instskip(NEXT) | instid1(VALU_DEP_4)
	v_add_co_u32 v5, vcc_lo, s2, v5
	v_add_co_ci_u32_e32 v6, vcc_lo, s3, v6, vcc_lo
	s_delay_alu instid0(VALU_DEP_4)
	v_add_co_u32 v7, vcc_lo, s2, v7
	v_add_co_ci_u32_e32 v8, vcc_lo, s3, v8, vcc_lo
	s_clause 0x1
	global_load_b64 v[35:36], v[5:6], off
	global_load_b64 v[37:38], v[7:8], off
	v_add_nc_u32_e32 v11, s5, v9
	v_ashrrev_i32_e32 v10, 31, v9
	s_delay_alu instid0(VALU_DEP_2) | instskip(SKIP_1) | instid1(VALU_DEP_3)
	v_add_nc_u32_e32 v13, s5, v11
	v_ashrrev_i32_e32 v12, 31, v11
	v_lshlrev_b64 v[9:10], 3, v[9:10]
	s_delay_alu instid0(VALU_DEP_3) | instskip(SKIP_1) | instid1(VALU_DEP_4)
	v_add_nc_u32_e32 v15, s5, v13
	v_ashrrev_i32_e32 v14, 31, v13
	v_lshlrev_b64 v[11:12], 3, v[11:12]
	s_delay_alu instid0(VALU_DEP_4) | instskip(NEXT) | instid1(VALU_DEP_4)
	v_add_co_u32 v9, vcc_lo, s2, v9
	v_add_nc_u32_e32 v17, s5, v15
	v_ashrrev_i32_e32 v16, 31, v15
	v_lshlrev_b64 v[13:14], 3, v[13:14]
	v_add_co_ci_u32_e32 v10, vcc_lo, s3, v10, vcc_lo
	s_delay_alu instid0(VALU_DEP_4) | instskip(SKIP_3) | instid1(VALU_DEP_4)
	v_add_nc_u32_e32 v19, s5, v17
	v_ashrrev_i32_e32 v18, 31, v17
	v_add_co_u32 v11, vcc_lo, s2, v11
	v_lshlrev_b64 v[15:16], 3, v[15:16]
	v_add_nc_u32_e32 v21, s5, v19
	v_ashrrev_i32_e32 v20, 31, v19
	v_add_co_ci_u32_e32 v12, vcc_lo, s3, v12, vcc_lo
	v_add_co_u32 v13, vcc_lo, s2, v13
	s_delay_alu instid0(VALU_DEP_4) | instskip(SKIP_3) | instid1(VALU_DEP_4)
	v_add_nc_u32_e32 v23, s5, v21
	v_lshlrev_b64 v[17:18], 3, v[17:18]
	v_ashrrev_i32_e32 v22, 31, v21
	v_add_co_ci_u32_e32 v14, vcc_lo, s3, v14, vcc_lo
	v_add_nc_u32_e32 v25, s5, v23
	v_add_co_u32 v15, vcc_lo, s2, v15
	v_lshlrev_b64 v[19:20], 3, v[19:20]
	v_add_co_ci_u32_e32 v16, vcc_lo, s3, v16, vcc_lo
	s_delay_alu instid0(VALU_DEP_4)
	v_add_nc_u32_e32 v27, s5, v25
	s_clause 0x1
	global_load_b64 v[39:40], v[9:10], off
	global_load_b64 v[41:42], v[11:12], off
	v_add_co_u32 v17, vcc_lo, s2, v17
	v_add_nc_u32_e32 v43, s5, v27
	v_lshlrev_b64 v[21:22], 3, v[21:22]
	v_ashrrev_i32_e32 v24, 31, v23
	v_add_co_ci_u32_e32 v18, vcc_lo, s3, v18, vcc_lo
	s_delay_alu instid0(VALU_DEP_4) | instskip(SKIP_3) | instid1(VALU_DEP_4)
	v_add_nc_u32_e32 v61, s5, v43
	v_add_co_u32 v19, vcc_lo, s2, v19
	v_ashrrev_i32_e32 v26, 31, v25
	v_add_co_ci_u32_e32 v20, vcc_lo, s3, v20, vcc_lo
	v_add_nc_u32_e32 v64, s5, v61
	v_lshlrev_b64 v[29:30], 3, v[23:24]
	v_add_co_u32 v23, vcc_lo, s2, v21
	v_add_co_ci_u32_e32 v24, vcc_lo, s3, v22, vcc_lo
	s_delay_alu instid0(VALU_DEP_4) | instskip(SKIP_3) | instid1(VALU_DEP_4)
	v_add_nc_u32_e32 v72, s5, v64
	v_lshlrev_b64 v[21:22], 3, v[25:26]
	v_ashrrev_i32_e32 v28, 31, v27
	v_add_co_u32 v25, vcc_lo, s2, v29
	v_add_nc_u32_e32 v74, s5, v72
	s_clause 0x3
	global_load_b64 v[45:46], v[13:14], off
	global_load_b64 v[47:48], v[15:16], off
	;; [unrolled: 1-line block ×4, first 2 shown]
	v_add_co_ci_u32_e32 v26, vcc_lo, s3, v30, vcc_lo
	v_add_nc_u32_e32 v76, s5, v74
	v_lshlrev_b64 v[29:30], 3, v[27:28]
	v_add_co_u32 v27, vcc_lo, s2, v21
	v_add_co_ci_u32_e32 v28, vcc_lo, s3, v22, vcc_lo
	s_delay_alu instid0(VALU_DEP_4)
	v_add_nc_u32_e32 v78, s5, v76
	v_ashrrev_i32_e32 v44, 31, v43
	v_ashrrev_i32_e32 v62, 31, v61
	;; [unrolled: 1-line block ×4, first 2 shown]
	v_add_nc_u32_e32 v80, s5, v78
	v_ashrrev_i32_e32 v75, 31, v74
	v_ashrrev_i32_e32 v77, 31, v76
	;; [unrolled: 1-line block ×3, first 2 shown]
	s_delay_alu instid0(VALU_DEP_4) | instskip(SKIP_1) | instid1(VALU_DEP_2)
	v_add_nc_u32_e32 v82, s5, v80
	v_ashrrev_i32_e32 v81, 31, v80
	v_add_nc_u32_e32 v84, s5, v82
	v_ashrrev_i32_e32 v83, 31, v82
	s_delay_alu instid0(VALU_DEP_2) | instskip(SKIP_1) | instid1(VALU_DEP_2)
	v_add_nc_u32_e32 v86, s5, v84
	v_ashrrev_i32_e32 v85, 31, v84
	v_add_nc_u32_e32 v88, s5, v86
	v_ashrrev_i32_e32 v87, 31, v86
	s_delay_alu instid0(VALU_DEP_2) | instskip(SKIP_1) | instid1(VALU_DEP_2)
	;; [unrolled: 5-line block ×3, first 2 shown]
	v_add_nc_u32_e32 v94, s5, v92
	v_ashrrev_i32_e32 v93, 31, v92
	v_add_nc_u32_e32 v53, s5, v94
	v_ashrrev_i32_e32 v95, 31, v94
	s_delay_alu instid0(VALU_DEP_2) | instskip(NEXT) | instid1(VALU_DEP_1)
	v_ashrrev_i32_e32 v54, 31, v53
	v_lshlrev_b64 v[53:54], 3, v[53:54]
	s_delay_alu instid0(VALU_DEP_1) | instskip(NEXT) | instid1(VALU_DEP_2)
	v_add_co_u32 v21, vcc_lo, s2, v53
	v_add_co_ci_u32_e32 v22, vcc_lo, s3, v54, vcc_lo
	v_add_co_u32 v29, vcc_lo, s2, v29
	v_add_co_ci_u32_e32 v30, vcc_lo, s3, v30, vcc_lo
	global_load_b64 v[66:67], v[21:22], off
	s_waitcnt vmcnt(9)
	scratch_store_b128 off, v[31:34], off
	v_lshlrev_b64 v[31:32], 3, v[43:44]
	s_clause 0x3
	global_load_b64 v[53:54], v[23:24], off
	global_load_b64 v[55:56], v[25:26], off
	;; [unrolled: 1-line block ×4, first 2 shown]
	v_lshlrev_b64 v[33:34], 3, v[61:62]
	v_lshlrev_b64 v[43:44], 3, v[74:75]
	;; [unrolled: 1-line block ×3, first 2 shown]
	v_add_co_u32 v31, vcc_lo, s2, v31
	v_add_co_ci_u32_e32 v32, vcc_lo, s3, v32, vcc_lo
	v_add_co_u32 v33, vcc_lo, s2, v33
	v_add_co_ci_u32_e32 v34, vcc_lo, s3, v34, vcc_lo
	s_waitcnt vmcnt(11)
	scratch_store_b128 off, v[35:38], off offset:16
	s_clause 0x1
	global_load_b64 v[68:69], v[31:32], off
	global_load_b64 v[70:71], v[33:34], off
	v_lshlrev_b64 v[35:36], 3, v[64:65]
	v_lshlrev_b64 v[37:38], 3, v[72:73]
	;; [unrolled: 1-line block ×3, first 2 shown]
	s_delay_alu instid0(VALU_DEP_3) | instskip(NEXT) | instid1(VALU_DEP_4)
	v_add_co_u32 v35, vcc_lo, s2, v35
	v_add_co_ci_u32_e32 v36, vcc_lo, s3, v36, vcc_lo
	s_delay_alu instid0(VALU_DEP_4)
	v_add_co_u32 v37, vcc_lo, s2, v37
	v_add_co_ci_u32_e32 v38, vcc_lo, s3, v38, vcc_lo
	global_load_b64 v[72:73], v[35:36], off
	s_waitcnt vmcnt(12)
	scratch_store_b128 off, v[39:42], off offset:32
	v_lshlrev_b64 v[41:42], 3, v[76:77]
	v_add_co_u32 v39, vcc_lo, s2, v43
	v_add_co_ci_u32_e32 v40, vcc_lo, s3, v44, vcc_lo
	v_lshlrev_b64 v[43:44], 3, v[78:79]
	s_delay_alu instid0(VALU_DEP_4)
	v_add_co_u32 v41, vcc_lo, s2, v41
	v_add_co_ci_u32_e32 v42, vcc_lo, s3, v42, vcc_lo
	s_waitcnt vmcnt(10)
	scratch_store_b128 off, v[45:48], off offset:48
	s_waitcnt vmcnt(8)
	scratch_store_b128 off, v[49:52], off offset:64
	v_add_co_u32 v43, vcc_lo, s2, v43
	v_add_co_ci_u32_e32 v44, vcc_lo, s3, v44, vcc_lo
	v_add_co_u32 v45, vcc_lo, s2, v61
	v_lshlrev_b64 v[49:50], 3, v[84:85]
	v_add_co_ci_u32_e32 v46, vcc_lo, s3, v62, vcc_lo
	v_add_co_u32 v47, vcc_lo, s2, v64
	v_lshlrev_b64 v[51:52], 3, v[86:87]
	;; [unrolled: 3-line block ×4, first 2 shown]
	v_add_co_ci_u32_e32 v52, vcc_lo, s3, v52, vcc_lo
	s_clause 0x3
	global_load_b64 v[74:75], v[37:38], off
	global_load_b64 v[76:77], v[39:40], off
	;; [unrolled: 1-line block ×4, first 2 shown]
	s_waitcnt vmcnt(9)
	scratch_store_b128 off, v[53:56], off offset:80
	s_waitcnt vmcnt(7)
	scratch_store_b128 off, v[57:60], off offset:96
	v_add_co_u32 v55, vcc_lo, s2, v61
	v_lshlrev_b64 v[53:54], 3, v[92:93]
	v_add_co_ci_u32_e32 v56, vcc_lo, s3, v62, vcc_lo
	v_add_co_u32 v57, vcc_lo, s2, v64
	v_lshlrev_b64 v[61:62], 3, v[94:95]
	v_add_co_ci_u32_e32 v58, vcc_lo, s3, v65, vcc_lo
	v_add_co_u32 v59, vcc_lo, s2, v53
	v_add_co_ci_u32_e32 v60, vcc_lo, s3, v54, vcc_lo
	s_delay_alu instid0(VALU_DEP_4)
	v_add_co_u32 v53, vcc_lo, s2, v61
	v_add_co_ci_u32_e32 v54, vcc_lo, s3, v62, vcc_lo
	s_clause 0x3
	global_load_b64 v[82:83], v[45:46], off
	global_load_b64 v[84:85], v[47:48], off
	;; [unrolled: 1-line block ×4, first 2 shown]
	s_waitcnt vmcnt(9)
	scratch_store_b128 off, v[68:71], off offset:112
	s_clause 0x3
	global_load_b64 v[90:91], v[55:56], off
	global_load_b64 v[68:69], v[57:58], off
	;; [unrolled: 1-line block ×4, first 2 shown]
	v_mov_b32_e32 v61, 0
	v_mov_b32_e32 v62, 0xbff00000
	s_cselect_b32 s2, -1, 0
	s_cmpk_eq_i32 s1, 0x84
	s_waitcnt vmcnt(11)
	scratch_store_b128 off, v[72:75], off offset:128
	s_waitcnt vmcnt(9)
	scratch_store_b128 off, v[76:79], off offset:144
	;; [unrolled: 2-line block ×7, first 2 shown]
	s_cbranch_scc1 .LBB29_3
; %bb.2:
	scratch_load_b64 v[61:62], v63, off
	s_waitcnt vmcnt(0)
	v_div_scale_f64 v[64:65], null, v[61:62], v[61:62], 1.0
	v_div_scale_f64 v[70:71], vcc_lo, 1.0, v[61:62], 1.0
	s_delay_alu instid0(VALU_DEP_2) | instskip(SKIP_2) | instid1(VALU_DEP_1)
	v_rcp_f64_e32 v[66:67], v[64:65]
	s_waitcnt_depctr 0xfff
	v_fma_f64 v[68:69], -v[64:65], v[66:67], 1.0
	v_fma_f64 v[66:67], v[66:67], v[68:69], v[66:67]
	s_delay_alu instid0(VALU_DEP_1) | instskip(NEXT) | instid1(VALU_DEP_1)
	v_fma_f64 v[68:69], -v[64:65], v[66:67], 1.0
	v_fma_f64 v[66:67], v[66:67], v[68:69], v[66:67]
	s_delay_alu instid0(VALU_DEP_1) | instskip(NEXT) | instid1(VALU_DEP_1)
	v_mul_f64 v[68:69], v[70:71], v[66:67]
	v_fma_f64 v[64:65], -v[64:65], v[68:69], v[70:71]
	s_delay_alu instid0(VALU_DEP_1) | instskip(NEXT) | instid1(VALU_DEP_1)
	v_div_fmas_f64 v[64:65], v[64:65], v[66:67], v[68:69]
	v_div_fixup_f64 v[61:62], v[64:65], v[61:62], 1.0
	scratch_store_b64 v63, v[61:62], off
	v_xor_b32_e32 v62, 0x80000000, v62
.LBB29_3:
	v_add_nc_u32_e32 v64, 0xf0, v63
	v_add_nc_u32_e32 v65, 0, v63
	s_cmpk_eq_i32 s0, 0x79
	s_mov_b32 s0, -1
	ds_store_b64 v63, v[61:62]
	s_cbranch_scc1 .LBB29_289
; %bb.4:
	scratch_load_b64 v[61:62], off, off offset:224
	v_cmp_eq_u32_e64 s0, 29, v0
	s_movk_i32 s1, 0x50
	s_movk_i32 s3, 0x60
	s_movk_i32 s4, 0x70
	s_movk_i32 s5, 0x80
	s_movk_i32 s6, 0x90
	s_movk_i32 s7, 0xa0
	s_movk_i32 s8, 0xb0
	s_movk_i32 s9, 0xc0
	s_movk_i32 s10, 0xd0
	s_waitcnt vmcnt(0)
	ds_store_b64 v64, v[61:62]
	s_waitcnt lgkmcnt(0)
	s_waitcnt_vscnt null, 0x0
	s_barrier
	buffer_gl0_inv
	s_and_saveexec_b32 s11, s0
	s_cbranch_execz .LBB29_10
; %bb.5:
	s_and_b32 vcc_lo, exec_lo, s2
	s_cbranch_vccz .LBB29_7
; %bb.6:
	scratch_load_b64 v[61:62], v65, off
	ds_load_b64 v[66:67], v64
	s_waitcnt vmcnt(0) lgkmcnt(0)
	v_mul_f64 v[61:62], v[61:62], v[66:67]
	s_cbranch_execz .LBB29_8
	s_branch .LBB29_9
.LBB29_7:
                                        ; implicit-def: $vgpr61_vgpr62
.LBB29_8:
	ds_load_b64 v[61:62], v64
.LBB29_9:
	v_mov_b32_e32 v66, 0
	ds_load_b64 v[66:67], v66 offset:224
	s_waitcnt lgkmcnt(0)
	v_mul_f64 v[61:62], v[61:62], v[66:67]
	scratch_store_b64 off, v[61:62], off offset:224
.LBB29_10:
	s_or_b32 exec_lo, exec_lo, s11
	scratch_load_b64 v[61:62], off, off offset:216
	v_add_nc_u32_e64 v66, 0, 16
	v_add_nc_u32_e64 v67, 0, 32
	;; [unrolled: 1-line block ×13, first 2 shown]
	v_cmp_lt_u32_e64 s1, 27, v0
	s_waitcnt vmcnt(0)
	ds_store_b64 v64, v[61:62]
	s_waitcnt lgkmcnt(0)
	s_waitcnt_vscnt null, 0x0
	s_barrier
	buffer_gl0_inv
	s_and_saveexec_b32 s3, s1
	s_cbranch_execz .LBB29_18
; %bb.11:
	s_and_not1_b32 vcc_lo, exec_lo, s2
	s_cbranch_vccnz .LBB29_13
; %bb.12:
	scratch_load_b64 v[61:62], v65, off
	ds_load_b64 v[79:80], v64
	s_waitcnt vmcnt(0) lgkmcnt(0)
	v_mul_f64 v[61:62], v[61:62], v[79:80]
	s_cbranch_execz .LBB29_14
	s_branch .LBB29_15
.LBB29_13:
                                        ; implicit-def: $vgpr61_vgpr62
.LBB29_14:
	ds_load_b64 v[61:62], v64
.LBB29_15:
	s_and_saveexec_b32 s4, s0
	s_cbranch_execz .LBB29_17
; %bb.16:
	scratch_load_b64 v[79:80], off, off offset:224
	v_mov_b32_e32 v81, 0
	ds_load_b64 v[81:82], v81 offset:464
	s_waitcnt vmcnt(0) lgkmcnt(0)
	v_fma_f64 v[61:62], v[79:80], v[81:82], v[61:62]
.LBB29_17:
	s_or_b32 exec_lo, exec_lo, s4
	v_mov_b32_e32 v79, 0
	ds_load_b64 v[79:80], v79 offset:216
	s_waitcnt lgkmcnt(0)
	v_mul_f64 v[61:62], v[61:62], v[79:80]
	scratch_store_b64 off, v[61:62], off offset:216
.LBB29_18:
	s_or_b32 exec_lo, exec_lo, s3
	scratch_load_b64 v[61:62], off, off offset:208
	v_cmp_lt_u32_e64 s0, 26, v0
	s_waitcnt vmcnt(0)
	ds_store_b64 v64, v[61:62]
	s_waitcnt lgkmcnt(0)
	s_waitcnt_vscnt null, 0x0
	s_barrier
	buffer_gl0_inv
	s_and_saveexec_b32 s3, s0
	s_cbranch_execz .LBB29_28
; %bb.19:
	s_and_not1_b32 vcc_lo, exec_lo, s2
	s_cbranch_vccnz .LBB29_21
; %bb.20:
	scratch_load_b64 v[61:62], v65, off
	ds_load_b64 v[79:80], v64
	s_waitcnt vmcnt(0) lgkmcnt(0)
	v_mul_f64 v[61:62], v[61:62], v[79:80]
	s_cbranch_execz .LBB29_22
	s_branch .LBB29_23
.LBB29_21:
                                        ; implicit-def: $vgpr61_vgpr62
.LBB29_22:
	ds_load_b64 v[61:62], v64
.LBB29_23:
	s_and_saveexec_b32 s4, s1
	s_cbranch_execz .LBB29_27
; %bb.24:
	v_mov_b32_e32 v79, 0
	v_subrev_nc_u32_e32 v80, 27, v0
	s_movk_i32 s5, 0x1c8
	s_mov_b32 s1, 0
	s_delay_alu instid0(VALU_DEP_2)
	v_add_nc_u32_e32 v79, 0xd8, v79
.LBB29_25:                              ; =>This Inner Loop Header: Depth=1
	scratch_load_b64 v[81:82], v79, off
	v_dual_mov_b32 v83, s5 :: v_dual_add_nc_u32 v80, -1, v80
	v_add_nc_u32_e32 v79, 8, v79
	s_add_i32 s5, s5, 8
	ds_load_b64 v[83:84], v83
	v_cmp_eq_u32_e32 vcc_lo, 0, v80
	s_or_b32 s1, vcc_lo, s1
	s_waitcnt vmcnt(0) lgkmcnt(0)
	v_fma_f64 v[61:62], v[81:82], v[83:84], v[61:62]
	s_and_not1_b32 exec_lo, exec_lo, s1
	s_cbranch_execnz .LBB29_25
; %bb.26:
	s_or_b32 exec_lo, exec_lo, s1
.LBB29_27:
	s_delay_alu instid0(SALU_CYCLE_1)
	s_or_b32 exec_lo, exec_lo, s4
	v_mov_b32_e32 v79, 0
	ds_load_b64 v[79:80], v79 offset:208
	s_waitcnt lgkmcnt(0)
	v_mul_f64 v[61:62], v[61:62], v[79:80]
	scratch_store_b64 off, v[61:62], off offset:208
.LBB29_28:
	s_or_b32 exec_lo, exec_lo, s3
	scratch_load_b64 v[61:62], off, off offset:200
	v_cmp_lt_u32_e64 s1, 25, v0
	s_waitcnt vmcnt(0)
	ds_store_b64 v64, v[61:62]
	s_waitcnt lgkmcnt(0)
	s_waitcnt_vscnt null, 0x0
	s_barrier
	buffer_gl0_inv
	s_and_saveexec_b32 s3, s1
	s_cbranch_execz .LBB29_38
; %bb.29:
	s_and_not1_b32 vcc_lo, exec_lo, s2
	s_cbranch_vccnz .LBB29_31
; %bb.30:
	scratch_load_b64 v[61:62], v65, off
	ds_load_b64 v[79:80], v64
	s_waitcnt vmcnt(0) lgkmcnt(0)
	v_mul_f64 v[61:62], v[61:62], v[79:80]
	s_cbranch_execz .LBB29_32
	s_branch .LBB29_33
.LBB29_31:
                                        ; implicit-def: $vgpr61_vgpr62
.LBB29_32:
	ds_load_b64 v[61:62], v64
.LBB29_33:
	s_and_saveexec_b32 s4, s0
	s_cbranch_execz .LBB29_37
; %bb.34:
	v_subrev_nc_u32_e32 v79, 26, v0
	s_movk_i32 s5, 0x1c0
	s_mov_b32 s0, 0
.LBB29_35:                              ; =>This Inner Loop Header: Depth=1
	scratch_load_b64 v[80:81], v78, off
	v_dual_mov_b32 v82, s5 :: v_dual_add_nc_u32 v79, -1, v79
	v_add_nc_u32_e32 v78, 8, v78
	s_add_i32 s5, s5, 8
	ds_load_b64 v[82:83], v82
	v_cmp_eq_u32_e32 vcc_lo, 0, v79
	s_or_b32 s0, vcc_lo, s0
	s_waitcnt vmcnt(0) lgkmcnt(0)
	v_fma_f64 v[61:62], v[80:81], v[82:83], v[61:62]
	s_and_not1_b32 exec_lo, exec_lo, s0
	s_cbranch_execnz .LBB29_35
; %bb.36:
	s_or_b32 exec_lo, exec_lo, s0
.LBB29_37:
	s_delay_alu instid0(SALU_CYCLE_1)
	s_or_b32 exec_lo, exec_lo, s4
	v_mov_b32_e32 v78, 0
	ds_load_b64 v[78:79], v78 offset:200
	s_waitcnt lgkmcnt(0)
	v_mul_f64 v[61:62], v[61:62], v[78:79]
	scratch_store_b64 off, v[61:62], off offset:200
.LBB29_38:
	s_or_b32 exec_lo, exec_lo, s3
	scratch_load_b64 v[61:62], off, off offset:192
	v_cmp_lt_u32_e64 s0, 24, v0
	s_waitcnt vmcnt(0)
	ds_store_b64 v64, v[61:62]
	s_waitcnt lgkmcnt(0)
	s_waitcnt_vscnt null, 0x0
	s_barrier
	buffer_gl0_inv
	s_and_saveexec_b32 s3, s0
	s_cbranch_execz .LBB29_48
; %bb.39:
	s_and_not1_b32 vcc_lo, exec_lo, s2
	s_cbranch_vccnz .LBB29_41
; %bb.40:
	scratch_load_b64 v[61:62], v65, off
	ds_load_b64 v[78:79], v64
	s_waitcnt vmcnt(0) lgkmcnt(0)
	v_mul_f64 v[61:62], v[61:62], v[78:79]
	s_cbranch_execz .LBB29_42
	s_branch .LBB29_43
.LBB29_41:
                                        ; implicit-def: $vgpr61_vgpr62
.LBB29_42:
	ds_load_b64 v[61:62], v64
.LBB29_43:
	s_and_saveexec_b32 s4, s1
	s_cbranch_execz .LBB29_47
; %bb.44:
	v_mov_b32_e32 v78, 0
	v_subrev_nc_u32_e32 v79, 25, v0
	s_movk_i32 s5, 0x1b8
	s_mov_b32 s1, 0
	s_delay_alu instid0(VALU_DEP_2)
	v_add_nc_u32_e32 v78, 0xc8, v78
.LBB29_45:                              ; =>This Inner Loop Header: Depth=1
	scratch_load_b64 v[80:81], v78, off
	v_dual_mov_b32 v82, s5 :: v_dual_add_nc_u32 v79, -1, v79
	v_add_nc_u32_e32 v78, 8, v78
	s_add_i32 s5, s5, 8
	ds_load_b64 v[82:83], v82
	v_cmp_eq_u32_e32 vcc_lo, 0, v79
	s_or_b32 s1, vcc_lo, s1
	s_waitcnt vmcnt(0) lgkmcnt(0)
	v_fma_f64 v[61:62], v[80:81], v[82:83], v[61:62]
	s_and_not1_b32 exec_lo, exec_lo, s1
	s_cbranch_execnz .LBB29_45
; %bb.46:
	s_or_b32 exec_lo, exec_lo, s1
.LBB29_47:
	s_delay_alu instid0(SALU_CYCLE_1)
	s_or_b32 exec_lo, exec_lo, s4
	v_mov_b32_e32 v78, 0
	ds_load_b64 v[78:79], v78 offset:192
	s_waitcnt lgkmcnt(0)
	v_mul_f64 v[61:62], v[61:62], v[78:79]
	scratch_store_b64 off, v[61:62], off offset:192
.LBB29_48:
	s_or_b32 exec_lo, exec_lo, s3
	scratch_load_b64 v[61:62], off, off offset:184
	v_cmp_lt_u32_e64 s1, 23, v0
	s_waitcnt vmcnt(0)
	ds_store_b64 v64, v[61:62]
	s_waitcnt lgkmcnt(0)
	s_waitcnt_vscnt null, 0x0
	s_barrier
	buffer_gl0_inv
	s_and_saveexec_b32 s3, s1
	s_cbranch_execz .LBB29_58
; %bb.49:
	s_and_not1_b32 vcc_lo, exec_lo, s2
	s_cbranch_vccnz .LBB29_51
; %bb.50:
	scratch_load_b64 v[61:62], v65, off
	ds_load_b64 v[78:79], v64
	s_waitcnt vmcnt(0) lgkmcnt(0)
	v_mul_f64 v[61:62], v[61:62], v[78:79]
	s_cbranch_execz .LBB29_52
	s_branch .LBB29_53
.LBB29_51:
                                        ; implicit-def: $vgpr61_vgpr62
.LBB29_52:
	ds_load_b64 v[61:62], v64
.LBB29_53:
	s_and_saveexec_b32 s4, s0
	s_cbranch_execz .LBB29_57
; %bb.54:
	v_subrev_nc_u32_e32 v78, 24, v0
	s_movk_i32 s5, 0x1b0
	s_mov_b32 s0, 0
.LBB29_55:                              ; =>This Inner Loop Header: Depth=1
	scratch_load_b64 v[79:80], v77, off
	v_dual_mov_b32 v81, s5 :: v_dual_add_nc_u32 v78, -1, v78
	v_add_nc_u32_e32 v77, 8, v77
	s_add_i32 s5, s5, 8
	ds_load_b64 v[81:82], v81
	v_cmp_eq_u32_e32 vcc_lo, 0, v78
	s_or_b32 s0, vcc_lo, s0
	s_waitcnt vmcnt(0) lgkmcnt(0)
	v_fma_f64 v[61:62], v[79:80], v[81:82], v[61:62]
	s_and_not1_b32 exec_lo, exec_lo, s0
	s_cbranch_execnz .LBB29_55
; %bb.56:
	s_or_b32 exec_lo, exec_lo, s0
.LBB29_57:
	s_delay_alu instid0(SALU_CYCLE_1)
	s_or_b32 exec_lo, exec_lo, s4
	v_mov_b32_e32 v77, 0
	ds_load_b64 v[77:78], v77 offset:184
	s_waitcnt lgkmcnt(0)
	v_mul_f64 v[61:62], v[61:62], v[77:78]
	scratch_store_b64 off, v[61:62], off offset:184
.LBB29_58:
	s_or_b32 exec_lo, exec_lo, s3
	scratch_load_b64 v[61:62], off, off offset:176
	v_cmp_lt_u32_e64 s0, 22, v0
	s_waitcnt vmcnt(0)
	ds_store_b64 v64, v[61:62]
	s_waitcnt lgkmcnt(0)
	s_waitcnt_vscnt null, 0x0
	s_barrier
	buffer_gl0_inv
	s_and_saveexec_b32 s3, s0
	s_cbranch_execz .LBB29_68
; %bb.59:
	s_and_not1_b32 vcc_lo, exec_lo, s2
	s_cbranch_vccnz .LBB29_61
; %bb.60:
	scratch_load_b64 v[61:62], v65, off
	ds_load_b64 v[77:78], v64
	s_waitcnt vmcnt(0) lgkmcnt(0)
	v_mul_f64 v[61:62], v[61:62], v[77:78]
	s_cbranch_execz .LBB29_62
	s_branch .LBB29_63
.LBB29_61:
                                        ; implicit-def: $vgpr61_vgpr62
.LBB29_62:
	ds_load_b64 v[61:62], v64
.LBB29_63:
	s_and_saveexec_b32 s4, s1
	s_cbranch_execz .LBB29_67
; %bb.64:
	v_mov_b32_e32 v77, 0
	v_subrev_nc_u32_e32 v78, 23, v0
	s_movk_i32 s5, 0x1a8
	s_mov_b32 s1, 0
	s_delay_alu instid0(VALU_DEP_2)
	v_add_nc_u32_e32 v77, 0xb8, v77
.LBB29_65:                              ; =>This Inner Loop Header: Depth=1
	scratch_load_b64 v[79:80], v77, off
	v_dual_mov_b32 v81, s5 :: v_dual_add_nc_u32 v78, -1, v78
	v_add_nc_u32_e32 v77, 8, v77
	s_add_i32 s5, s5, 8
	ds_load_b64 v[81:82], v81
	v_cmp_eq_u32_e32 vcc_lo, 0, v78
	s_or_b32 s1, vcc_lo, s1
	s_waitcnt vmcnt(0) lgkmcnt(0)
	v_fma_f64 v[61:62], v[79:80], v[81:82], v[61:62]
	s_and_not1_b32 exec_lo, exec_lo, s1
	s_cbranch_execnz .LBB29_65
; %bb.66:
	s_or_b32 exec_lo, exec_lo, s1
.LBB29_67:
	s_delay_alu instid0(SALU_CYCLE_1)
	s_or_b32 exec_lo, exec_lo, s4
	v_mov_b32_e32 v77, 0
	ds_load_b64 v[77:78], v77 offset:176
	s_waitcnt lgkmcnt(0)
	v_mul_f64 v[61:62], v[61:62], v[77:78]
	scratch_store_b64 off, v[61:62], off offset:176
.LBB29_68:
	s_or_b32 exec_lo, exec_lo, s3
	scratch_load_b64 v[61:62], off, off offset:168
	v_cmp_lt_u32_e64 s1, 21, v0
	s_waitcnt vmcnt(0)
	ds_store_b64 v64, v[61:62]
	s_waitcnt lgkmcnt(0)
	s_waitcnt_vscnt null, 0x0
	s_barrier
	buffer_gl0_inv
	s_and_saveexec_b32 s3, s1
	s_cbranch_execz .LBB29_78
; %bb.69:
	s_and_not1_b32 vcc_lo, exec_lo, s2
	s_cbranch_vccnz .LBB29_71
; %bb.70:
	scratch_load_b64 v[61:62], v65, off
	ds_load_b64 v[77:78], v64
	s_waitcnt vmcnt(0) lgkmcnt(0)
	v_mul_f64 v[61:62], v[61:62], v[77:78]
	s_cbranch_execz .LBB29_72
	s_branch .LBB29_73
.LBB29_71:
                                        ; implicit-def: $vgpr61_vgpr62
.LBB29_72:
	ds_load_b64 v[61:62], v64
.LBB29_73:
	s_and_saveexec_b32 s4, s0
	s_cbranch_execz .LBB29_77
; %bb.74:
	v_subrev_nc_u32_e32 v77, 22, v0
	s_movk_i32 s5, 0x1a0
	s_mov_b32 s0, 0
.LBB29_75:                              ; =>This Inner Loop Header: Depth=1
	scratch_load_b64 v[78:79], v76, off
	v_dual_mov_b32 v80, s5 :: v_dual_add_nc_u32 v77, -1, v77
	v_add_nc_u32_e32 v76, 8, v76
	s_add_i32 s5, s5, 8
	ds_load_b64 v[80:81], v80
	v_cmp_eq_u32_e32 vcc_lo, 0, v77
	s_or_b32 s0, vcc_lo, s0
	s_waitcnt vmcnt(0) lgkmcnt(0)
	v_fma_f64 v[61:62], v[78:79], v[80:81], v[61:62]
	s_and_not1_b32 exec_lo, exec_lo, s0
	s_cbranch_execnz .LBB29_75
; %bb.76:
	s_or_b32 exec_lo, exec_lo, s0
.LBB29_77:
	s_delay_alu instid0(SALU_CYCLE_1)
	s_or_b32 exec_lo, exec_lo, s4
	v_mov_b32_e32 v76, 0
	ds_load_b64 v[76:77], v76 offset:168
	s_waitcnt lgkmcnt(0)
	v_mul_f64 v[61:62], v[61:62], v[76:77]
	scratch_store_b64 off, v[61:62], off offset:168
.LBB29_78:
	s_or_b32 exec_lo, exec_lo, s3
	scratch_load_b64 v[61:62], off, off offset:160
	v_cmp_lt_u32_e64 s0, 20, v0
	s_waitcnt vmcnt(0)
	ds_store_b64 v64, v[61:62]
	s_waitcnt lgkmcnt(0)
	s_waitcnt_vscnt null, 0x0
	s_barrier
	buffer_gl0_inv
	s_and_saveexec_b32 s3, s0
	s_cbranch_execz .LBB29_88
; %bb.79:
	s_and_not1_b32 vcc_lo, exec_lo, s2
	s_cbranch_vccnz .LBB29_81
; %bb.80:
	scratch_load_b64 v[61:62], v65, off
	ds_load_b64 v[76:77], v64
	s_waitcnt vmcnt(0) lgkmcnt(0)
	v_mul_f64 v[61:62], v[61:62], v[76:77]
	s_cbranch_execz .LBB29_82
	s_branch .LBB29_83
.LBB29_81:
                                        ; implicit-def: $vgpr61_vgpr62
.LBB29_82:
	ds_load_b64 v[61:62], v64
.LBB29_83:
	s_and_saveexec_b32 s4, s1
	s_cbranch_execz .LBB29_87
; %bb.84:
	v_mov_b32_e32 v76, 0
	v_subrev_nc_u32_e32 v77, 21, v0
	s_movk_i32 s5, 0x198
	s_mov_b32 s1, 0
	s_delay_alu instid0(VALU_DEP_2)
	v_add_nc_u32_e32 v76, 0xa8, v76
.LBB29_85:                              ; =>This Inner Loop Header: Depth=1
	scratch_load_b64 v[78:79], v76, off
	v_dual_mov_b32 v80, s5 :: v_dual_add_nc_u32 v77, -1, v77
	v_add_nc_u32_e32 v76, 8, v76
	s_add_i32 s5, s5, 8
	ds_load_b64 v[80:81], v80
	v_cmp_eq_u32_e32 vcc_lo, 0, v77
	s_or_b32 s1, vcc_lo, s1
	s_waitcnt vmcnt(0) lgkmcnt(0)
	v_fma_f64 v[61:62], v[78:79], v[80:81], v[61:62]
	s_and_not1_b32 exec_lo, exec_lo, s1
	s_cbranch_execnz .LBB29_85
; %bb.86:
	s_or_b32 exec_lo, exec_lo, s1
.LBB29_87:
	s_delay_alu instid0(SALU_CYCLE_1)
	s_or_b32 exec_lo, exec_lo, s4
	v_mov_b32_e32 v76, 0
	ds_load_b64 v[76:77], v76 offset:160
	s_waitcnt lgkmcnt(0)
	v_mul_f64 v[61:62], v[61:62], v[76:77]
	scratch_store_b64 off, v[61:62], off offset:160
.LBB29_88:
	s_or_b32 exec_lo, exec_lo, s3
	scratch_load_b64 v[61:62], off, off offset:152
	v_cmp_lt_u32_e64 s1, 19, v0
	s_waitcnt vmcnt(0)
	ds_store_b64 v64, v[61:62]
	s_waitcnt lgkmcnt(0)
	s_waitcnt_vscnt null, 0x0
	s_barrier
	buffer_gl0_inv
	s_and_saveexec_b32 s3, s1
	s_cbranch_execz .LBB29_98
; %bb.89:
	s_and_not1_b32 vcc_lo, exec_lo, s2
	s_cbranch_vccnz .LBB29_91
; %bb.90:
	scratch_load_b64 v[61:62], v65, off
	ds_load_b64 v[76:77], v64
	s_waitcnt vmcnt(0) lgkmcnt(0)
	v_mul_f64 v[61:62], v[61:62], v[76:77]
	s_cbranch_execz .LBB29_92
	s_branch .LBB29_93
.LBB29_91:
                                        ; implicit-def: $vgpr61_vgpr62
.LBB29_92:
	ds_load_b64 v[61:62], v64
.LBB29_93:
	s_and_saveexec_b32 s4, s0
	s_cbranch_execz .LBB29_97
; %bb.94:
	v_subrev_nc_u32_e32 v76, 20, v0
	s_movk_i32 s5, 0x190
	s_mov_b32 s0, 0
.LBB29_95:                              ; =>This Inner Loop Header: Depth=1
	scratch_load_b64 v[77:78], v75, off
	v_dual_mov_b32 v79, s5 :: v_dual_add_nc_u32 v76, -1, v76
	v_add_nc_u32_e32 v75, 8, v75
	s_add_i32 s5, s5, 8
	ds_load_b64 v[79:80], v79
	v_cmp_eq_u32_e32 vcc_lo, 0, v76
	s_or_b32 s0, vcc_lo, s0
	s_waitcnt vmcnt(0) lgkmcnt(0)
	v_fma_f64 v[61:62], v[77:78], v[79:80], v[61:62]
	s_and_not1_b32 exec_lo, exec_lo, s0
	s_cbranch_execnz .LBB29_95
; %bb.96:
	s_or_b32 exec_lo, exec_lo, s0
.LBB29_97:
	s_delay_alu instid0(SALU_CYCLE_1)
	s_or_b32 exec_lo, exec_lo, s4
	v_mov_b32_e32 v75, 0
	ds_load_b64 v[75:76], v75 offset:152
	s_waitcnt lgkmcnt(0)
	v_mul_f64 v[61:62], v[61:62], v[75:76]
	scratch_store_b64 off, v[61:62], off offset:152
.LBB29_98:
	s_or_b32 exec_lo, exec_lo, s3
	scratch_load_b64 v[61:62], off, off offset:144
	v_cmp_lt_u32_e64 s0, 18, v0
	s_waitcnt vmcnt(0)
	ds_store_b64 v64, v[61:62]
	s_waitcnt lgkmcnt(0)
	s_waitcnt_vscnt null, 0x0
	s_barrier
	buffer_gl0_inv
	s_and_saveexec_b32 s3, s0
	s_cbranch_execz .LBB29_108
; %bb.99:
	s_and_not1_b32 vcc_lo, exec_lo, s2
	s_cbranch_vccnz .LBB29_101
; %bb.100:
	scratch_load_b64 v[61:62], v65, off
	ds_load_b64 v[75:76], v64
	s_waitcnt vmcnt(0) lgkmcnt(0)
	v_mul_f64 v[61:62], v[61:62], v[75:76]
	s_cbranch_execz .LBB29_102
	s_branch .LBB29_103
.LBB29_101:
                                        ; implicit-def: $vgpr61_vgpr62
.LBB29_102:
	ds_load_b64 v[61:62], v64
.LBB29_103:
	s_and_saveexec_b32 s4, s1
	s_cbranch_execz .LBB29_107
; %bb.104:
	v_mov_b32_e32 v75, 0
	v_subrev_nc_u32_e32 v76, 19, v0
	s_movk_i32 s5, 0x188
	s_mov_b32 s1, 0
	s_delay_alu instid0(VALU_DEP_2)
	v_add_nc_u32_e32 v75, 0x98, v75
.LBB29_105:                             ; =>This Inner Loop Header: Depth=1
	scratch_load_b64 v[77:78], v75, off
	v_dual_mov_b32 v79, s5 :: v_dual_add_nc_u32 v76, -1, v76
	v_add_nc_u32_e32 v75, 8, v75
	s_add_i32 s5, s5, 8
	ds_load_b64 v[79:80], v79
	v_cmp_eq_u32_e32 vcc_lo, 0, v76
	s_or_b32 s1, vcc_lo, s1
	s_waitcnt vmcnt(0) lgkmcnt(0)
	v_fma_f64 v[61:62], v[77:78], v[79:80], v[61:62]
	s_and_not1_b32 exec_lo, exec_lo, s1
	s_cbranch_execnz .LBB29_105
; %bb.106:
	s_or_b32 exec_lo, exec_lo, s1
.LBB29_107:
	s_delay_alu instid0(SALU_CYCLE_1)
	s_or_b32 exec_lo, exec_lo, s4
	v_mov_b32_e32 v75, 0
	ds_load_b64 v[75:76], v75 offset:144
	s_waitcnt lgkmcnt(0)
	v_mul_f64 v[61:62], v[61:62], v[75:76]
	scratch_store_b64 off, v[61:62], off offset:144
.LBB29_108:
	s_or_b32 exec_lo, exec_lo, s3
	scratch_load_b64 v[61:62], off, off offset:136
	v_cmp_lt_u32_e64 s1, 17, v0
	s_waitcnt vmcnt(0)
	ds_store_b64 v64, v[61:62]
	s_waitcnt lgkmcnt(0)
	s_waitcnt_vscnt null, 0x0
	s_barrier
	buffer_gl0_inv
	s_and_saveexec_b32 s3, s1
	s_cbranch_execz .LBB29_118
; %bb.109:
	s_and_not1_b32 vcc_lo, exec_lo, s2
	s_cbranch_vccnz .LBB29_111
; %bb.110:
	scratch_load_b64 v[61:62], v65, off
	ds_load_b64 v[75:76], v64
	s_waitcnt vmcnt(0) lgkmcnt(0)
	v_mul_f64 v[61:62], v[61:62], v[75:76]
	s_cbranch_execz .LBB29_112
	s_branch .LBB29_113
.LBB29_111:
                                        ; implicit-def: $vgpr61_vgpr62
.LBB29_112:
	ds_load_b64 v[61:62], v64
.LBB29_113:
	s_and_saveexec_b32 s4, s0
	s_cbranch_execz .LBB29_117
; %bb.114:
	v_subrev_nc_u32_e32 v75, 18, v0
	s_movk_i32 s5, 0x180
	s_mov_b32 s0, 0
.LBB29_115:                             ; =>This Inner Loop Header: Depth=1
	scratch_load_b64 v[76:77], v74, off
	v_dual_mov_b32 v78, s5 :: v_dual_add_nc_u32 v75, -1, v75
	v_add_nc_u32_e32 v74, 8, v74
	s_add_i32 s5, s5, 8
	ds_load_b64 v[78:79], v78
	v_cmp_eq_u32_e32 vcc_lo, 0, v75
	s_or_b32 s0, vcc_lo, s0
	s_waitcnt vmcnt(0) lgkmcnt(0)
	v_fma_f64 v[61:62], v[76:77], v[78:79], v[61:62]
	s_and_not1_b32 exec_lo, exec_lo, s0
	s_cbranch_execnz .LBB29_115
; %bb.116:
	s_or_b32 exec_lo, exec_lo, s0
.LBB29_117:
	s_delay_alu instid0(SALU_CYCLE_1)
	s_or_b32 exec_lo, exec_lo, s4
	v_mov_b32_e32 v74, 0
	ds_load_b64 v[74:75], v74 offset:136
	s_waitcnt lgkmcnt(0)
	v_mul_f64 v[61:62], v[61:62], v[74:75]
	scratch_store_b64 off, v[61:62], off offset:136
.LBB29_118:
	s_or_b32 exec_lo, exec_lo, s3
	scratch_load_b64 v[61:62], off, off offset:128
	v_cmp_lt_u32_e64 s0, 16, v0
	s_waitcnt vmcnt(0)
	ds_store_b64 v64, v[61:62]
	s_waitcnt lgkmcnt(0)
	s_waitcnt_vscnt null, 0x0
	s_barrier
	buffer_gl0_inv
	s_and_saveexec_b32 s3, s0
	s_cbranch_execz .LBB29_128
; %bb.119:
	s_and_not1_b32 vcc_lo, exec_lo, s2
	s_cbranch_vccnz .LBB29_121
; %bb.120:
	scratch_load_b64 v[61:62], v65, off
	ds_load_b64 v[74:75], v64
	s_waitcnt vmcnt(0) lgkmcnt(0)
	v_mul_f64 v[61:62], v[61:62], v[74:75]
	s_cbranch_execz .LBB29_122
	s_branch .LBB29_123
.LBB29_121:
                                        ; implicit-def: $vgpr61_vgpr62
.LBB29_122:
	ds_load_b64 v[61:62], v64
.LBB29_123:
	s_and_saveexec_b32 s4, s1
	s_cbranch_execz .LBB29_127
; %bb.124:
	v_mov_b32_e32 v74, 0
	v_subrev_nc_u32_e32 v75, 17, v0
	s_movk_i32 s5, 0x178
	s_mov_b32 s1, 0
	s_delay_alu instid0(VALU_DEP_2)
	v_add_nc_u32_e32 v74, 0x88, v74
.LBB29_125:                             ; =>This Inner Loop Header: Depth=1
	scratch_load_b64 v[76:77], v74, off
	v_dual_mov_b32 v78, s5 :: v_dual_add_nc_u32 v75, -1, v75
	v_add_nc_u32_e32 v74, 8, v74
	s_add_i32 s5, s5, 8
	ds_load_b64 v[78:79], v78
	v_cmp_eq_u32_e32 vcc_lo, 0, v75
	s_or_b32 s1, vcc_lo, s1
	s_waitcnt vmcnt(0) lgkmcnt(0)
	v_fma_f64 v[61:62], v[76:77], v[78:79], v[61:62]
	s_and_not1_b32 exec_lo, exec_lo, s1
	s_cbranch_execnz .LBB29_125
; %bb.126:
	s_or_b32 exec_lo, exec_lo, s1
.LBB29_127:
	s_delay_alu instid0(SALU_CYCLE_1)
	s_or_b32 exec_lo, exec_lo, s4
	v_mov_b32_e32 v74, 0
	ds_load_b64 v[74:75], v74 offset:128
	s_waitcnt lgkmcnt(0)
	v_mul_f64 v[61:62], v[61:62], v[74:75]
	scratch_store_b64 off, v[61:62], off offset:128
.LBB29_128:
	s_or_b32 exec_lo, exec_lo, s3
	scratch_load_b64 v[61:62], off, off offset:120
	v_cmp_lt_u32_e64 s1, 15, v0
	s_waitcnt vmcnt(0)
	ds_store_b64 v64, v[61:62]
	s_waitcnt lgkmcnt(0)
	s_waitcnt_vscnt null, 0x0
	s_barrier
	buffer_gl0_inv
	s_and_saveexec_b32 s3, s1
	s_cbranch_execz .LBB29_138
; %bb.129:
	s_and_not1_b32 vcc_lo, exec_lo, s2
	s_cbranch_vccnz .LBB29_131
; %bb.130:
	scratch_load_b64 v[61:62], v65, off
	ds_load_b64 v[74:75], v64
	s_waitcnt vmcnt(0) lgkmcnt(0)
	v_mul_f64 v[61:62], v[61:62], v[74:75]
	s_cbranch_execz .LBB29_132
	s_branch .LBB29_133
.LBB29_131:
                                        ; implicit-def: $vgpr61_vgpr62
.LBB29_132:
	ds_load_b64 v[61:62], v64
.LBB29_133:
	s_and_saveexec_b32 s4, s0
	s_cbranch_execz .LBB29_137
; %bb.134:
	v_add_nc_u32_e32 v74, -16, v0
	s_movk_i32 s5, 0x170
	s_mov_b32 s0, 0
.LBB29_135:                             ; =>This Inner Loop Header: Depth=1
	scratch_load_b64 v[75:76], v73, off
	v_dual_mov_b32 v77, s5 :: v_dual_add_nc_u32 v74, -1, v74
	v_add_nc_u32_e32 v73, 8, v73
	s_add_i32 s5, s5, 8
	ds_load_b64 v[77:78], v77
	v_cmp_eq_u32_e32 vcc_lo, 0, v74
	s_or_b32 s0, vcc_lo, s0
	s_waitcnt vmcnt(0) lgkmcnt(0)
	v_fma_f64 v[61:62], v[75:76], v[77:78], v[61:62]
	s_and_not1_b32 exec_lo, exec_lo, s0
	s_cbranch_execnz .LBB29_135
; %bb.136:
	s_or_b32 exec_lo, exec_lo, s0
.LBB29_137:
	s_delay_alu instid0(SALU_CYCLE_1)
	s_or_b32 exec_lo, exec_lo, s4
	v_mov_b32_e32 v73, 0
	ds_load_b64 v[73:74], v73 offset:120
	s_waitcnt lgkmcnt(0)
	v_mul_f64 v[61:62], v[61:62], v[73:74]
	scratch_store_b64 off, v[61:62], off offset:120
.LBB29_138:
	s_or_b32 exec_lo, exec_lo, s3
	scratch_load_b64 v[61:62], off, off offset:112
	v_cmp_lt_u32_e64 s0, 14, v0
	s_waitcnt vmcnt(0)
	ds_store_b64 v64, v[61:62]
	s_waitcnt lgkmcnt(0)
	s_waitcnt_vscnt null, 0x0
	s_barrier
	buffer_gl0_inv
	s_and_saveexec_b32 s3, s0
	s_cbranch_execz .LBB29_148
; %bb.139:
	s_and_not1_b32 vcc_lo, exec_lo, s2
	s_cbranch_vccnz .LBB29_141
; %bb.140:
	scratch_load_b64 v[61:62], v65, off
	ds_load_b64 v[73:74], v64
	s_waitcnt vmcnt(0) lgkmcnt(0)
	v_mul_f64 v[61:62], v[61:62], v[73:74]
	s_cbranch_execz .LBB29_142
	s_branch .LBB29_143
.LBB29_141:
                                        ; implicit-def: $vgpr61_vgpr62
.LBB29_142:
	ds_load_b64 v[61:62], v64
.LBB29_143:
	s_and_saveexec_b32 s4, s1
	s_cbranch_execz .LBB29_147
; %bb.144:
	v_dual_mov_b32 v73, 0 :: v_dual_add_nc_u32 v74, -15, v0
	s_movk_i32 s5, 0x168
	s_mov_b32 s1, 0
	s_delay_alu instid0(VALU_DEP_1)
	v_add_nc_u32_e32 v73, 0x78, v73
.LBB29_145:                             ; =>This Inner Loop Header: Depth=1
	scratch_load_b64 v[75:76], v73, off
	v_dual_mov_b32 v77, s5 :: v_dual_add_nc_u32 v74, -1, v74
	v_add_nc_u32_e32 v73, 8, v73
	s_add_i32 s5, s5, 8
	ds_load_b64 v[77:78], v77
	v_cmp_eq_u32_e32 vcc_lo, 0, v74
	s_or_b32 s1, vcc_lo, s1
	s_waitcnt vmcnt(0) lgkmcnt(0)
	v_fma_f64 v[61:62], v[75:76], v[77:78], v[61:62]
	s_and_not1_b32 exec_lo, exec_lo, s1
	s_cbranch_execnz .LBB29_145
; %bb.146:
	s_or_b32 exec_lo, exec_lo, s1
.LBB29_147:
	s_delay_alu instid0(SALU_CYCLE_1)
	s_or_b32 exec_lo, exec_lo, s4
	v_mov_b32_e32 v73, 0
	ds_load_b64 v[73:74], v73 offset:112
	s_waitcnt lgkmcnt(0)
	v_mul_f64 v[61:62], v[61:62], v[73:74]
	scratch_store_b64 off, v[61:62], off offset:112
.LBB29_148:
	s_or_b32 exec_lo, exec_lo, s3
	scratch_load_b64 v[61:62], off, off offset:104
	v_cmp_lt_u32_e64 s1, 13, v0
	s_waitcnt vmcnt(0)
	ds_store_b64 v64, v[61:62]
	s_waitcnt lgkmcnt(0)
	s_waitcnt_vscnt null, 0x0
	s_barrier
	buffer_gl0_inv
	s_and_saveexec_b32 s3, s1
	s_cbranch_execz .LBB29_158
; %bb.149:
	s_and_not1_b32 vcc_lo, exec_lo, s2
	s_cbranch_vccnz .LBB29_151
; %bb.150:
	scratch_load_b64 v[61:62], v65, off
	ds_load_b64 v[73:74], v64
	s_waitcnt vmcnt(0) lgkmcnt(0)
	v_mul_f64 v[61:62], v[61:62], v[73:74]
	s_cbranch_execz .LBB29_152
	s_branch .LBB29_153
.LBB29_151:
                                        ; implicit-def: $vgpr61_vgpr62
.LBB29_152:
	ds_load_b64 v[61:62], v64
.LBB29_153:
	s_and_saveexec_b32 s4, s0
	s_cbranch_execz .LBB29_157
; %bb.154:
	v_add_nc_u32_e32 v73, -14, v0
	s_movk_i32 s5, 0x160
	s_mov_b32 s0, 0
.LBB29_155:                             ; =>This Inner Loop Header: Depth=1
	scratch_load_b64 v[74:75], v72, off
	v_dual_mov_b32 v76, s5 :: v_dual_add_nc_u32 v73, -1, v73
	v_add_nc_u32_e32 v72, 8, v72
	s_add_i32 s5, s5, 8
	ds_load_b64 v[76:77], v76
	v_cmp_eq_u32_e32 vcc_lo, 0, v73
	s_or_b32 s0, vcc_lo, s0
	s_waitcnt vmcnt(0) lgkmcnt(0)
	v_fma_f64 v[61:62], v[74:75], v[76:77], v[61:62]
	s_and_not1_b32 exec_lo, exec_lo, s0
	s_cbranch_execnz .LBB29_155
; %bb.156:
	s_or_b32 exec_lo, exec_lo, s0
.LBB29_157:
	s_delay_alu instid0(SALU_CYCLE_1)
	s_or_b32 exec_lo, exec_lo, s4
	v_mov_b32_e32 v72, 0
	ds_load_b64 v[72:73], v72 offset:104
	s_waitcnt lgkmcnt(0)
	v_mul_f64 v[61:62], v[61:62], v[72:73]
	scratch_store_b64 off, v[61:62], off offset:104
.LBB29_158:
	s_or_b32 exec_lo, exec_lo, s3
	scratch_load_b64 v[61:62], off, off offset:96
	v_cmp_lt_u32_e64 s0, 12, v0
	s_waitcnt vmcnt(0)
	ds_store_b64 v64, v[61:62]
	s_waitcnt lgkmcnt(0)
	s_waitcnt_vscnt null, 0x0
	s_barrier
	buffer_gl0_inv
	s_and_saveexec_b32 s3, s0
	s_cbranch_execz .LBB29_168
; %bb.159:
	s_and_not1_b32 vcc_lo, exec_lo, s2
	s_cbranch_vccnz .LBB29_161
; %bb.160:
	scratch_load_b64 v[61:62], v65, off
	ds_load_b64 v[72:73], v64
	s_waitcnt vmcnt(0) lgkmcnt(0)
	v_mul_f64 v[61:62], v[61:62], v[72:73]
	s_cbranch_execz .LBB29_162
	s_branch .LBB29_163
.LBB29_161:
                                        ; implicit-def: $vgpr61_vgpr62
.LBB29_162:
	ds_load_b64 v[61:62], v64
.LBB29_163:
	s_and_saveexec_b32 s4, s1
	s_cbranch_execz .LBB29_167
; %bb.164:
	v_dual_mov_b32 v72, 0 :: v_dual_add_nc_u32 v73, -13, v0
	s_movk_i32 s5, 0x158
	s_mov_b32 s1, 0
	s_delay_alu instid0(VALU_DEP_1)
	v_add_nc_u32_e32 v72, 0x68, v72
.LBB29_165:                             ; =>This Inner Loop Header: Depth=1
	scratch_load_b64 v[74:75], v72, off
	v_dual_mov_b32 v76, s5 :: v_dual_add_nc_u32 v73, -1, v73
	v_add_nc_u32_e32 v72, 8, v72
	s_add_i32 s5, s5, 8
	ds_load_b64 v[76:77], v76
	v_cmp_eq_u32_e32 vcc_lo, 0, v73
	s_or_b32 s1, vcc_lo, s1
	s_waitcnt vmcnt(0) lgkmcnt(0)
	v_fma_f64 v[61:62], v[74:75], v[76:77], v[61:62]
	s_and_not1_b32 exec_lo, exec_lo, s1
	s_cbranch_execnz .LBB29_165
; %bb.166:
	s_or_b32 exec_lo, exec_lo, s1
.LBB29_167:
	s_delay_alu instid0(SALU_CYCLE_1)
	s_or_b32 exec_lo, exec_lo, s4
	v_mov_b32_e32 v72, 0
	ds_load_b64 v[72:73], v72 offset:96
	s_waitcnt lgkmcnt(0)
	v_mul_f64 v[61:62], v[61:62], v[72:73]
	scratch_store_b64 off, v[61:62], off offset:96
.LBB29_168:
	s_or_b32 exec_lo, exec_lo, s3
	scratch_load_b64 v[61:62], off, off offset:88
	v_cmp_lt_u32_e64 s1, 11, v0
	s_waitcnt vmcnt(0)
	ds_store_b64 v64, v[61:62]
	s_waitcnt lgkmcnt(0)
	s_waitcnt_vscnt null, 0x0
	s_barrier
	buffer_gl0_inv
	s_and_saveexec_b32 s3, s1
	s_cbranch_execz .LBB29_178
; %bb.169:
	s_and_not1_b32 vcc_lo, exec_lo, s2
	s_cbranch_vccnz .LBB29_171
; %bb.170:
	scratch_load_b64 v[61:62], v65, off
	ds_load_b64 v[72:73], v64
	s_waitcnt vmcnt(0) lgkmcnt(0)
	v_mul_f64 v[61:62], v[61:62], v[72:73]
	s_cbranch_execz .LBB29_172
	s_branch .LBB29_173
.LBB29_171:
                                        ; implicit-def: $vgpr61_vgpr62
.LBB29_172:
	ds_load_b64 v[61:62], v64
.LBB29_173:
	s_and_saveexec_b32 s4, s0
	s_cbranch_execz .LBB29_177
; %bb.174:
	v_add_nc_u32_e32 v72, -12, v0
	s_movk_i32 s5, 0x150
	s_mov_b32 s0, 0
.LBB29_175:                             ; =>This Inner Loop Header: Depth=1
	scratch_load_b64 v[73:74], v71, off
	v_dual_mov_b32 v75, s5 :: v_dual_add_nc_u32 v72, -1, v72
	v_add_nc_u32_e32 v71, 8, v71
	s_add_i32 s5, s5, 8
	ds_load_b64 v[75:76], v75
	v_cmp_eq_u32_e32 vcc_lo, 0, v72
	s_or_b32 s0, vcc_lo, s0
	s_waitcnt vmcnt(0) lgkmcnt(0)
	v_fma_f64 v[61:62], v[73:74], v[75:76], v[61:62]
	s_and_not1_b32 exec_lo, exec_lo, s0
	s_cbranch_execnz .LBB29_175
; %bb.176:
	s_or_b32 exec_lo, exec_lo, s0
.LBB29_177:
	s_delay_alu instid0(SALU_CYCLE_1)
	s_or_b32 exec_lo, exec_lo, s4
	v_mov_b32_e32 v71, 0
	ds_load_b64 v[71:72], v71 offset:88
	s_waitcnt lgkmcnt(0)
	v_mul_f64 v[61:62], v[61:62], v[71:72]
	scratch_store_b64 off, v[61:62], off offset:88
.LBB29_178:
	s_or_b32 exec_lo, exec_lo, s3
	scratch_load_b64 v[61:62], off, off offset:80
	v_cmp_lt_u32_e64 s0, 10, v0
	s_waitcnt vmcnt(0)
	ds_store_b64 v64, v[61:62]
	s_waitcnt lgkmcnt(0)
	s_waitcnt_vscnt null, 0x0
	s_barrier
	buffer_gl0_inv
	s_and_saveexec_b32 s3, s0
	s_cbranch_execz .LBB29_188
; %bb.179:
	s_and_not1_b32 vcc_lo, exec_lo, s2
	s_cbranch_vccnz .LBB29_181
; %bb.180:
	scratch_load_b64 v[61:62], v65, off
	ds_load_b64 v[71:72], v64
	s_waitcnt vmcnt(0) lgkmcnt(0)
	v_mul_f64 v[61:62], v[61:62], v[71:72]
	s_cbranch_execz .LBB29_182
	s_branch .LBB29_183
.LBB29_181:
                                        ; implicit-def: $vgpr61_vgpr62
.LBB29_182:
	ds_load_b64 v[61:62], v64
.LBB29_183:
	s_and_saveexec_b32 s4, s1
	s_cbranch_execz .LBB29_187
; %bb.184:
	v_dual_mov_b32 v71, 0 :: v_dual_add_nc_u32 v72, -11, v0
	s_movk_i32 s5, 0x148
	s_mov_b32 s1, 0
	s_delay_alu instid0(VALU_DEP_1)
	v_add_nc_u32_e32 v71, 0x58, v71
.LBB29_185:                             ; =>This Inner Loop Header: Depth=1
	scratch_load_b64 v[73:74], v71, off
	v_dual_mov_b32 v75, s5 :: v_dual_add_nc_u32 v72, -1, v72
	v_add_nc_u32_e32 v71, 8, v71
	s_add_i32 s5, s5, 8
	ds_load_b64 v[75:76], v75
	v_cmp_eq_u32_e32 vcc_lo, 0, v72
	s_or_b32 s1, vcc_lo, s1
	s_waitcnt vmcnt(0) lgkmcnt(0)
	v_fma_f64 v[61:62], v[73:74], v[75:76], v[61:62]
	s_and_not1_b32 exec_lo, exec_lo, s1
	s_cbranch_execnz .LBB29_185
; %bb.186:
	s_or_b32 exec_lo, exec_lo, s1
.LBB29_187:
	s_delay_alu instid0(SALU_CYCLE_1)
	s_or_b32 exec_lo, exec_lo, s4
	v_mov_b32_e32 v71, 0
	ds_load_b64 v[71:72], v71 offset:80
	s_waitcnt lgkmcnt(0)
	v_mul_f64 v[61:62], v[61:62], v[71:72]
	scratch_store_b64 off, v[61:62], off offset:80
.LBB29_188:
	s_or_b32 exec_lo, exec_lo, s3
	scratch_load_b64 v[61:62], off, off offset:72
	v_cmp_lt_u32_e64 s1, 9, v0
	s_waitcnt vmcnt(0)
	ds_store_b64 v64, v[61:62]
	s_waitcnt lgkmcnt(0)
	s_waitcnt_vscnt null, 0x0
	s_barrier
	buffer_gl0_inv
	s_and_saveexec_b32 s3, s1
	s_cbranch_execz .LBB29_198
; %bb.189:
	s_and_not1_b32 vcc_lo, exec_lo, s2
	s_cbranch_vccnz .LBB29_191
; %bb.190:
	scratch_load_b64 v[61:62], v65, off
	ds_load_b64 v[71:72], v64
	s_waitcnt vmcnt(0) lgkmcnt(0)
	v_mul_f64 v[61:62], v[61:62], v[71:72]
	s_cbranch_execz .LBB29_192
	s_branch .LBB29_193
.LBB29_191:
                                        ; implicit-def: $vgpr61_vgpr62
.LBB29_192:
	ds_load_b64 v[61:62], v64
.LBB29_193:
	s_and_saveexec_b32 s4, s0
	s_cbranch_execz .LBB29_197
; %bb.194:
	v_add_nc_u32_e32 v71, -10, v0
	s_movk_i32 s5, 0x140
	s_mov_b32 s0, 0
.LBB29_195:                             ; =>This Inner Loop Header: Depth=1
	scratch_load_b64 v[72:73], v70, off
	v_dual_mov_b32 v74, s5 :: v_dual_add_nc_u32 v71, -1, v71
	v_add_nc_u32_e32 v70, 8, v70
	s_add_i32 s5, s5, 8
	ds_load_b64 v[74:75], v74
	v_cmp_eq_u32_e32 vcc_lo, 0, v71
	s_or_b32 s0, vcc_lo, s0
	s_waitcnt vmcnt(0) lgkmcnt(0)
	v_fma_f64 v[61:62], v[72:73], v[74:75], v[61:62]
	s_and_not1_b32 exec_lo, exec_lo, s0
	s_cbranch_execnz .LBB29_195
; %bb.196:
	s_or_b32 exec_lo, exec_lo, s0
.LBB29_197:
	s_delay_alu instid0(SALU_CYCLE_1)
	s_or_b32 exec_lo, exec_lo, s4
	v_mov_b32_e32 v70, 0
	ds_load_b64 v[70:71], v70 offset:72
	s_waitcnt lgkmcnt(0)
	v_mul_f64 v[61:62], v[61:62], v[70:71]
	scratch_store_b64 off, v[61:62], off offset:72
.LBB29_198:
	s_or_b32 exec_lo, exec_lo, s3
	scratch_load_b64 v[61:62], off, off offset:64
	v_cmp_lt_u32_e64 s0, 8, v0
	s_waitcnt vmcnt(0)
	ds_store_b64 v64, v[61:62]
	s_waitcnt lgkmcnt(0)
	s_waitcnt_vscnt null, 0x0
	s_barrier
	buffer_gl0_inv
	s_and_saveexec_b32 s3, s0
	s_cbranch_execz .LBB29_208
; %bb.199:
	s_and_not1_b32 vcc_lo, exec_lo, s2
	s_cbranch_vccnz .LBB29_201
; %bb.200:
	scratch_load_b64 v[61:62], v65, off
	ds_load_b64 v[70:71], v64
	s_waitcnt vmcnt(0) lgkmcnt(0)
	v_mul_f64 v[61:62], v[61:62], v[70:71]
	s_cbranch_execz .LBB29_202
	s_branch .LBB29_203
.LBB29_201:
                                        ; implicit-def: $vgpr61_vgpr62
.LBB29_202:
	ds_load_b64 v[61:62], v64
.LBB29_203:
	s_and_saveexec_b32 s4, s1
	s_cbranch_execz .LBB29_207
; %bb.204:
	v_dual_mov_b32 v70, 0 :: v_dual_add_nc_u32 v71, -9, v0
	s_movk_i32 s5, 0x138
	s_mov_b32 s1, 0
	s_delay_alu instid0(VALU_DEP_1)
	v_add_nc_u32_e32 v70, 0x48, v70
.LBB29_205:                             ; =>This Inner Loop Header: Depth=1
	scratch_load_b64 v[72:73], v70, off
	v_dual_mov_b32 v74, s5 :: v_dual_add_nc_u32 v71, -1, v71
	v_add_nc_u32_e32 v70, 8, v70
	s_add_i32 s5, s5, 8
	ds_load_b64 v[74:75], v74
	v_cmp_eq_u32_e32 vcc_lo, 0, v71
	s_or_b32 s1, vcc_lo, s1
	s_waitcnt vmcnt(0) lgkmcnt(0)
	v_fma_f64 v[61:62], v[72:73], v[74:75], v[61:62]
	s_and_not1_b32 exec_lo, exec_lo, s1
	s_cbranch_execnz .LBB29_205
; %bb.206:
	s_or_b32 exec_lo, exec_lo, s1
.LBB29_207:
	s_delay_alu instid0(SALU_CYCLE_1)
	s_or_b32 exec_lo, exec_lo, s4
	v_mov_b32_e32 v70, 0
	ds_load_b64 v[70:71], v70 offset:64
	s_waitcnt lgkmcnt(0)
	v_mul_f64 v[61:62], v[61:62], v[70:71]
	scratch_store_b64 off, v[61:62], off offset:64
.LBB29_208:
	s_or_b32 exec_lo, exec_lo, s3
	scratch_load_b64 v[61:62], off, off offset:56
	v_cmp_lt_u32_e64 s1, 7, v0
	s_waitcnt vmcnt(0)
	ds_store_b64 v64, v[61:62]
	s_waitcnt lgkmcnt(0)
	s_waitcnt_vscnt null, 0x0
	s_barrier
	buffer_gl0_inv
	s_and_saveexec_b32 s3, s1
	s_cbranch_execz .LBB29_218
; %bb.209:
	s_and_not1_b32 vcc_lo, exec_lo, s2
	s_cbranch_vccnz .LBB29_211
; %bb.210:
	scratch_load_b64 v[61:62], v65, off
	ds_load_b64 v[70:71], v64
	s_waitcnt vmcnt(0) lgkmcnt(0)
	v_mul_f64 v[61:62], v[61:62], v[70:71]
	s_cbranch_execz .LBB29_212
	s_branch .LBB29_213
.LBB29_211:
                                        ; implicit-def: $vgpr61_vgpr62
.LBB29_212:
	ds_load_b64 v[61:62], v64
.LBB29_213:
	s_and_saveexec_b32 s4, s0
	s_cbranch_execz .LBB29_217
; %bb.214:
	v_add_nc_u32_e32 v70, -8, v0
	s_movk_i32 s5, 0x130
	s_mov_b32 s0, 0
.LBB29_215:                             ; =>This Inner Loop Header: Depth=1
	scratch_load_b64 v[71:72], v69, off
	v_dual_mov_b32 v73, s5 :: v_dual_add_nc_u32 v70, -1, v70
	v_add_nc_u32_e32 v69, 8, v69
	s_add_i32 s5, s5, 8
	ds_load_b64 v[73:74], v73
	v_cmp_eq_u32_e32 vcc_lo, 0, v70
	s_or_b32 s0, vcc_lo, s0
	s_waitcnt vmcnt(0) lgkmcnt(0)
	v_fma_f64 v[61:62], v[71:72], v[73:74], v[61:62]
	s_and_not1_b32 exec_lo, exec_lo, s0
	s_cbranch_execnz .LBB29_215
; %bb.216:
	s_or_b32 exec_lo, exec_lo, s0
.LBB29_217:
	s_delay_alu instid0(SALU_CYCLE_1)
	s_or_b32 exec_lo, exec_lo, s4
	v_mov_b32_e32 v69, 0
	ds_load_b64 v[69:70], v69 offset:56
	s_waitcnt lgkmcnt(0)
	v_mul_f64 v[61:62], v[61:62], v[69:70]
	scratch_store_b64 off, v[61:62], off offset:56
.LBB29_218:
	s_or_b32 exec_lo, exec_lo, s3
	scratch_load_b64 v[61:62], off, off offset:48
	v_cmp_lt_u32_e64 s0, 6, v0
	s_waitcnt vmcnt(0)
	ds_store_b64 v64, v[61:62]
	s_waitcnt lgkmcnt(0)
	s_waitcnt_vscnt null, 0x0
	s_barrier
	buffer_gl0_inv
	s_and_saveexec_b32 s3, s0
	s_cbranch_execz .LBB29_228
; %bb.219:
	s_and_not1_b32 vcc_lo, exec_lo, s2
	s_cbranch_vccnz .LBB29_221
; %bb.220:
	scratch_load_b64 v[61:62], v65, off
	ds_load_b64 v[69:70], v64
	s_waitcnt vmcnt(0) lgkmcnt(0)
	v_mul_f64 v[61:62], v[61:62], v[69:70]
	s_cbranch_execz .LBB29_222
	s_branch .LBB29_223
.LBB29_221:
                                        ; implicit-def: $vgpr61_vgpr62
.LBB29_222:
	ds_load_b64 v[61:62], v64
.LBB29_223:
	s_and_saveexec_b32 s4, s1
	s_cbranch_execz .LBB29_227
; %bb.224:
	v_add_nc_u32_e64 v69, 0, 56
	v_add_nc_u32_e32 v70, -7, v0
	s_movk_i32 s5, 0x128
	s_mov_b32 s1, 0
.LBB29_225:                             ; =>This Inner Loop Header: Depth=1
	scratch_load_b64 v[71:72], v69, off
	v_dual_mov_b32 v73, s5 :: v_dual_add_nc_u32 v70, -1, v70
	v_add_nc_u32_e32 v69, 8, v69
	s_add_i32 s5, s5, 8
	ds_load_b64 v[73:74], v73
	v_cmp_eq_u32_e32 vcc_lo, 0, v70
	s_or_b32 s1, vcc_lo, s1
	s_waitcnt vmcnt(0) lgkmcnt(0)
	v_fma_f64 v[61:62], v[71:72], v[73:74], v[61:62]
	s_and_not1_b32 exec_lo, exec_lo, s1
	s_cbranch_execnz .LBB29_225
; %bb.226:
	s_or_b32 exec_lo, exec_lo, s1
.LBB29_227:
	s_delay_alu instid0(SALU_CYCLE_1)
	s_or_b32 exec_lo, exec_lo, s4
	v_mov_b32_e32 v69, 0
	ds_load_b64 v[69:70], v69 offset:48
	s_waitcnt lgkmcnt(0)
	v_mul_f64 v[61:62], v[61:62], v[69:70]
	scratch_store_b64 off, v[61:62], off offset:48
.LBB29_228:
	s_or_b32 exec_lo, exec_lo, s3
	scratch_load_b64 v[61:62], off, off offset:40
	v_cmp_lt_u32_e64 s1, 5, v0
	s_waitcnt vmcnt(0)
	ds_store_b64 v64, v[61:62]
	s_waitcnt lgkmcnt(0)
	s_waitcnt_vscnt null, 0x0
	s_barrier
	buffer_gl0_inv
	s_and_saveexec_b32 s3, s1
	s_cbranch_execz .LBB29_238
; %bb.229:
	s_and_not1_b32 vcc_lo, exec_lo, s2
	s_cbranch_vccnz .LBB29_231
; %bb.230:
	scratch_load_b64 v[61:62], v65, off
	ds_load_b64 v[69:70], v64
	s_waitcnt vmcnt(0) lgkmcnt(0)
	v_mul_f64 v[61:62], v[61:62], v[69:70]
	s_cbranch_execz .LBB29_232
	s_branch .LBB29_233
.LBB29_231:
                                        ; implicit-def: $vgpr61_vgpr62
.LBB29_232:
	ds_load_b64 v[61:62], v64
.LBB29_233:
	s_and_saveexec_b32 s4, s0
	s_cbranch_execz .LBB29_237
; %bb.234:
	v_add_nc_u32_e32 v69, -6, v0
	s_movk_i32 s5, 0x120
	s_mov_b32 s0, 0
.LBB29_235:                             ; =>This Inner Loop Header: Depth=1
	scratch_load_b64 v[70:71], v68, off
	v_dual_mov_b32 v72, s5 :: v_dual_add_nc_u32 v69, -1, v69
	v_add_nc_u32_e32 v68, 8, v68
	s_add_i32 s5, s5, 8
	ds_load_b64 v[72:73], v72
	v_cmp_eq_u32_e32 vcc_lo, 0, v69
	s_or_b32 s0, vcc_lo, s0
	s_waitcnt vmcnt(0) lgkmcnt(0)
	v_fma_f64 v[61:62], v[70:71], v[72:73], v[61:62]
	s_and_not1_b32 exec_lo, exec_lo, s0
	s_cbranch_execnz .LBB29_235
; %bb.236:
	s_or_b32 exec_lo, exec_lo, s0
.LBB29_237:
	s_delay_alu instid0(SALU_CYCLE_1)
	s_or_b32 exec_lo, exec_lo, s4
	v_mov_b32_e32 v68, 0
	ds_load_b64 v[68:69], v68 offset:40
	s_waitcnt lgkmcnt(0)
	v_mul_f64 v[61:62], v[61:62], v[68:69]
	scratch_store_b64 off, v[61:62], off offset:40
.LBB29_238:
	s_or_b32 exec_lo, exec_lo, s3
	scratch_load_b64 v[61:62], off, off offset:32
	v_cmp_lt_u32_e64 s0, 4, v0
	s_waitcnt vmcnt(0)
	ds_store_b64 v64, v[61:62]
	s_waitcnt lgkmcnt(0)
	s_waitcnt_vscnt null, 0x0
	s_barrier
	buffer_gl0_inv
	s_and_saveexec_b32 s3, s0
	s_cbranch_execz .LBB29_248
; %bb.239:
	s_and_not1_b32 vcc_lo, exec_lo, s2
	s_cbranch_vccnz .LBB29_241
; %bb.240:
	scratch_load_b64 v[61:62], v65, off
	ds_load_b64 v[68:69], v64
	s_waitcnt vmcnt(0) lgkmcnt(0)
	v_mul_f64 v[61:62], v[61:62], v[68:69]
	s_cbranch_execz .LBB29_242
	s_branch .LBB29_243
.LBB29_241:
                                        ; implicit-def: $vgpr61_vgpr62
.LBB29_242:
	ds_load_b64 v[61:62], v64
.LBB29_243:
	s_and_saveexec_b32 s4, s1
	s_cbranch_execz .LBB29_247
; %bb.244:
	v_add_nc_u32_e64 v68, 0, 40
	v_add_nc_u32_e32 v69, -5, v0
	s_movk_i32 s5, 0x118
	s_mov_b32 s1, 0
.LBB29_245:                             ; =>This Inner Loop Header: Depth=1
	scratch_load_b64 v[70:71], v68, off
	v_dual_mov_b32 v72, s5 :: v_dual_add_nc_u32 v69, -1, v69
	v_add_nc_u32_e32 v68, 8, v68
	s_add_i32 s5, s5, 8
	ds_load_b64 v[72:73], v72
	v_cmp_eq_u32_e32 vcc_lo, 0, v69
	s_or_b32 s1, vcc_lo, s1
	s_waitcnt vmcnt(0) lgkmcnt(0)
	v_fma_f64 v[61:62], v[70:71], v[72:73], v[61:62]
	s_and_not1_b32 exec_lo, exec_lo, s1
	s_cbranch_execnz .LBB29_245
; %bb.246:
	s_or_b32 exec_lo, exec_lo, s1
.LBB29_247:
	s_delay_alu instid0(SALU_CYCLE_1)
	s_or_b32 exec_lo, exec_lo, s4
	v_mov_b32_e32 v68, 0
	ds_load_b64 v[68:69], v68 offset:32
	s_waitcnt lgkmcnt(0)
	v_mul_f64 v[61:62], v[61:62], v[68:69]
	scratch_store_b64 off, v[61:62], off offset:32
.LBB29_248:
	s_or_b32 exec_lo, exec_lo, s3
	scratch_load_b64 v[61:62], off, off offset:24
	v_cmp_lt_u32_e64 s1, 3, v0
	s_waitcnt vmcnt(0)
	ds_store_b64 v64, v[61:62]
	s_waitcnt lgkmcnt(0)
	s_waitcnt_vscnt null, 0x0
	s_barrier
	buffer_gl0_inv
	s_and_saveexec_b32 s3, s1
	s_cbranch_execz .LBB29_258
; %bb.249:
	s_and_not1_b32 vcc_lo, exec_lo, s2
	s_cbranch_vccnz .LBB29_251
; %bb.250:
	scratch_load_b64 v[61:62], v65, off
	ds_load_b64 v[68:69], v64
	s_waitcnt vmcnt(0) lgkmcnt(0)
	v_mul_f64 v[61:62], v[61:62], v[68:69]
	s_cbranch_execz .LBB29_252
	s_branch .LBB29_253
.LBB29_251:
                                        ; implicit-def: $vgpr61_vgpr62
.LBB29_252:
	ds_load_b64 v[61:62], v64
.LBB29_253:
	s_and_saveexec_b32 s4, s0
	s_cbranch_execz .LBB29_257
; %bb.254:
	v_add_nc_u32_e32 v68, -4, v0
	s_movk_i32 s5, 0x110
	s_mov_b32 s0, 0
.LBB29_255:                             ; =>This Inner Loop Header: Depth=1
	scratch_load_b64 v[69:70], v67, off
	v_dual_mov_b32 v71, s5 :: v_dual_add_nc_u32 v68, -1, v68
	v_add_nc_u32_e32 v67, 8, v67
	s_add_i32 s5, s5, 8
	ds_load_b64 v[71:72], v71
	v_cmp_eq_u32_e32 vcc_lo, 0, v68
	s_or_b32 s0, vcc_lo, s0
	s_waitcnt vmcnt(0) lgkmcnt(0)
	v_fma_f64 v[61:62], v[69:70], v[71:72], v[61:62]
	s_and_not1_b32 exec_lo, exec_lo, s0
	s_cbranch_execnz .LBB29_255
; %bb.256:
	s_or_b32 exec_lo, exec_lo, s0
.LBB29_257:
	s_delay_alu instid0(SALU_CYCLE_1)
	s_or_b32 exec_lo, exec_lo, s4
	v_mov_b32_e32 v67, 0
	ds_load_b64 v[67:68], v67 offset:24
	s_waitcnt lgkmcnt(0)
	v_mul_f64 v[61:62], v[61:62], v[67:68]
	scratch_store_b64 off, v[61:62], off offset:24
.LBB29_258:
	s_or_b32 exec_lo, exec_lo, s3
	scratch_load_b64 v[61:62], off, off offset:16
	v_cmp_lt_u32_e64 s0, 2, v0
	s_waitcnt vmcnt(0)
	ds_store_b64 v64, v[61:62]
	s_waitcnt lgkmcnt(0)
	s_waitcnt_vscnt null, 0x0
	s_barrier
	buffer_gl0_inv
	s_and_saveexec_b32 s3, s0
	s_cbranch_execz .LBB29_268
; %bb.259:
	s_and_not1_b32 vcc_lo, exec_lo, s2
	s_cbranch_vccnz .LBB29_261
; %bb.260:
	scratch_load_b64 v[61:62], v65, off
	ds_load_b64 v[67:68], v64
	s_waitcnt vmcnt(0) lgkmcnt(0)
	v_mul_f64 v[61:62], v[61:62], v[67:68]
	s_cbranch_execz .LBB29_262
	s_branch .LBB29_263
.LBB29_261:
                                        ; implicit-def: $vgpr61_vgpr62
.LBB29_262:
	ds_load_b64 v[61:62], v64
.LBB29_263:
	s_and_saveexec_b32 s4, s1
	s_cbranch_execz .LBB29_267
; %bb.264:
	v_add_nc_u32_e64 v67, 0, 24
	v_add_nc_u32_e32 v68, -3, v0
	s_movk_i32 s5, 0x108
	s_mov_b32 s1, 0
.LBB29_265:                             ; =>This Inner Loop Header: Depth=1
	scratch_load_b64 v[69:70], v67, off
	v_dual_mov_b32 v71, s5 :: v_dual_add_nc_u32 v68, -1, v68
	v_add_nc_u32_e32 v67, 8, v67
	s_add_i32 s5, s5, 8
	ds_load_b64 v[71:72], v71
	v_cmp_eq_u32_e32 vcc_lo, 0, v68
	s_or_b32 s1, vcc_lo, s1
	s_waitcnt vmcnt(0) lgkmcnt(0)
	v_fma_f64 v[61:62], v[69:70], v[71:72], v[61:62]
	s_and_not1_b32 exec_lo, exec_lo, s1
	s_cbranch_execnz .LBB29_265
; %bb.266:
	s_or_b32 exec_lo, exec_lo, s1
.LBB29_267:
	s_delay_alu instid0(SALU_CYCLE_1)
	s_or_b32 exec_lo, exec_lo, s4
	v_mov_b32_e32 v67, 0
	ds_load_b64 v[67:68], v67 offset:16
	s_waitcnt lgkmcnt(0)
	v_mul_f64 v[61:62], v[61:62], v[67:68]
	scratch_store_b64 off, v[61:62], off offset:16
.LBB29_268:
	s_or_b32 exec_lo, exec_lo, s3
	scratch_load_b64 v[61:62], off, off offset:8
	v_cmp_lt_u32_e64 s1, 1, v0
	s_waitcnt vmcnt(0)
	ds_store_b64 v64, v[61:62]
	s_waitcnt lgkmcnt(0)
	s_waitcnt_vscnt null, 0x0
	s_barrier
	buffer_gl0_inv
	s_and_saveexec_b32 s3, s1
	s_cbranch_execz .LBB29_278
; %bb.269:
	s_and_not1_b32 vcc_lo, exec_lo, s2
	s_cbranch_vccnz .LBB29_271
; %bb.270:
	scratch_load_b64 v[61:62], v65, off
	ds_load_b64 v[67:68], v64
	s_waitcnt vmcnt(0) lgkmcnt(0)
	v_mul_f64 v[61:62], v[61:62], v[67:68]
	s_cbranch_execz .LBB29_272
	s_branch .LBB29_273
.LBB29_271:
                                        ; implicit-def: $vgpr61_vgpr62
.LBB29_272:
	ds_load_b64 v[61:62], v64
.LBB29_273:
	s_and_saveexec_b32 s4, s0
	s_cbranch_execz .LBB29_277
; %bb.274:
	v_add_nc_u32_e32 v67, -2, v0
	s_movk_i32 s5, 0x100
	s_mov_b32 s0, 0
.LBB29_275:                             ; =>This Inner Loop Header: Depth=1
	scratch_load_b64 v[68:69], v66, off
	v_dual_mov_b32 v70, s5 :: v_dual_add_nc_u32 v67, -1, v67
	v_add_nc_u32_e32 v66, 8, v66
	s_add_i32 s5, s5, 8
	ds_load_b64 v[70:71], v70
	v_cmp_eq_u32_e32 vcc_lo, 0, v67
	s_or_b32 s0, vcc_lo, s0
	s_waitcnt vmcnt(0) lgkmcnt(0)
	v_fma_f64 v[61:62], v[68:69], v[70:71], v[61:62]
	s_and_not1_b32 exec_lo, exec_lo, s0
	s_cbranch_execnz .LBB29_275
; %bb.276:
	s_or_b32 exec_lo, exec_lo, s0
.LBB29_277:
	s_delay_alu instid0(SALU_CYCLE_1)
	s_or_b32 exec_lo, exec_lo, s4
	v_mov_b32_e32 v66, 0
	ds_load_b64 v[66:67], v66 offset:8
	s_waitcnt lgkmcnt(0)
	v_mul_f64 v[61:62], v[61:62], v[66:67]
	scratch_store_b64 off, v[61:62], off offset:8
.LBB29_278:
	s_or_b32 exec_lo, exec_lo, s3
	scratch_load_b64 v[61:62], off, off
	s_mov_b32 s0, 0
	s_mov_b32 s3, exec_lo
	s_waitcnt vmcnt(0)
	ds_store_b64 v64, v[61:62]
	s_waitcnt lgkmcnt(0)
	s_waitcnt_vscnt null, 0x0
	s_barrier
	buffer_gl0_inv
	v_cmpx_ne_u32_e32 0, v0
	s_cbranch_execz .LBB29_288
; %bb.279:
	s_and_not1_b32 vcc_lo, exec_lo, s2
	s_cbranch_vccnz .LBB29_281
; %bb.280:
	scratch_load_b64 v[61:62], v65, off
	ds_load_b64 v[66:67], v64
	s_waitcnt vmcnt(0) lgkmcnt(0)
	v_mul_f64 v[61:62], v[61:62], v[66:67]
	s_cbranch_execz .LBB29_282
	s_branch .LBB29_283
.LBB29_281:
                                        ; implicit-def: $vgpr61_vgpr62
.LBB29_282:
	ds_load_b64 v[61:62], v64
.LBB29_283:
	s_and_saveexec_b32 s4, s1
	s_cbranch_execz .LBB29_287
; %bb.284:
	v_or_b32_e64 v66, 0, 8
	v_add_nc_u32_e32 v67, -1, v0
	s_movk_i32 s5, 0xf8
	s_mov_b32 s1, 0
.LBB29_285:                             ; =>This Inner Loop Header: Depth=1
	scratch_load_b64 v[68:69], v66, off
	v_dual_mov_b32 v70, s5 :: v_dual_add_nc_u32 v67, -1, v67
	v_add_nc_u32_e32 v66, 8, v66
	s_add_i32 s5, s5, 8
	ds_load_b64 v[70:71], v70
	v_cmp_eq_u32_e32 vcc_lo, 0, v67
	s_or_b32 s1, vcc_lo, s1
	s_waitcnt vmcnt(0) lgkmcnt(0)
	v_fma_f64 v[61:62], v[68:69], v[70:71], v[61:62]
	s_and_not1_b32 exec_lo, exec_lo, s1
	s_cbranch_execnz .LBB29_285
; %bb.286:
	s_or_b32 exec_lo, exec_lo, s1
.LBB29_287:
	s_delay_alu instid0(SALU_CYCLE_1)
	s_or_b32 exec_lo, exec_lo, s4
	v_mov_b32_e32 v66, 0
	ds_load_b64 v[66:67], v66
	s_waitcnt lgkmcnt(0)
	v_mul_f64 v[61:62], v[61:62], v[66:67]
	scratch_store_b64 off, v[61:62], off
.LBB29_288:
	s_or_b32 exec_lo, exec_lo, s3
.LBB29_289:
	s_delay_alu instid0(SALU_CYCLE_1)
	s_and_b32 vcc_lo, exec_lo, s0
	s_cbranch_vccz .LBB29_575
; %bb.290:
	scratch_load_b64 v[61:62], off, off offset:8
	v_cmp_eq_u32_e64 s0, 0, v0
	s_waitcnt vmcnt(0)
	ds_store_b64 v64, v[61:62]
	s_waitcnt lgkmcnt(0)
	s_waitcnt_vscnt null, 0x0
	s_barrier
	buffer_gl0_inv
	s_and_saveexec_b32 s1, s0
	s_cbranch_execz .LBB29_296
; %bb.291:
	s_and_b32 vcc_lo, exec_lo, s2
	s_cbranch_vccz .LBB29_293
; %bb.292:
	scratch_load_b64 v[61:62], v65, off
	ds_load_b64 v[66:67], v64
	s_waitcnt vmcnt(0) lgkmcnt(0)
	v_mul_f64 v[61:62], v[61:62], v[66:67]
	s_cbranch_execz .LBB29_294
	s_branch .LBB29_295
.LBB29_293:
                                        ; implicit-def: $vgpr61_vgpr62
.LBB29_294:
	ds_load_b64 v[61:62], v64
.LBB29_295:
	v_mov_b32_e32 v66, 0
	ds_load_b64 v[66:67], v66 offset:8
	s_waitcnt lgkmcnt(0)
	v_mul_f64 v[61:62], v[61:62], v[66:67]
	scratch_store_b64 off, v[61:62], off offset:8
.LBB29_296:
	s_or_b32 exec_lo, exec_lo, s1
	scratch_load_b64 v[61:62], off, off offset:16
	v_cndmask_b32_e64 v66, 0, 1, s2
	s_mov_b32 s1, exec_lo
	s_waitcnt vmcnt(0)
	ds_store_b64 v64, v[61:62]
	s_waitcnt lgkmcnt(0)
	s_waitcnt_vscnt null, 0x0
	s_barrier
	buffer_gl0_inv
	v_cmpx_gt_u32_e32 2, v0
	s_cbranch_execz .LBB29_304
; %bb.297:
	s_and_not1_b32 vcc_lo, exec_lo, s2
	s_cbranch_vccnz .LBB29_299
; %bb.298:
	scratch_load_b64 v[61:62], v65, off
	ds_load_b64 v[67:68], v64
	s_waitcnt vmcnt(0) lgkmcnt(0)
	v_mul_f64 v[61:62], v[61:62], v[67:68]
	s_cbranch_execz .LBB29_300
	s_branch .LBB29_301
.LBB29_299:
                                        ; implicit-def: $vgpr61_vgpr62
.LBB29_300:
	ds_load_b64 v[61:62], v64
.LBB29_301:
	s_and_saveexec_b32 s2, s0
	s_cbranch_execz .LBB29_303
; %bb.302:
	scratch_load_b64 v[67:68], v65, off offset:8
	ds_load_b64 v[69:70], v64 offset:8
	s_waitcnt vmcnt(0) lgkmcnt(0)
	v_fma_f64 v[61:62], v[67:68], v[69:70], v[61:62]
.LBB29_303:
	s_or_b32 exec_lo, exec_lo, s2
	v_mov_b32_e32 v67, 0
	ds_load_b64 v[67:68], v67 offset:16
	s_waitcnt lgkmcnt(0)
	v_mul_f64 v[61:62], v[61:62], v[67:68]
	scratch_store_b64 off, v[61:62], off offset:16
.LBB29_304:
	s_or_b32 exec_lo, exec_lo, s1
	scratch_load_b64 v[61:62], off, off offset:24
	s_mov_b32 s1, exec_lo
	s_waitcnt vmcnt(0)
	ds_store_b64 v64, v[61:62]
	s_waitcnt lgkmcnt(0)
	s_waitcnt_vscnt null, 0x0
	s_barrier
	buffer_gl0_inv
	v_cmpx_gt_u32_e32 3, v0
	s_cbranch_execz .LBB29_314
; %bb.305:
	v_cmp_ne_u32_e32 vcc_lo, 1, v66
	s_cbranch_vccnz .LBB29_307
; %bb.306:
	scratch_load_b64 v[61:62], v65, off
	ds_load_b64 v[67:68], v64
	s_waitcnt vmcnt(0) lgkmcnt(0)
	v_mul_f64 v[61:62], v[61:62], v[67:68]
	s_cbranch_execz .LBB29_308
	s_branch .LBB29_309
.LBB29_307:
                                        ; implicit-def: $vgpr61_vgpr62
.LBB29_308:
	ds_load_b64 v[61:62], v64
.LBB29_309:
	s_mov_b32 s2, exec_lo
	v_cmpx_ne_u32_e32 2, v0
	s_cbranch_execz .LBB29_313
; %bb.310:
	scratch_load_b64 v[67:68], v65, off offset:8
	ds_load_b64 v[69:70], v64 offset:8
	s_waitcnt vmcnt(0) lgkmcnt(0)
	v_fma_f64 v[61:62], v[67:68], v[69:70], v[61:62]
	s_and_saveexec_b32 s3, s0
	s_cbranch_execz .LBB29_312
; %bb.311:
	scratch_load_b64 v[67:68], off, off offset:16
	v_mov_b32_e32 v69, 0
	ds_load_b64 v[69:70], v69 offset:256
	s_waitcnt vmcnt(0) lgkmcnt(0)
	v_fma_f64 v[61:62], v[67:68], v[69:70], v[61:62]
.LBB29_312:
	s_or_b32 exec_lo, exec_lo, s3
.LBB29_313:
	s_delay_alu instid0(SALU_CYCLE_1)
	s_or_b32 exec_lo, exec_lo, s2
	v_mov_b32_e32 v67, 0
	ds_load_b64 v[67:68], v67 offset:24
	s_waitcnt lgkmcnt(0)
	v_mul_f64 v[61:62], v[61:62], v[67:68]
	scratch_store_b64 off, v[61:62], off offset:24
.LBB29_314:
	s_or_b32 exec_lo, exec_lo, s1
	scratch_load_b64 v[61:62], off, off offset:32
	s_mov_b32 s0, exec_lo
	s_waitcnt vmcnt(0)
	ds_store_b64 v64, v[61:62]
	s_waitcnt lgkmcnt(0)
	s_waitcnt_vscnt null, 0x0
	s_barrier
	buffer_gl0_inv
	v_cmpx_gt_u32_e32 4, v0
	s_cbranch_execz .LBB29_324
; %bb.315:
	v_cmp_ne_u32_e32 vcc_lo, 1, v66
	s_cbranch_vccnz .LBB29_317
; %bb.316:
	scratch_load_b64 v[61:62], v65, off
	ds_load_b64 v[67:68], v64
	s_waitcnt vmcnt(0) lgkmcnt(0)
	v_mul_f64 v[61:62], v[61:62], v[67:68]
	s_cbranch_execz .LBB29_318
	s_branch .LBB29_319
.LBB29_317:
                                        ; implicit-def: $vgpr61_vgpr62
.LBB29_318:
	ds_load_b64 v[61:62], v64
.LBB29_319:
	s_mov_b32 s1, exec_lo
	v_cmpx_ne_u32_e32 3, v0
	s_cbranch_execz .LBB29_323
; %bb.320:
	v_add_nc_u32_e32 v67, 0xf8, v63
	v_add3_u32 v68, 0, v63, 8
	v_mov_b32_e32 v69, v0
	s_mov_b32 s2, 0
.LBB29_321:                             ; =>This Inner Loop Header: Depth=1
	scratch_load_b64 v[70:71], v68, off
	ds_load_b64 v[72:73], v67
	v_add_nc_u32_e32 v69, 1, v69
	v_add_nc_u32_e32 v67, 8, v67
	v_add_nc_u32_e32 v68, 8, v68
	s_delay_alu instid0(VALU_DEP_3)
	v_cmp_lt_u32_e32 vcc_lo, 2, v69
	s_or_b32 s2, vcc_lo, s2
	s_waitcnt vmcnt(0) lgkmcnt(0)
	v_fma_f64 v[61:62], v[70:71], v[72:73], v[61:62]
	s_and_not1_b32 exec_lo, exec_lo, s2
	s_cbranch_execnz .LBB29_321
; %bb.322:
	s_or_b32 exec_lo, exec_lo, s2
.LBB29_323:
	s_delay_alu instid0(SALU_CYCLE_1)
	s_or_b32 exec_lo, exec_lo, s1
	v_mov_b32_e32 v67, 0
	ds_load_b64 v[67:68], v67 offset:32
	s_waitcnt lgkmcnt(0)
	v_mul_f64 v[61:62], v[61:62], v[67:68]
	scratch_store_b64 off, v[61:62], off offset:32
.LBB29_324:
	s_or_b32 exec_lo, exec_lo, s0
	scratch_load_b64 v[61:62], off, off offset:40
	s_mov_b32 s0, exec_lo
	s_waitcnt vmcnt(0)
	ds_store_b64 v64, v[61:62]
	s_waitcnt lgkmcnt(0)
	s_waitcnt_vscnt null, 0x0
	s_barrier
	buffer_gl0_inv
	v_cmpx_gt_u32_e32 5, v0
	s_cbranch_execz .LBB29_334
; %bb.325:
	v_cmp_ne_u32_e32 vcc_lo, 1, v66
	s_cbranch_vccnz .LBB29_327
; %bb.326:
	scratch_load_b64 v[61:62], v65, off
	ds_load_b64 v[67:68], v64
	s_waitcnt vmcnt(0) lgkmcnt(0)
	v_mul_f64 v[61:62], v[61:62], v[67:68]
	s_cbranch_execz .LBB29_328
	s_branch .LBB29_329
.LBB29_327:
                                        ; implicit-def: $vgpr61_vgpr62
.LBB29_328:
	ds_load_b64 v[61:62], v64
.LBB29_329:
	s_mov_b32 s1, exec_lo
	v_cmpx_ne_u32_e32 4, v0
	s_cbranch_execz .LBB29_333
; %bb.330:
	v_add_nc_u32_e32 v67, 0xf8, v63
	v_add3_u32 v68, 0, v63, 8
	v_mov_b32_e32 v69, v0
	s_mov_b32 s2, 0
.LBB29_331:                             ; =>This Inner Loop Header: Depth=1
	scratch_load_b64 v[70:71], v68, off
	ds_load_b64 v[72:73], v67
	v_add_nc_u32_e32 v69, 1, v69
	v_add_nc_u32_e32 v67, 8, v67
	v_add_nc_u32_e32 v68, 8, v68
	s_delay_alu instid0(VALU_DEP_3)
	v_cmp_lt_u32_e32 vcc_lo, 3, v69
	s_or_b32 s2, vcc_lo, s2
	s_waitcnt vmcnt(0) lgkmcnt(0)
	v_fma_f64 v[61:62], v[70:71], v[72:73], v[61:62]
	s_and_not1_b32 exec_lo, exec_lo, s2
	s_cbranch_execnz .LBB29_331
; %bb.332:
	s_or_b32 exec_lo, exec_lo, s2
.LBB29_333:
	s_delay_alu instid0(SALU_CYCLE_1)
	s_or_b32 exec_lo, exec_lo, s1
	v_mov_b32_e32 v67, 0
	ds_load_b64 v[67:68], v67 offset:40
	s_waitcnt lgkmcnt(0)
	v_mul_f64 v[61:62], v[61:62], v[67:68]
	scratch_store_b64 off, v[61:62], off offset:40
.LBB29_334:
	;; [unrolled: 58-line block ×24, first 2 shown]
	s_or_b32 exec_lo, exec_lo, s0
	scratch_load_b64 v[61:62], off, off offset:224
	v_cmp_gt_u32_e64 s0, 28, v0
	s_waitcnt vmcnt(0)
	ds_store_b64 v64, v[61:62]
	s_waitcnt lgkmcnt(0)
	s_waitcnt_vscnt null, 0x0
	s_barrier
	buffer_gl0_inv
	s_and_saveexec_b32 s1, s0
	s_cbranch_execz .LBB29_564
; %bb.555:
	v_cmp_ne_u32_e32 vcc_lo, 1, v66
	s_cbranch_vccnz .LBB29_557
; %bb.556:
	scratch_load_b64 v[61:62], v65, off
	ds_load_b64 v[67:68], v64
	s_waitcnt vmcnt(0) lgkmcnt(0)
	v_mul_f64 v[61:62], v[61:62], v[67:68]
	s_cbranch_execz .LBB29_558
	s_branch .LBB29_559
.LBB29_557:
                                        ; implicit-def: $vgpr61_vgpr62
.LBB29_558:
	ds_load_b64 v[61:62], v64
.LBB29_559:
	s_mov_b32 s2, exec_lo
	v_cmpx_ne_u32_e32 27, v0
	s_cbranch_execz .LBB29_563
; %bb.560:
	v_add_nc_u32_e32 v67, 0xf8, v63
	v_add3_u32 v68, 0, v63, 8
	v_mov_b32_e32 v69, v0
	s_mov_b32 s3, 0
.LBB29_561:                             ; =>This Inner Loop Header: Depth=1
	scratch_load_b64 v[70:71], v68, off
	ds_load_b64 v[72:73], v67
	v_add_nc_u32_e32 v69, 1, v69
	v_add_nc_u32_e32 v67, 8, v67
	;; [unrolled: 1-line block ×3, first 2 shown]
	s_delay_alu instid0(VALU_DEP_3)
	v_cmp_lt_u32_e32 vcc_lo, 26, v69
	s_or_b32 s3, vcc_lo, s3
	s_waitcnt vmcnt(0) lgkmcnt(0)
	v_fma_f64 v[61:62], v[70:71], v[72:73], v[61:62]
	s_and_not1_b32 exec_lo, exec_lo, s3
	s_cbranch_execnz .LBB29_561
; %bb.562:
	s_or_b32 exec_lo, exec_lo, s3
.LBB29_563:
	s_delay_alu instid0(SALU_CYCLE_1)
	s_or_b32 exec_lo, exec_lo, s2
	v_mov_b32_e32 v67, 0
	ds_load_b64 v[67:68], v67 offset:224
	s_waitcnt lgkmcnt(0)
	v_mul_f64 v[61:62], v[61:62], v[67:68]
	scratch_store_b64 off, v[61:62], off offset:224
.LBB29_564:
	s_or_b32 exec_lo, exec_lo, s1
	scratch_load_b64 v[61:62], off, off offset:232
	s_mov_b32 s1, exec_lo
	s_waitcnt vmcnt(0)
	ds_store_b64 v64, v[61:62]
	s_waitcnt lgkmcnt(0)
	s_waitcnt_vscnt null, 0x0
	s_barrier
	buffer_gl0_inv
	v_cmpx_ne_u32_e32 29, v0
	s_cbranch_execz .LBB29_574
; %bb.565:
	v_cmp_ne_u32_e32 vcc_lo, 1, v66
	s_cbranch_vccnz .LBB29_567
; %bb.566:
	scratch_load_b64 v[61:62], v65, off
	ds_load_b64 v[65:66], v64
	s_waitcnt vmcnt(0) lgkmcnt(0)
	v_mul_f64 v[61:62], v[61:62], v[65:66]
	s_cbranch_execz .LBB29_568
	s_branch .LBB29_569
.LBB29_567:
                                        ; implicit-def: $vgpr61_vgpr62
.LBB29_568:
	ds_load_b64 v[61:62], v64
.LBB29_569:
	s_and_saveexec_b32 s2, s0
	s_cbranch_execz .LBB29_573
; %bb.570:
	v_add_nc_u32_e32 v64, 0xf8, v63
	v_add3_u32 v63, 0, v63, 8
	s_mov_b32 s0, 0
.LBB29_571:                             ; =>This Inner Loop Header: Depth=1
	scratch_load_b64 v[65:66], v63, off
	ds_load_b64 v[67:68], v64
	v_add_nc_u32_e32 v0, 1, v0
	v_add_nc_u32_e32 v64, 8, v64
	;; [unrolled: 1-line block ×3, first 2 shown]
	s_delay_alu instid0(VALU_DEP_3)
	v_cmp_lt_u32_e32 vcc_lo, 27, v0
	s_or_b32 s0, vcc_lo, s0
	s_waitcnt vmcnt(0) lgkmcnt(0)
	v_fma_f64 v[61:62], v[65:66], v[67:68], v[61:62]
	s_and_not1_b32 exec_lo, exec_lo, s0
	s_cbranch_execnz .LBB29_571
; %bb.572:
	s_or_b32 exec_lo, exec_lo, s0
.LBB29_573:
	s_delay_alu instid0(SALU_CYCLE_1)
	s_or_b32 exec_lo, exec_lo, s2
	v_mov_b32_e32 v0, 0
	ds_load_b64 v[63:64], v0 offset:232
	s_waitcnt lgkmcnt(0)
	v_mul_f64 v[61:62], v[61:62], v[63:64]
	scratch_store_b64 off, v[61:62], off offset:232
.LBB29_574:
	s_or_b32 exec_lo, exec_lo, s1
.LBB29_575:
	s_clause 0x7
	scratch_load_b128 v[61:64], off, off
	scratch_load_b128 v[65:68], off, off offset:16
	scratch_load_b128 v[69:72], off, off offset:32
	;; [unrolled: 1-line block ×7, first 2 shown]
	s_waitcnt vmcnt(7)
	s_clause 0x1
	global_store_b64 v[1:2], v[61:62], off
	global_store_b64 v[3:4], v[63:64], off
	s_clause 0x1
	scratch_load_b128 v[0:3], off, off offset:128
	scratch_load_b128 v[61:64], off, off offset:144
	s_waitcnt vmcnt(8)
	s_clause 0x1
	global_store_b64 v[5:6], v[65:66], off
	global_store_b64 v[7:8], v[67:68], off
	s_clause 0x1
	scratch_load_b128 v[4:7], off, off offset:160
	scratch_load_b128 v[65:68], off, off offset:176
	;; [unrolled: 7-line block ×3, first 2 shown]
	s_waitcnt vmcnt(10)
	s_clause 0x1
	global_store_b64 v[13:14], v[73:74], off
	global_store_b64 v[15:16], v[75:76], off
	scratch_load_b128 v[12:15], off, off offset:224
	s_waitcnt vmcnt(10)
	s_clause 0x1
	global_store_b64 v[17:18], v[77:78], off
	global_store_b64 v[19:20], v[79:80], off
	s_waitcnt vmcnt(9)
	s_clause 0x1
	global_store_b64 v[23:24], v[81:82], off
	global_store_b64 v[25:26], v[83:84], off
	;; [unrolled: 4-line block ×11, first 2 shown]
.LBB29_576:
	s_endpgm
	.section	.rodata,"a",@progbits
	.p2align	6, 0x0
	.amdhsa_kernel _ZN9rocsolver6v33100L18trti2_kernel_smallILi30EdPdEEv13rocblas_fill_17rocblas_diagonal_T1_iil
		.amdhsa_group_segment_fixed_size 480
		.amdhsa_private_segment_fixed_size 256
		.amdhsa_kernarg_size 32
		.amdhsa_user_sgpr_count 15
		.amdhsa_user_sgpr_dispatch_ptr 0
		.amdhsa_user_sgpr_queue_ptr 0
		.amdhsa_user_sgpr_kernarg_segment_ptr 1
		.amdhsa_user_sgpr_dispatch_id 0
		.amdhsa_user_sgpr_private_segment_size 0
		.amdhsa_wavefront_size32 1
		.amdhsa_uses_dynamic_stack 0
		.amdhsa_enable_private_segment 1
		.amdhsa_system_sgpr_workgroup_id_x 1
		.amdhsa_system_sgpr_workgroup_id_y 0
		.amdhsa_system_sgpr_workgroup_id_z 0
		.amdhsa_system_sgpr_workgroup_info 0
		.amdhsa_system_vgpr_workitem_id 0
		.amdhsa_next_free_vgpr 96
		.amdhsa_next_free_sgpr 16
		.amdhsa_reserve_vcc 1
		.amdhsa_float_round_mode_32 0
		.amdhsa_float_round_mode_16_64 0
		.amdhsa_float_denorm_mode_32 3
		.amdhsa_float_denorm_mode_16_64 3
		.amdhsa_dx10_clamp 1
		.amdhsa_ieee_mode 1
		.amdhsa_fp16_overflow 0
		.amdhsa_workgroup_processor_mode 1
		.amdhsa_memory_ordered 1
		.amdhsa_forward_progress 0
		.amdhsa_shared_vgpr_count 0
		.amdhsa_exception_fp_ieee_invalid_op 0
		.amdhsa_exception_fp_denorm_src 0
		.amdhsa_exception_fp_ieee_div_zero 0
		.amdhsa_exception_fp_ieee_overflow 0
		.amdhsa_exception_fp_ieee_underflow 0
		.amdhsa_exception_fp_ieee_inexact 0
		.amdhsa_exception_int_div_zero 0
	.end_amdhsa_kernel
	.section	.text._ZN9rocsolver6v33100L18trti2_kernel_smallILi30EdPdEEv13rocblas_fill_17rocblas_diagonal_T1_iil,"axG",@progbits,_ZN9rocsolver6v33100L18trti2_kernel_smallILi30EdPdEEv13rocblas_fill_17rocblas_diagonal_T1_iil,comdat
.Lfunc_end29:
	.size	_ZN9rocsolver6v33100L18trti2_kernel_smallILi30EdPdEEv13rocblas_fill_17rocblas_diagonal_T1_iil, .Lfunc_end29-_ZN9rocsolver6v33100L18trti2_kernel_smallILi30EdPdEEv13rocblas_fill_17rocblas_diagonal_T1_iil
                                        ; -- End function
	.section	.AMDGPU.csdata,"",@progbits
; Kernel info:
; codeLenInByte = 16208
; NumSgprs: 18
; NumVgprs: 96
; ScratchSize: 256
; MemoryBound: 0
; FloatMode: 240
; IeeeMode: 1
; LDSByteSize: 480 bytes/workgroup (compile time only)
; SGPRBlocks: 2
; VGPRBlocks: 11
; NumSGPRsForWavesPerEU: 18
; NumVGPRsForWavesPerEU: 96
; Occupancy: 16
; WaveLimiterHint : 0
; COMPUTE_PGM_RSRC2:SCRATCH_EN: 1
; COMPUTE_PGM_RSRC2:USER_SGPR: 15
; COMPUTE_PGM_RSRC2:TRAP_HANDLER: 0
; COMPUTE_PGM_RSRC2:TGID_X_EN: 1
; COMPUTE_PGM_RSRC2:TGID_Y_EN: 0
; COMPUTE_PGM_RSRC2:TGID_Z_EN: 0
; COMPUTE_PGM_RSRC2:TIDIG_COMP_CNT: 0
	.section	.text._ZN9rocsolver6v33100L18trti2_kernel_smallILi31EdPdEEv13rocblas_fill_17rocblas_diagonal_T1_iil,"axG",@progbits,_ZN9rocsolver6v33100L18trti2_kernel_smallILi31EdPdEEv13rocblas_fill_17rocblas_diagonal_T1_iil,comdat
	.globl	_ZN9rocsolver6v33100L18trti2_kernel_smallILi31EdPdEEv13rocblas_fill_17rocblas_diagonal_T1_iil ; -- Begin function _ZN9rocsolver6v33100L18trti2_kernel_smallILi31EdPdEEv13rocblas_fill_17rocblas_diagonal_T1_iil
	.p2align	8
	.type	_ZN9rocsolver6v33100L18trti2_kernel_smallILi31EdPdEEv13rocblas_fill_17rocblas_diagonal_T1_iil,@function
_ZN9rocsolver6v33100L18trti2_kernel_smallILi31EdPdEEv13rocblas_fill_17rocblas_diagonal_T1_iil: ; @_ZN9rocsolver6v33100L18trti2_kernel_smallILi31EdPdEEv13rocblas_fill_17rocblas_diagonal_T1_iil
; %bb.0:
	s_mov_b32 s2, exec_lo
	v_cmpx_gt_u32_e32 31, v0
	s_cbranch_execz .LBB30_596
; %bb.1:
	s_load_b256 s[0:7], s[0:1], 0x0
	s_ashr_i32 s8, s15, 31
	v_lshlrev_b32_e32 v65, 3, v0
	s_waitcnt lgkmcnt(0)
	s_mul_i32 s7, s15, s7
	s_mul_hi_u32 s10, s15, s6
	s_mul_i32 s8, s8, s6
	s_add_i32 s7, s10, s7
	s_mul_i32 s6, s15, s6
	s_add_i32 s7, s7, s8
	s_ashr_i32 s9, s4, 31
	s_lshl_b64 s[6:7], s[6:7], 3
	s_mov_b32 s8, s4
	s_add_u32 s4, s2, s6
	s_addc_u32 s6, s3, s7
	s_lshl_b64 s[2:3], s[8:9], 3
	v_add3_u32 v5, s5, s5, v0
	s_add_u32 s2, s4, s2
	s_addc_u32 s3, s6, s3
	v_add_co_u32 v3, s4, s2, v65
	s_mov_b32 s10, s5
	s_ashr_i32 s11, s5, 31
	v_add_nc_u32_e32 v7, s5, v5
	v_add_co_ci_u32_e64 v4, null, s3, 0, s4
	s_lshl_b64 s[6:7], s[10:11], 3
	v_ashrrev_i32_e32 v6, 31, v5
	v_add_co_u32 v1, vcc_lo, v3, s6
	v_add_nc_u32_e32 v9, s5, v7
	v_add_co_ci_u32_e32 v2, vcc_lo, s7, v4, vcc_lo
	v_ashrrev_i32_e32 v8, 31, v7
	v_lshlrev_b64 v[5:6], 3, v[5:6]
	s_clause 0x1
	global_load_b64 v[31:32], v65, s[2:3]
	global_load_b64 v[33:34], v[1:2], off
	v_add_nc_u32_e32 v13, s5, v9
	v_ashrrev_i32_e32 v10, 31, v9
	v_lshlrev_b64 v[7:8], 3, v[7:8]
	s_cmpk_lg_i32 s1, 0x84
	v_add_co_u32 v11, vcc_lo, s2, v5
	v_ashrrev_i32_e32 v14, 31, v13
	v_add_co_ci_u32_e32 v12, vcc_lo, s3, v6, vcc_lo
	v_lshlrev_b64 v[5:6], 3, v[9:10]
	v_add_co_u32 v9, vcc_lo, s2, v7
	s_delay_alu instid0(VALU_DEP_4) | instskip(SKIP_1) | instid1(VALU_DEP_4)
	v_lshlrev_b64 v[14:15], 3, v[13:14]
	v_add_co_ci_u32_e32 v10, vcc_lo, s3, v8, vcc_lo
	v_add_co_u32 v7, vcc_lo, s2, v5
	v_add_co_ci_u32_e32 v8, vcc_lo, s3, v6, vcc_lo
	s_delay_alu instid0(VALU_DEP_4)
	v_add_co_u32 v5, vcc_lo, s2, v14
	v_add_co_ci_u32_e32 v6, vcc_lo, s3, v15, vcc_lo
	s_clause 0x3
	global_load_b64 v[39:40], v[11:12], off
	global_load_b64 v[41:42], v[9:10], off
	;; [unrolled: 1-line block ×4, first 2 shown]
	v_add_nc_u32_e32 v13, s5, v13
	s_delay_alu instid0(VALU_DEP_1) | instskip(SKIP_1) | instid1(VALU_DEP_2)
	v_add_nc_u32_e32 v15, s5, v13
	v_ashrrev_i32_e32 v14, 31, v13
	v_add_nc_u32_e32 v17, s5, v15
	v_ashrrev_i32_e32 v16, 31, v15
	s_delay_alu instid0(VALU_DEP_3) | instskip(NEXT) | instid1(VALU_DEP_3)
	v_lshlrev_b64 v[13:14], 3, v[13:14]
	v_add_nc_u32_e32 v19, s5, v17
	v_ashrrev_i32_e32 v18, 31, v17
	s_delay_alu instid0(VALU_DEP_4) | instskip(NEXT) | instid1(VALU_DEP_4)
	v_lshlrev_b64 v[15:16], 3, v[15:16]
	v_add_co_u32 v13, vcc_lo, s2, v13
	s_delay_alu instid0(VALU_DEP_4) | instskip(SKIP_3) | instid1(VALU_DEP_4)
	v_add_nc_u32_e32 v21, s5, v19
	v_ashrrev_i32_e32 v20, 31, v19
	v_lshlrev_b64 v[28:29], 3, v[17:18]
	v_add_co_ci_u32_e32 v14, vcc_lo, s3, v14, vcc_lo
	v_add_nc_u32_e32 v23, s5, v21
	v_ashrrev_i32_e32 v22, 31, v21
	v_add_co_u32 v17, vcc_lo, s2, v15
	v_lshlrev_b64 v[19:20], 3, v[19:20]
	s_delay_alu instid0(VALU_DEP_4) | instskip(SKIP_2) | instid1(VALU_DEP_3)
	v_add_nc_u32_e32 v25, s5, v23
	v_add_co_ci_u32_e32 v18, vcc_lo, s3, v16, vcc_lo
	v_add_co_u32 v15, vcc_lo, s2, v28
	v_add_nc_u32_e32 v27, s5, v25
	v_lshlrev_b64 v[21:22], 3, v[21:22]
	v_ashrrev_i32_e32 v24, 31, v23
	v_add_co_ci_u32_e32 v16, vcc_lo, s3, v29, vcc_lo
	s_delay_alu instid0(VALU_DEP_4) | instskip(SKIP_3) | instid1(VALU_DEP_4)
	v_add_nc_u32_e32 v35, s5, v27
	v_add_co_u32 v19, vcc_lo, s2, v19
	v_ashrrev_i32_e32 v26, 31, v25
	v_add_co_ci_u32_e32 v20, vcc_lo, s3, v20, vcc_lo
	v_add_nc_u32_e32 v37, s5, v35
	v_lshlrev_b64 v[29:30], 3, v[23:24]
	v_add_co_u32 v23, vcc_lo, s2, v21
	v_add_co_ci_u32_e32 v24, vcc_lo, s3, v22, vcc_lo
	s_delay_alu instid0(VALU_DEP_4) | instskip(SKIP_3) | instid1(VALU_DEP_4)
	v_add_nc_u32_e32 v63, s5, v37
	v_lshlrev_b64 v[21:22], 3, v[25:26]
	v_ashrrev_i32_e32 v28, 31, v27
	v_add_co_u32 v25, vcc_lo, s2, v29
	v_add_nc_u32_e32 v66, s5, v63
	s_clause 0x3
	global_load_b64 v[47:48], v[13:14], off
	global_load_b64 v[49:50], v[17:18], off
	;; [unrolled: 1-line block ×4, first 2 shown]
	v_add_co_ci_u32_e32 v26, vcc_lo, s3, v30, vcc_lo
	v_add_nc_u32_e32 v74, s5, v66
	v_lshlrev_b64 v[29:30], 3, v[27:28]
	v_add_co_u32 v27, vcc_lo, s2, v21
	v_ashrrev_i32_e32 v36, 31, v35
	s_delay_alu instid0(VALU_DEP_4) | instskip(SKIP_3) | instid1(VALU_DEP_4)
	v_add_nc_u32_e32 v76, s5, v74
	v_add_co_ci_u32_e32 v28, vcc_lo, s3, v22, vcc_lo
	v_ashrrev_i32_e32 v38, 31, v37
	v_ashrrev_i32_e32 v64, 31, v63
	v_add_nc_u32_e32 v78, s5, v76
	v_ashrrev_i32_e32 v67, 31, v66
	v_ashrrev_i32_e32 v75, 31, v74
	;; [unrolled: 1-line block ×3, first 2 shown]
	s_delay_alu instid0(VALU_DEP_4) | instskip(SKIP_1) | instid1(VALU_DEP_2)
	v_add_nc_u32_e32 v80, s5, v78
	v_ashrrev_i32_e32 v79, 31, v78
	v_add_nc_u32_e32 v82, s5, v80
	v_ashrrev_i32_e32 v81, 31, v80
	s_delay_alu instid0(VALU_DEP_2) | instskip(SKIP_1) | instid1(VALU_DEP_2)
	v_add_nc_u32_e32 v84, s5, v82
	v_ashrrev_i32_e32 v83, 31, v82
	v_add_nc_u32_e32 v86, s5, v84
	v_ashrrev_i32_e32 v85, 31, v84
	s_delay_alu instid0(VALU_DEP_2) | instskip(SKIP_1) | instid1(VALU_DEP_2)
	;; [unrolled: 5-line block ×4, first 2 shown]
	v_add_nc_u32_e32 v96, s5, v94
	v_ashrrev_i32_e32 v95, 31, v94
	v_add_nc_u32_e32 v55, s5, v96
	v_ashrrev_i32_e32 v97, 31, v96
	s_delay_alu instid0(VALU_DEP_2) | instskip(NEXT) | instid1(VALU_DEP_1)
	v_ashrrev_i32_e32 v56, 31, v55
	v_lshlrev_b64 v[55:56], 3, v[55:56]
	s_delay_alu instid0(VALU_DEP_1) | instskip(NEXT) | instid1(VALU_DEP_2)
	v_add_co_u32 v21, vcc_lo, s2, v55
	v_add_co_ci_u32_e32 v22, vcc_lo, s3, v56, vcc_lo
	v_add_co_u32 v29, vcc_lo, s2, v29
	v_add_co_ci_u32_e32 v30, vcc_lo, s3, v30, vcc_lo
	global_load_b64 v[98:99], v[21:22], off
	s_waitcnt vmcnt(9)
	scratch_store_b128 off, v[31:34], off
	v_lshlrev_b64 v[31:32], 3, v[35:36]
	s_clause 0x3
	global_load_b64 v[55:56], v[23:24], off
	global_load_b64 v[57:58], v[25:26], off
	;; [unrolled: 1-line block ×4, first 2 shown]
	v_lshlrev_b64 v[33:34], 3, v[37:38]
	v_lshlrev_b64 v[35:36], 3, v[63:64]
	;; [unrolled: 1-line block ×4, first 2 shown]
	v_add_co_u32 v31, vcc_lo, s2, v31
	v_add_co_ci_u32_e32 v32, vcc_lo, s3, v32, vcc_lo
	v_add_co_u32 v33, vcc_lo, s2, v33
	v_add_co_ci_u32_e32 v34, vcc_lo, s3, v34, vcc_lo
	;; [unrolled: 2-line block ×4, first 2 shown]
	s_waitcnt vmcnt(11)
	scratch_store_b128 off, v[39:42], off offset:16
	s_clause 0x1
	global_load_b64 v[66:67], v[31:32], off
	global_load_b64 v[68:69], v[33:34], off
	s_waitcnt vmcnt(11)
	scratch_store_b128 off, v[43:46], off offset:32
	s_clause 0x1
	global_load_b64 v[70:71], v[35:36], off
	global_load_b64 v[72:73], v[37:38], off
	v_lshlrev_b64 v[39:40], 3, v[74:75]
	v_lshlrev_b64 v[41:42], 3, v[76:77]
	;; [unrolled: 1-line block ×4, first 2 shown]
	s_waitcnt vmcnt(11)
	scratch_store_b128 off, v[47:50], off offset:48
	s_waitcnt vmcnt(9)
	scratch_store_b128 off, v[51:54], off offset:64
	v_add_co_u32 v39, vcc_lo, s2, v39
	v_add_co_ci_u32_e32 v40, vcc_lo, s3, v40, vcc_lo
	v_add_co_u32 v41, vcc_lo, s2, v41
	v_add_co_ci_u32_e32 v42, vcc_lo, s3, v42, vcc_lo
	;; [unrolled: 2-line block ×3, first 2 shown]
	v_add_co_u32 v45, vcc_lo, s2, v45
	v_lshlrev_b64 v[49:50], 3, v[84:85]
	v_add_co_ci_u32_e32 v46, vcc_lo, s3, v46, vcc_lo
	v_add_co_u32 v47, vcc_lo, s2, v63
	v_lshlrev_b64 v[51:52], 3, v[86:87]
	v_add_co_ci_u32_e32 v48, vcc_lo, s3, v64, vcc_lo
	;; [unrolled: 3-line block ×4, first 2 shown]
	s_clause 0x2
	global_load_b64 v[74:75], v[39:40], off
	global_load_b64 v[76:77], v[41:42], off
	;; [unrolled: 1-line block ×3, first 2 shown]
	v_add_co_u32 v53, vcc_lo, s2, v53
	v_add_co_ci_u32_e32 v54, vcc_lo, s3, v54, vcc_lo
	s_waitcnt vmcnt(9)
	scratch_store_b128 off, v[55:58], off offset:80
	s_waitcnt vmcnt(7)
	scratch_store_b128 off, v[59:62], off offset:96
	v_lshlrev_b64 v[57:58], 3, v[92:93]
	v_add_co_u32 v55, vcc_lo, s2, v63
	v_lshlrev_b64 v[59:60], 3, v[94:95]
	v_add_co_ci_u32_e32 v56, vcc_lo, s3, v64, vcc_lo
	s_delay_alu instid0(VALU_DEP_4) | instskip(SKIP_4) | instid1(VALU_DEP_4)
	v_add_co_u32 v57, vcc_lo, s2, v57
	v_lshlrev_b64 v[61:62], 3, v[96:97]
	v_add_co_ci_u32_e32 v58, vcc_lo, s3, v58, vcc_lo
	v_add_co_u32 v59, vcc_lo, s2, v59
	v_add_co_ci_u32_e32 v60, vcc_lo, s3, v60, vcc_lo
	v_add_co_u32 v61, vcc_lo, s2, v61
	v_add_co_ci_u32_e32 v62, vcc_lo, s3, v62, vcc_lo
	s_clause 0x3
	global_load_b64 v[80:81], v[45:46], off
	global_load_b64 v[82:83], v[47:48], off
	;; [unrolled: 1-line block ×4, first 2 shown]
	v_mov_b32_e32 v63, 0
	s_waitcnt vmcnt(9)
	scratch_store_b128 off, v[66:69], off offset:112
	s_clause 0x2
	global_load_b64 v[88:89], v[53:54], off
	global_load_b64 v[66:67], v[55:56], off
	global_load_b64 v[68:69], v[57:58], off
	s_waitcnt vmcnt(10)
	scratch_store_b128 off, v[70:73], off offset:128
	s_clause 0x1
	global_load_b64 v[72:73], v[61:62], off
	global_load_b64 v[70:71], v[59:60], off
	v_mov_b32_e32 v64, 0xbff00000
	s_cselect_b32 s2, -1, 0
	s_cmpk_eq_i32 s1, 0x84
	s_waitcnt vmcnt(10)
	scratch_store_b128 off, v[74:77], off offset:144
	s_waitcnt vmcnt(8)
	scratch_store_b128 off, v[78:81], off offset:160
	;; [unrolled: 2-line block ×5, first 2 shown]
	s_waitcnt vmcnt(0)
	s_clause 0x1
	scratch_store_b128 off, v[70:73], off offset:224
	scratch_store_b64 off, v[98:99], off offset:240
	s_cbranch_scc1 .LBB30_3
; %bb.2:
	scratch_load_b64 v[63:64], v65, off
	s_waitcnt vmcnt(0)
	v_div_scale_f64 v[66:67], null, v[63:64], v[63:64], 1.0
	v_div_scale_f64 v[72:73], vcc_lo, 1.0, v[63:64], 1.0
	s_delay_alu instid0(VALU_DEP_2) | instskip(SKIP_2) | instid1(VALU_DEP_1)
	v_rcp_f64_e32 v[68:69], v[66:67]
	s_waitcnt_depctr 0xfff
	v_fma_f64 v[70:71], -v[66:67], v[68:69], 1.0
	v_fma_f64 v[68:69], v[68:69], v[70:71], v[68:69]
	s_delay_alu instid0(VALU_DEP_1) | instskip(NEXT) | instid1(VALU_DEP_1)
	v_fma_f64 v[70:71], -v[66:67], v[68:69], 1.0
	v_fma_f64 v[68:69], v[68:69], v[70:71], v[68:69]
	s_delay_alu instid0(VALU_DEP_1) | instskip(NEXT) | instid1(VALU_DEP_1)
	v_mul_f64 v[70:71], v[72:73], v[68:69]
	v_fma_f64 v[66:67], -v[66:67], v[70:71], v[72:73]
	s_delay_alu instid0(VALU_DEP_1) | instskip(NEXT) | instid1(VALU_DEP_1)
	v_div_fmas_f64 v[66:67], v[66:67], v[68:69], v[70:71]
	v_div_fixup_f64 v[63:64], v[66:67], v[63:64], 1.0
	scratch_store_b64 v65, v[63:64], off
	v_xor_b32_e32 v64, 0x80000000, v64
.LBB30_3:
	v_add_nc_u32_e32 v66, 0x100, v65
	v_add_nc_u32_e32 v67, 0, v65
	s_cmpk_eq_i32 s0, 0x79
	s_mov_b32 s0, -1
	ds_store_b64 v65, v[63:64]
	s_cbranch_scc1 .LBB30_299
; %bb.4:
	scratch_load_b64 v[63:64], off, off offset:232
	v_cmp_eq_u32_e64 s1, 30, v0
	s_movk_i32 s0, 0x50
	s_movk_i32 s3, 0x60
	;; [unrolled: 1-line block ×10, first 2 shown]
	s_waitcnt vmcnt(0)
	ds_store_b64 v66, v[63:64]
	s_waitcnt lgkmcnt(0)
	s_waitcnt_vscnt null, 0x0
	s_barrier
	buffer_gl0_inv
	s_and_saveexec_b32 s12, s1
	s_cbranch_execz .LBB30_10
; %bb.5:
	s_and_b32 vcc_lo, exec_lo, s2
	s_cbranch_vccz .LBB30_7
; %bb.6:
	scratch_load_b64 v[63:64], v67, off
	ds_load_b64 v[68:69], v66
	s_waitcnt vmcnt(0) lgkmcnt(0)
	v_mul_f64 v[63:64], v[63:64], v[68:69]
	s_cbranch_execz .LBB30_8
	s_branch .LBB30_9
.LBB30_7:
                                        ; implicit-def: $vgpr63_vgpr64
.LBB30_8:
	ds_load_b64 v[63:64], v66
.LBB30_9:
	v_mov_b32_e32 v68, 0
	ds_load_b64 v[68:69], v68 offset:232
	s_waitcnt lgkmcnt(0)
	v_mul_f64 v[63:64], v[63:64], v[68:69]
	scratch_store_b64 off, v[63:64], off offset:232
.LBB30_10:
	s_or_b32 exec_lo, exec_lo, s12
	scratch_load_b64 v[63:64], off, off offset:224
	v_add_nc_u32_e64 v68, 0, 16
	v_add_nc_u32_e64 v69, 0, 32
	;; [unrolled: 1-line block ×14, first 2 shown]
	v_cmp_lt_u32_e64 s0, 28, v0
	s_waitcnt vmcnt(0)
	ds_store_b64 v66, v[63:64]
	s_waitcnt lgkmcnt(0)
	s_waitcnt_vscnt null, 0x0
	s_barrier
	buffer_gl0_inv
	s_and_saveexec_b32 s3, s0
	s_cbranch_execz .LBB30_18
; %bb.11:
	s_and_not1_b32 vcc_lo, exec_lo, s2
	s_cbranch_vccnz .LBB30_13
; %bb.12:
	scratch_load_b64 v[63:64], v67, off
	ds_load_b64 v[82:83], v66
	s_waitcnt vmcnt(0) lgkmcnt(0)
	v_mul_f64 v[63:64], v[63:64], v[82:83]
	s_cbranch_execz .LBB30_14
	s_branch .LBB30_15
.LBB30_13:
                                        ; implicit-def: $vgpr63_vgpr64
.LBB30_14:
	ds_load_b64 v[63:64], v66
.LBB30_15:
	s_and_saveexec_b32 s4, s1
	s_cbranch_execz .LBB30_17
; %bb.16:
	scratch_load_b64 v[82:83], off, off offset:232
	v_mov_b32_e32 v84, 0
	ds_load_b64 v[84:85], v84 offset:488
	s_waitcnt vmcnt(0) lgkmcnt(0)
	v_fma_f64 v[63:64], v[82:83], v[84:85], v[63:64]
.LBB30_17:
	s_or_b32 exec_lo, exec_lo, s4
	v_mov_b32_e32 v82, 0
	ds_load_b64 v[82:83], v82 offset:224
	s_waitcnt lgkmcnt(0)
	v_mul_f64 v[63:64], v[63:64], v[82:83]
	scratch_store_b64 off, v[63:64], off offset:224
.LBB30_18:
	s_or_b32 exec_lo, exec_lo, s3
	scratch_load_b64 v[63:64], off, off offset:216
	v_cmp_lt_u32_e64 s1, 27, v0
	s_waitcnt vmcnt(0)
	ds_store_b64 v66, v[63:64]
	s_waitcnt lgkmcnt(0)
	s_waitcnt_vscnt null, 0x0
	s_barrier
	buffer_gl0_inv
	s_and_saveexec_b32 s3, s1
	s_cbranch_execz .LBB30_28
; %bb.19:
	s_and_not1_b32 vcc_lo, exec_lo, s2
	s_cbranch_vccnz .LBB30_21
; %bb.20:
	scratch_load_b64 v[63:64], v67, off
	ds_load_b64 v[82:83], v66
	s_waitcnt vmcnt(0) lgkmcnt(0)
	v_mul_f64 v[63:64], v[63:64], v[82:83]
	s_cbranch_execz .LBB30_22
	s_branch .LBB30_23
.LBB30_21:
                                        ; implicit-def: $vgpr63_vgpr64
.LBB30_22:
	ds_load_b64 v[63:64], v66
.LBB30_23:
	s_and_saveexec_b32 s4, s0
	s_cbranch_execz .LBB30_27
; %bb.24:
	v_subrev_nc_u32_e32 v82, 28, v0
	s_movk_i32 s5, 0x1e0
	s_mov_b32 s0, 0
.LBB30_25:                              ; =>This Inner Loop Header: Depth=1
	scratch_load_b64 v[83:84], v81, off
	v_dual_mov_b32 v85, s5 :: v_dual_add_nc_u32 v82, -1, v82
	v_add_nc_u32_e32 v81, 8, v81
	s_add_i32 s5, s5, 8
	ds_load_b64 v[85:86], v85
	v_cmp_eq_u32_e32 vcc_lo, 0, v82
	s_or_b32 s0, vcc_lo, s0
	s_waitcnt vmcnt(0) lgkmcnt(0)
	v_fma_f64 v[63:64], v[83:84], v[85:86], v[63:64]
	s_and_not1_b32 exec_lo, exec_lo, s0
	s_cbranch_execnz .LBB30_25
; %bb.26:
	s_or_b32 exec_lo, exec_lo, s0
.LBB30_27:
	s_delay_alu instid0(SALU_CYCLE_1)
	s_or_b32 exec_lo, exec_lo, s4
	v_mov_b32_e32 v81, 0
	ds_load_b64 v[81:82], v81 offset:216
	s_waitcnt lgkmcnt(0)
	v_mul_f64 v[63:64], v[63:64], v[81:82]
	scratch_store_b64 off, v[63:64], off offset:216
.LBB30_28:
	s_or_b32 exec_lo, exec_lo, s3
	scratch_load_b64 v[63:64], off, off offset:208
	v_cmp_lt_u32_e64 s0, 26, v0
	s_waitcnt vmcnt(0)
	ds_store_b64 v66, v[63:64]
	s_waitcnt lgkmcnt(0)
	s_waitcnt_vscnt null, 0x0
	s_barrier
	buffer_gl0_inv
	s_and_saveexec_b32 s3, s0
	s_cbranch_execz .LBB30_38
; %bb.29:
	s_and_not1_b32 vcc_lo, exec_lo, s2
	s_cbranch_vccnz .LBB30_31
; %bb.30:
	scratch_load_b64 v[63:64], v67, off
	ds_load_b64 v[81:82], v66
	s_waitcnt vmcnt(0) lgkmcnt(0)
	v_mul_f64 v[63:64], v[63:64], v[81:82]
	s_cbranch_execz .LBB30_32
	s_branch .LBB30_33
.LBB30_31:
                                        ; implicit-def: $vgpr63_vgpr64
.LBB30_32:
	ds_load_b64 v[63:64], v66
.LBB30_33:
	s_and_saveexec_b32 s4, s1
	s_cbranch_execz .LBB30_37
; %bb.34:
	v_mov_b32_e32 v81, 0
	v_subrev_nc_u32_e32 v82, 27, v0
	s_movk_i32 s5, 0x1d8
	s_mov_b32 s1, 0
	s_delay_alu instid0(VALU_DEP_2)
	v_add_nc_u32_e32 v81, 0xd8, v81
.LBB30_35:                              ; =>This Inner Loop Header: Depth=1
	scratch_load_b64 v[83:84], v81, off
	v_dual_mov_b32 v85, s5 :: v_dual_add_nc_u32 v82, -1, v82
	v_add_nc_u32_e32 v81, 8, v81
	s_add_i32 s5, s5, 8
	ds_load_b64 v[85:86], v85
	v_cmp_eq_u32_e32 vcc_lo, 0, v82
	s_or_b32 s1, vcc_lo, s1
	s_waitcnt vmcnt(0) lgkmcnt(0)
	v_fma_f64 v[63:64], v[83:84], v[85:86], v[63:64]
	s_and_not1_b32 exec_lo, exec_lo, s1
	s_cbranch_execnz .LBB30_35
; %bb.36:
	s_or_b32 exec_lo, exec_lo, s1
.LBB30_37:
	s_delay_alu instid0(SALU_CYCLE_1)
	s_or_b32 exec_lo, exec_lo, s4
	v_mov_b32_e32 v81, 0
	ds_load_b64 v[81:82], v81 offset:208
	s_waitcnt lgkmcnt(0)
	v_mul_f64 v[63:64], v[63:64], v[81:82]
	scratch_store_b64 off, v[63:64], off offset:208
.LBB30_38:
	s_or_b32 exec_lo, exec_lo, s3
	scratch_load_b64 v[63:64], off, off offset:200
	v_cmp_lt_u32_e64 s1, 25, v0
	s_waitcnt vmcnt(0)
	ds_store_b64 v66, v[63:64]
	s_waitcnt lgkmcnt(0)
	s_waitcnt_vscnt null, 0x0
	s_barrier
	buffer_gl0_inv
	s_and_saveexec_b32 s3, s1
	s_cbranch_execz .LBB30_48
; %bb.39:
	s_and_not1_b32 vcc_lo, exec_lo, s2
	s_cbranch_vccnz .LBB30_41
; %bb.40:
	scratch_load_b64 v[63:64], v67, off
	ds_load_b64 v[81:82], v66
	s_waitcnt vmcnt(0) lgkmcnt(0)
	v_mul_f64 v[63:64], v[63:64], v[81:82]
	s_cbranch_execz .LBB30_42
	s_branch .LBB30_43
.LBB30_41:
                                        ; implicit-def: $vgpr63_vgpr64
.LBB30_42:
	ds_load_b64 v[63:64], v66
.LBB30_43:
	s_and_saveexec_b32 s4, s0
	s_cbranch_execz .LBB30_47
; %bb.44:
	v_subrev_nc_u32_e32 v81, 26, v0
	s_movk_i32 s5, 0x1d0
	s_mov_b32 s0, 0
.LBB30_45:                              ; =>This Inner Loop Header: Depth=1
	scratch_load_b64 v[82:83], v80, off
	v_dual_mov_b32 v84, s5 :: v_dual_add_nc_u32 v81, -1, v81
	v_add_nc_u32_e32 v80, 8, v80
	s_add_i32 s5, s5, 8
	ds_load_b64 v[84:85], v84
	v_cmp_eq_u32_e32 vcc_lo, 0, v81
	s_or_b32 s0, vcc_lo, s0
	s_waitcnt vmcnt(0) lgkmcnt(0)
	v_fma_f64 v[63:64], v[82:83], v[84:85], v[63:64]
	s_and_not1_b32 exec_lo, exec_lo, s0
	s_cbranch_execnz .LBB30_45
; %bb.46:
	s_or_b32 exec_lo, exec_lo, s0
.LBB30_47:
	s_delay_alu instid0(SALU_CYCLE_1)
	s_or_b32 exec_lo, exec_lo, s4
	v_mov_b32_e32 v80, 0
	ds_load_b64 v[80:81], v80 offset:200
	s_waitcnt lgkmcnt(0)
	v_mul_f64 v[63:64], v[63:64], v[80:81]
	scratch_store_b64 off, v[63:64], off offset:200
.LBB30_48:
	s_or_b32 exec_lo, exec_lo, s3
	scratch_load_b64 v[63:64], off, off offset:192
	v_cmp_lt_u32_e64 s0, 24, v0
	s_waitcnt vmcnt(0)
	ds_store_b64 v66, v[63:64]
	s_waitcnt lgkmcnt(0)
	s_waitcnt_vscnt null, 0x0
	s_barrier
	buffer_gl0_inv
	s_and_saveexec_b32 s3, s0
	s_cbranch_execz .LBB30_58
; %bb.49:
	s_and_not1_b32 vcc_lo, exec_lo, s2
	s_cbranch_vccnz .LBB30_51
; %bb.50:
	scratch_load_b64 v[63:64], v67, off
	ds_load_b64 v[80:81], v66
	s_waitcnt vmcnt(0) lgkmcnt(0)
	v_mul_f64 v[63:64], v[63:64], v[80:81]
	s_cbranch_execz .LBB30_52
	s_branch .LBB30_53
.LBB30_51:
                                        ; implicit-def: $vgpr63_vgpr64
.LBB30_52:
	ds_load_b64 v[63:64], v66
.LBB30_53:
	s_and_saveexec_b32 s4, s1
	s_cbranch_execz .LBB30_57
; %bb.54:
	v_mov_b32_e32 v80, 0
	v_subrev_nc_u32_e32 v81, 25, v0
	s_movk_i32 s5, 0x1c8
	s_mov_b32 s1, 0
	s_delay_alu instid0(VALU_DEP_2)
	v_add_nc_u32_e32 v80, 0xc8, v80
.LBB30_55:                              ; =>This Inner Loop Header: Depth=1
	scratch_load_b64 v[82:83], v80, off
	v_dual_mov_b32 v84, s5 :: v_dual_add_nc_u32 v81, -1, v81
	v_add_nc_u32_e32 v80, 8, v80
	s_add_i32 s5, s5, 8
	ds_load_b64 v[84:85], v84
	v_cmp_eq_u32_e32 vcc_lo, 0, v81
	s_or_b32 s1, vcc_lo, s1
	s_waitcnt vmcnt(0) lgkmcnt(0)
	v_fma_f64 v[63:64], v[82:83], v[84:85], v[63:64]
	s_and_not1_b32 exec_lo, exec_lo, s1
	s_cbranch_execnz .LBB30_55
; %bb.56:
	s_or_b32 exec_lo, exec_lo, s1
.LBB30_57:
	s_delay_alu instid0(SALU_CYCLE_1)
	s_or_b32 exec_lo, exec_lo, s4
	v_mov_b32_e32 v80, 0
	ds_load_b64 v[80:81], v80 offset:192
	s_waitcnt lgkmcnt(0)
	v_mul_f64 v[63:64], v[63:64], v[80:81]
	scratch_store_b64 off, v[63:64], off offset:192
.LBB30_58:
	s_or_b32 exec_lo, exec_lo, s3
	scratch_load_b64 v[63:64], off, off offset:184
	v_cmp_lt_u32_e64 s1, 23, v0
	s_waitcnt vmcnt(0)
	ds_store_b64 v66, v[63:64]
	s_waitcnt lgkmcnt(0)
	s_waitcnt_vscnt null, 0x0
	s_barrier
	buffer_gl0_inv
	s_and_saveexec_b32 s3, s1
	s_cbranch_execz .LBB30_68
; %bb.59:
	s_and_not1_b32 vcc_lo, exec_lo, s2
	s_cbranch_vccnz .LBB30_61
; %bb.60:
	scratch_load_b64 v[63:64], v67, off
	ds_load_b64 v[80:81], v66
	s_waitcnt vmcnt(0) lgkmcnt(0)
	v_mul_f64 v[63:64], v[63:64], v[80:81]
	s_cbranch_execz .LBB30_62
	s_branch .LBB30_63
.LBB30_61:
                                        ; implicit-def: $vgpr63_vgpr64
.LBB30_62:
	ds_load_b64 v[63:64], v66
.LBB30_63:
	s_and_saveexec_b32 s4, s0
	s_cbranch_execz .LBB30_67
; %bb.64:
	v_subrev_nc_u32_e32 v80, 24, v0
	s_movk_i32 s5, 0x1c0
	s_mov_b32 s0, 0
.LBB30_65:                              ; =>This Inner Loop Header: Depth=1
	scratch_load_b64 v[81:82], v79, off
	v_dual_mov_b32 v83, s5 :: v_dual_add_nc_u32 v80, -1, v80
	v_add_nc_u32_e32 v79, 8, v79
	s_add_i32 s5, s5, 8
	ds_load_b64 v[83:84], v83
	v_cmp_eq_u32_e32 vcc_lo, 0, v80
	s_or_b32 s0, vcc_lo, s0
	s_waitcnt vmcnt(0) lgkmcnt(0)
	v_fma_f64 v[63:64], v[81:82], v[83:84], v[63:64]
	s_and_not1_b32 exec_lo, exec_lo, s0
	s_cbranch_execnz .LBB30_65
; %bb.66:
	s_or_b32 exec_lo, exec_lo, s0
.LBB30_67:
	s_delay_alu instid0(SALU_CYCLE_1)
	s_or_b32 exec_lo, exec_lo, s4
	v_mov_b32_e32 v79, 0
	ds_load_b64 v[79:80], v79 offset:184
	s_waitcnt lgkmcnt(0)
	v_mul_f64 v[63:64], v[63:64], v[79:80]
	scratch_store_b64 off, v[63:64], off offset:184
.LBB30_68:
	s_or_b32 exec_lo, exec_lo, s3
	scratch_load_b64 v[63:64], off, off offset:176
	v_cmp_lt_u32_e64 s0, 22, v0
	s_waitcnt vmcnt(0)
	ds_store_b64 v66, v[63:64]
	s_waitcnt lgkmcnt(0)
	s_waitcnt_vscnt null, 0x0
	s_barrier
	buffer_gl0_inv
	s_and_saveexec_b32 s3, s0
	s_cbranch_execz .LBB30_78
; %bb.69:
	s_and_not1_b32 vcc_lo, exec_lo, s2
	s_cbranch_vccnz .LBB30_71
; %bb.70:
	scratch_load_b64 v[63:64], v67, off
	ds_load_b64 v[79:80], v66
	s_waitcnt vmcnt(0) lgkmcnt(0)
	v_mul_f64 v[63:64], v[63:64], v[79:80]
	s_cbranch_execz .LBB30_72
	s_branch .LBB30_73
.LBB30_71:
                                        ; implicit-def: $vgpr63_vgpr64
.LBB30_72:
	ds_load_b64 v[63:64], v66
.LBB30_73:
	s_and_saveexec_b32 s4, s1
	s_cbranch_execz .LBB30_77
; %bb.74:
	v_mov_b32_e32 v79, 0
	v_subrev_nc_u32_e32 v80, 23, v0
	s_movk_i32 s5, 0x1b8
	s_mov_b32 s1, 0
	s_delay_alu instid0(VALU_DEP_2)
	v_add_nc_u32_e32 v79, 0xb8, v79
.LBB30_75:                              ; =>This Inner Loop Header: Depth=1
	scratch_load_b64 v[81:82], v79, off
	v_dual_mov_b32 v83, s5 :: v_dual_add_nc_u32 v80, -1, v80
	v_add_nc_u32_e32 v79, 8, v79
	s_add_i32 s5, s5, 8
	ds_load_b64 v[83:84], v83
	v_cmp_eq_u32_e32 vcc_lo, 0, v80
	s_or_b32 s1, vcc_lo, s1
	s_waitcnt vmcnt(0) lgkmcnt(0)
	v_fma_f64 v[63:64], v[81:82], v[83:84], v[63:64]
	s_and_not1_b32 exec_lo, exec_lo, s1
	s_cbranch_execnz .LBB30_75
; %bb.76:
	s_or_b32 exec_lo, exec_lo, s1
.LBB30_77:
	s_delay_alu instid0(SALU_CYCLE_1)
	s_or_b32 exec_lo, exec_lo, s4
	v_mov_b32_e32 v79, 0
	ds_load_b64 v[79:80], v79 offset:176
	s_waitcnt lgkmcnt(0)
	v_mul_f64 v[63:64], v[63:64], v[79:80]
	scratch_store_b64 off, v[63:64], off offset:176
.LBB30_78:
	s_or_b32 exec_lo, exec_lo, s3
	scratch_load_b64 v[63:64], off, off offset:168
	v_cmp_lt_u32_e64 s1, 21, v0
	s_waitcnt vmcnt(0)
	ds_store_b64 v66, v[63:64]
	s_waitcnt lgkmcnt(0)
	s_waitcnt_vscnt null, 0x0
	s_barrier
	buffer_gl0_inv
	s_and_saveexec_b32 s3, s1
	s_cbranch_execz .LBB30_88
; %bb.79:
	s_and_not1_b32 vcc_lo, exec_lo, s2
	s_cbranch_vccnz .LBB30_81
; %bb.80:
	scratch_load_b64 v[63:64], v67, off
	ds_load_b64 v[79:80], v66
	s_waitcnt vmcnt(0) lgkmcnt(0)
	v_mul_f64 v[63:64], v[63:64], v[79:80]
	s_cbranch_execz .LBB30_82
	s_branch .LBB30_83
.LBB30_81:
                                        ; implicit-def: $vgpr63_vgpr64
.LBB30_82:
	ds_load_b64 v[63:64], v66
.LBB30_83:
	s_and_saveexec_b32 s4, s0
	s_cbranch_execz .LBB30_87
; %bb.84:
	v_subrev_nc_u32_e32 v79, 22, v0
	s_movk_i32 s5, 0x1b0
	s_mov_b32 s0, 0
.LBB30_85:                              ; =>This Inner Loop Header: Depth=1
	scratch_load_b64 v[80:81], v78, off
	v_dual_mov_b32 v82, s5 :: v_dual_add_nc_u32 v79, -1, v79
	v_add_nc_u32_e32 v78, 8, v78
	s_add_i32 s5, s5, 8
	ds_load_b64 v[82:83], v82
	v_cmp_eq_u32_e32 vcc_lo, 0, v79
	s_or_b32 s0, vcc_lo, s0
	s_waitcnt vmcnt(0) lgkmcnt(0)
	v_fma_f64 v[63:64], v[80:81], v[82:83], v[63:64]
	s_and_not1_b32 exec_lo, exec_lo, s0
	s_cbranch_execnz .LBB30_85
; %bb.86:
	s_or_b32 exec_lo, exec_lo, s0
.LBB30_87:
	s_delay_alu instid0(SALU_CYCLE_1)
	s_or_b32 exec_lo, exec_lo, s4
	v_mov_b32_e32 v78, 0
	ds_load_b64 v[78:79], v78 offset:168
	s_waitcnt lgkmcnt(0)
	v_mul_f64 v[63:64], v[63:64], v[78:79]
	scratch_store_b64 off, v[63:64], off offset:168
.LBB30_88:
	s_or_b32 exec_lo, exec_lo, s3
	scratch_load_b64 v[63:64], off, off offset:160
	v_cmp_lt_u32_e64 s0, 20, v0
	s_waitcnt vmcnt(0)
	ds_store_b64 v66, v[63:64]
	s_waitcnt lgkmcnt(0)
	s_waitcnt_vscnt null, 0x0
	s_barrier
	buffer_gl0_inv
	s_and_saveexec_b32 s3, s0
	s_cbranch_execz .LBB30_98
; %bb.89:
	s_and_not1_b32 vcc_lo, exec_lo, s2
	s_cbranch_vccnz .LBB30_91
; %bb.90:
	scratch_load_b64 v[63:64], v67, off
	ds_load_b64 v[78:79], v66
	s_waitcnt vmcnt(0) lgkmcnt(0)
	v_mul_f64 v[63:64], v[63:64], v[78:79]
	s_cbranch_execz .LBB30_92
	s_branch .LBB30_93
.LBB30_91:
                                        ; implicit-def: $vgpr63_vgpr64
.LBB30_92:
	ds_load_b64 v[63:64], v66
.LBB30_93:
	s_and_saveexec_b32 s4, s1
	s_cbranch_execz .LBB30_97
; %bb.94:
	v_mov_b32_e32 v78, 0
	v_subrev_nc_u32_e32 v79, 21, v0
	s_movk_i32 s5, 0x1a8
	s_mov_b32 s1, 0
	s_delay_alu instid0(VALU_DEP_2)
	v_add_nc_u32_e32 v78, 0xa8, v78
.LBB30_95:                              ; =>This Inner Loop Header: Depth=1
	scratch_load_b64 v[80:81], v78, off
	v_dual_mov_b32 v82, s5 :: v_dual_add_nc_u32 v79, -1, v79
	v_add_nc_u32_e32 v78, 8, v78
	s_add_i32 s5, s5, 8
	ds_load_b64 v[82:83], v82
	v_cmp_eq_u32_e32 vcc_lo, 0, v79
	s_or_b32 s1, vcc_lo, s1
	s_waitcnt vmcnt(0) lgkmcnt(0)
	v_fma_f64 v[63:64], v[80:81], v[82:83], v[63:64]
	s_and_not1_b32 exec_lo, exec_lo, s1
	s_cbranch_execnz .LBB30_95
; %bb.96:
	s_or_b32 exec_lo, exec_lo, s1
.LBB30_97:
	s_delay_alu instid0(SALU_CYCLE_1)
	s_or_b32 exec_lo, exec_lo, s4
	v_mov_b32_e32 v78, 0
	ds_load_b64 v[78:79], v78 offset:160
	s_waitcnt lgkmcnt(0)
	v_mul_f64 v[63:64], v[63:64], v[78:79]
	scratch_store_b64 off, v[63:64], off offset:160
.LBB30_98:
	s_or_b32 exec_lo, exec_lo, s3
	scratch_load_b64 v[63:64], off, off offset:152
	v_cmp_lt_u32_e64 s1, 19, v0
	s_waitcnt vmcnt(0)
	ds_store_b64 v66, v[63:64]
	s_waitcnt lgkmcnt(0)
	s_waitcnt_vscnt null, 0x0
	s_barrier
	buffer_gl0_inv
	s_and_saveexec_b32 s3, s1
	s_cbranch_execz .LBB30_108
; %bb.99:
	s_and_not1_b32 vcc_lo, exec_lo, s2
	s_cbranch_vccnz .LBB30_101
; %bb.100:
	scratch_load_b64 v[63:64], v67, off
	ds_load_b64 v[78:79], v66
	s_waitcnt vmcnt(0) lgkmcnt(0)
	v_mul_f64 v[63:64], v[63:64], v[78:79]
	s_cbranch_execz .LBB30_102
	s_branch .LBB30_103
.LBB30_101:
                                        ; implicit-def: $vgpr63_vgpr64
.LBB30_102:
	ds_load_b64 v[63:64], v66
.LBB30_103:
	s_and_saveexec_b32 s4, s0
	s_cbranch_execz .LBB30_107
; %bb.104:
	v_subrev_nc_u32_e32 v78, 20, v0
	s_movk_i32 s5, 0x1a0
	s_mov_b32 s0, 0
.LBB30_105:                             ; =>This Inner Loop Header: Depth=1
	scratch_load_b64 v[79:80], v77, off
	v_dual_mov_b32 v81, s5 :: v_dual_add_nc_u32 v78, -1, v78
	v_add_nc_u32_e32 v77, 8, v77
	s_add_i32 s5, s5, 8
	ds_load_b64 v[81:82], v81
	v_cmp_eq_u32_e32 vcc_lo, 0, v78
	s_or_b32 s0, vcc_lo, s0
	s_waitcnt vmcnt(0) lgkmcnt(0)
	v_fma_f64 v[63:64], v[79:80], v[81:82], v[63:64]
	s_and_not1_b32 exec_lo, exec_lo, s0
	s_cbranch_execnz .LBB30_105
; %bb.106:
	s_or_b32 exec_lo, exec_lo, s0
.LBB30_107:
	s_delay_alu instid0(SALU_CYCLE_1)
	s_or_b32 exec_lo, exec_lo, s4
	v_mov_b32_e32 v77, 0
	ds_load_b64 v[77:78], v77 offset:152
	s_waitcnt lgkmcnt(0)
	v_mul_f64 v[63:64], v[63:64], v[77:78]
	scratch_store_b64 off, v[63:64], off offset:152
.LBB30_108:
	s_or_b32 exec_lo, exec_lo, s3
	scratch_load_b64 v[63:64], off, off offset:144
	v_cmp_lt_u32_e64 s0, 18, v0
	s_waitcnt vmcnt(0)
	ds_store_b64 v66, v[63:64]
	s_waitcnt lgkmcnt(0)
	s_waitcnt_vscnt null, 0x0
	s_barrier
	buffer_gl0_inv
	s_and_saveexec_b32 s3, s0
	s_cbranch_execz .LBB30_118
; %bb.109:
	s_and_not1_b32 vcc_lo, exec_lo, s2
	s_cbranch_vccnz .LBB30_111
; %bb.110:
	scratch_load_b64 v[63:64], v67, off
	ds_load_b64 v[77:78], v66
	s_waitcnt vmcnt(0) lgkmcnt(0)
	v_mul_f64 v[63:64], v[63:64], v[77:78]
	s_cbranch_execz .LBB30_112
	s_branch .LBB30_113
.LBB30_111:
                                        ; implicit-def: $vgpr63_vgpr64
.LBB30_112:
	ds_load_b64 v[63:64], v66
.LBB30_113:
	s_and_saveexec_b32 s4, s1
	s_cbranch_execz .LBB30_117
; %bb.114:
	v_mov_b32_e32 v77, 0
	v_subrev_nc_u32_e32 v78, 19, v0
	s_movk_i32 s5, 0x198
	s_mov_b32 s1, 0
	s_delay_alu instid0(VALU_DEP_2)
	v_add_nc_u32_e32 v77, 0x98, v77
.LBB30_115:                             ; =>This Inner Loop Header: Depth=1
	scratch_load_b64 v[79:80], v77, off
	v_dual_mov_b32 v81, s5 :: v_dual_add_nc_u32 v78, -1, v78
	v_add_nc_u32_e32 v77, 8, v77
	s_add_i32 s5, s5, 8
	ds_load_b64 v[81:82], v81
	v_cmp_eq_u32_e32 vcc_lo, 0, v78
	s_or_b32 s1, vcc_lo, s1
	s_waitcnt vmcnt(0) lgkmcnt(0)
	v_fma_f64 v[63:64], v[79:80], v[81:82], v[63:64]
	s_and_not1_b32 exec_lo, exec_lo, s1
	s_cbranch_execnz .LBB30_115
; %bb.116:
	s_or_b32 exec_lo, exec_lo, s1
.LBB30_117:
	s_delay_alu instid0(SALU_CYCLE_1)
	s_or_b32 exec_lo, exec_lo, s4
	v_mov_b32_e32 v77, 0
	ds_load_b64 v[77:78], v77 offset:144
	s_waitcnt lgkmcnt(0)
	v_mul_f64 v[63:64], v[63:64], v[77:78]
	scratch_store_b64 off, v[63:64], off offset:144
.LBB30_118:
	s_or_b32 exec_lo, exec_lo, s3
	scratch_load_b64 v[63:64], off, off offset:136
	v_cmp_lt_u32_e64 s1, 17, v0
	s_waitcnt vmcnt(0)
	ds_store_b64 v66, v[63:64]
	s_waitcnt lgkmcnt(0)
	s_waitcnt_vscnt null, 0x0
	s_barrier
	buffer_gl0_inv
	s_and_saveexec_b32 s3, s1
	s_cbranch_execz .LBB30_128
; %bb.119:
	s_and_not1_b32 vcc_lo, exec_lo, s2
	s_cbranch_vccnz .LBB30_121
; %bb.120:
	scratch_load_b64 v[63:64], v67, off
	ds_load_b64 v[77:78], v66
	s_waitcnt vmcnt(0) lgkmcnt(0)
	v_mul_f64 v[63:64], v[63:64], v[77:78]
	s_cbranch_execz .LBB30_122
	s_branch .LBB30_123
.LBB30_121:
                                        ; implicit-def: $vgpr63_vgpr64
.LBB30_122:
	ds_load_b64 v[63:64], v66
.LBB30_123:
	s_and_saveexec_b32 s4, s0
	s_cbranch_execz .LBB30_127
; %bb.124:
	v_subrev_nc_u32_e32 v77, 18, v0
	s_movk_i32 s5, 0x190
	s_mov_b32 s0, 0
.LBB30_125:                             ; =>This Inner Loop Header: Depth=1
	scratch_load_b64 v[78:79], v76, off
	v_dual_mov_b32 v80, s5 :: v_dual_add_nc_u32 v77, -1, v77
	v_add_nc_u32_e32 v76, 8, v76
	s_add_i32 s5, s5, 8
	ds_load_b64 v[80:81], v80
	v_cmp_eq_u32_e32 vcc_lo, 0, v77
	s_or_b32 s0, vcc_lo, s0
	s_waitcnt vmcnt(0) lgkmcnt(0)
	v_fma_f64 v[63:64], v[78:79], v[80:81], v[63:64]
	s_and_not1_b32 exec_lo, exec_lo, s0
	s_cbranch_execnz .LBB30_125
; %bb.126:
	s_or_b32 exec_lo, exec_lo, s0
.LBB30_127:
	s_delay_alu instid0(SALU_CYCLE_1)
	s_or_b32 exec_lo, exec_lo, s4
	v_mov_b32_e32 v76, 0
	ds_load_b64 v[76:77], v76 offset:136
	s_waitcnt lgkmcnt(0)
	v_mul_f64 v[63:64], v[63:64], v[76:77]
	scratch_store_b64 off, v[63:64], off offset:136
.LBB30_128:
	s_or_b32 exec_lo, exec_lo, s3
	scratch_load_b64 v[63:64], off, off offset:128
	v_cmp_lt_u32_e64 s0, 16, v0
	s_waitcnt vmcnt(0)
	ds_store_b64 v66, v[63:64]
	s_waitcnt lgkmcnt(0)
	s_waitcnt_vscnt null, 0x0
	s_barrier
	buffer_gl0_inv
	s_and_saveexec_b32 s3, s0
	s_cbranch_execz .LBB30_138
; %bb.129:
	s_and_not1_b32 vcc_lo, exec_lo, s2
	s_cbranch_vccnz .LBB30_131
; %bb.130:
	scratch_load_b64 v[63:64], v67, off
	ds_load_b64 v[76:77], v66
	s_waitcnt vmcnt(0) lgkmcnt(0)
	v_mul_f64 v[63:64], v[63:64], v[76:77]
	s_cbranch_execz .LBB30_132
	s_branch .LBB30_133
.LBB30_131:
                                        ; implicit-def: $vgpr63_vgpr64
.LBB30_132:
	ds_load_b64 v[63:64], v66
.LBB30_133:
	s_and_saveexec_b32 s4, s1
	s_cbranch_execz .LBB30_137
; %bb.134:
	v_mov_b32_e32 v76, 0
	v_subrev_nc_u32_e32 v77, 17, v0
	s_movk_i32 s5, 0x188
	s_mov_b32 s1, 0
	s_delay_alu instid0(VALU_DEP_2)
	v_add_nc_u32_e32 v76, 0x88, v76
.LBB30_135:                             ; =>This Inner Loop Header: Depth=1
	scratch_load_b64 v[78:79], v76, off
	v_dual_mov_b32 v80, s5 :: v_dual_add_nc_u32 v77, -1, v77
	v_add_nc_u32_e32 v76, 8, v76
	s_add_i32 s5, s5, 8
	ds_load_b64 v[80:81], v80
	v_cmp_eq_u32_e32 vcc_lo, 0, v77
	s_or_b32 s1, vcc_lo, s1
	s_waitcnt vmcnt(0) lgkmcnt(0)
	v_fma_f64 v[63:64], v[78:79], v[80:81], v[63:64]
	s_and_not1_b32 exec_lo, exec_lo, s1
	s_cbranch_execnz .LBB30_135
; %bb.136:
	s_or_b32 exec_lo, exec_lo, s1
.LBB30_137:
	s_delay_alu instid0(SALU_CYCLE_1)
	s_or_b32 exec_lo, exec_lo, s4
	v_mov_b32_e32 v76, 0
	ds_load_b64 v[76:77], v76 offset:128
	s_waitcnt lgkmcnt(0)
	v_mul_f64 v[63:64], v[63:64], v[76:77]
	scratch_store_b64 off, v[63:64], off offset:128
.LBB30_138:
	s_or_b32 exec_lo, exec_lo, s3
	scratch_load_b64 v[63:64], off, off offset:120
	v_cmp_lt_u32_e64 s1, 15, v0
	s_waitcnt vmcnt(0)
	ds_store_b64 v66, v[63:64]
	s_waitcnt lgkmcnt(0)
	s_waitcnt_vscnt null, 0x0
	s_barrier
	buffer_gl0_inv
	s_and_saveexec_b32 s3, s1
	s_cbranch_execz .LBB30_148
; %bb.139:
	s_and_not1_b32 vcc_lo, exec_lo, s2
	s_cbranch_vccnz .LBB30_141
; %bb.140:
	scratch_load_b64 v[63:64], v67, off
	ds_load_b64 v[76:77], v66
	s_waitcnt vmcnt(0) lgkmcnt(0)
	v_mul_f64 v[63:64], v[63:64], v[76:77]
	s_cbranch_execz .LBB30_142
	s_branch .LBB30_143
.LBB30_141:
                                        ; implicit-def: $vgpr63_vgpr64
.LBB30_142:
	ds_load_b64 v[63:64], v66
.LBB30_143:
	s_and_saveexec_b32 s4, s0
	s_cbranch_execz .LBB30_147
; %bb.144:
	v_add_nc_u32_e32 v76, -16, v0
	s_movk_i32 s5, 0x180
	s_mov_b32 s0, 0
.LBB30_145:                             ; =>This Inner Loop Header: Depth=1
	scratch_load_b64 v[77:78], v75, off
	v_dual_mov_b32 v79, s5 :: v_dual_add_nc_u32 v76, -1, v76
	v_add_nc_u32_e32 v75, 8, v75
	s_add_i32 s5, s5, 8
	ds_load_b64 v[79:80], v79
	v_cmp_eq_u32_e32 vcc_lo, 0, v76
	s_or_b32 s0, vcc_lo, s0
	s_waitcnt vmcnt(0) lgkmcnt(0)
	v_fma_f64 v[63:64], v[77:78], v[79:80], v[63:64]
	s_and_not1_b32 exec_lo, exec_lo, s0
	s_cbranch_execnz .LBB30_145
; %bb.146:
	s_or_b32 exec_lo, exec_lo, s0
.LBB30_147:
	s_delay_alu instid0(SALU_CYCLE_1)
	s_or_b32 exec_lo, exec_lo, s4
	v_mov_b32_e32 v75, 0
	ds_load_b64 v[75:76], v75 offset:120
	s_waitcnt lgkmcnt(0)
	v_mul_f64 v[63:64], v[63:64], v[75:76]
	scratch_store_b64 off, v[63:64], off offset:120
.LBB30_148:
	s_or_b32 exec_lo, exec_lo, s3
	scratch_load_b64 v[63:64], off, off offset:112
	v_cmp_lt_u32_e64 s0, 14, v0
	s_waitcnt vmcnt(0)
	ds_store_b64 v66, v[63:64]
	s_waitcnt lgkmcnt(0)
	s_waitcnt_vscnt null, 0x0
	s_barrier
	buffer_gl0_inv
	s_and_saveexec_b32 s3, s0
	s_cbranch_execz .LBB30_158
; %bb.149:
	s_and_not1_b32 vcc_lo, exec_lo, s2
	s_cbranch_vccnz .LBB30_151
; %bb.150:
	scratch_load_b64 v[63:64], v67, off
	ds_load_b64 v[75:76], v66
	s_waitcnt vmcnt(0) lgkmcnt(0)
	v_mul_f64 v[63:64], v[63:64], v[75:76]
	s_cbranch_execz .LBB30_152
	s_branch .LBB30_153
.LBB30_151:
                                        ; implicit-def: $vgpr63_vgpr64
.LBB30_152:
	ds_load_b64 v[63:64], v66
.LBB30_153:
	s_and_saveexec_b32 s4, s1
	s_cbranch_execz .LBB30_157
; %bb.154:
	v_dual_mov_b32 v75, 0 :: v_dual_add_nc_u32 v76, -15, v0
	s_movk_i32 s5, 0x178
	s_mov_b32 s1, 0
	s_delay_alu instid0(VALU_DEP_1)
	v_add_nc_u32_e32 v75, 0x78, v75
.LBB30_155:                             ; =>This Inner Loop Header: Depth=1
	scratch_load_b64 v[77:78], v75, off
	v_dual_mov_b32 v79, s5 :: v_dual_add_nc_u32 v76, -1, v76
	v_add_nc_u32_e32 v75, 8, v75
	s_add_i32 s5, s5, 8
	ds_load_b64 v[79:80], v79
	v_cmp_eq_u32_e32 vcc_lo, 0, v76
	s_or_b32 s1, vcc_lo, s1
	s_waitcnt vmcnt(0) lgkmcnt(0)
	v_fma_f64 v[63:64], v[77:78], v[79:80], v[63:64]
	s_and_not1_b32 exec_lo, exec_lo, s1
	s_cbranch_execnz .LBB30_155
; %bb.156:
	s_or_b32 exec_lo, exec_lo, s1
.LBB30_157:
	s_delay_alu instid0(SALU_CYCLE_1)
	s_or_b32 exec_lo, exec_lo, s4
	v_mov_b32_e32 v75, 0
	ds_load_b64 v[75:76], v75 offset:112
	s_waitcnt lgkmcnt(0)
	v_mul_f64 v[63:64], v[63:64], v[75:76]
	scratch_store_b64 off, v[63:64], off offset:112
.LBB30_158:
	s_or_b32 exec_lo, exec_lo, s3
	scratch_load_b64 v[63:64], off, off offset:104
	v_cmp_lt_u32_e64 s1, 13, v0
	s_waitcnt vmcnt(0)
	ds_store_b64 v66, v[63:64]
	s_waitcnt lgkmcnt(0)
	s_waitcnt_vscnt null, 0x0
	s_barrier
	buffer_gl0_inv
	s_and_saveexec_b32 s3, s1
	s_cbranch_execz .LBB30_168
; %bb.159:
	s_and_not1_b32 vcc_lo, exec_lo, s2
	s_cbranch_vccnz .LBB30_161
; %bb.160:
	scratch_load_b64 v[63:64], v67, off
	ds_load_b64 v[75:76], v66
	s_waitcnt vmcnt(0) lgkmcnt(0)
	v_mul_f64 v[63:64], v[63:64], v[75:76]
	s_cbranch_execz .LBB30_162
	s_branch .LBB30_163
.LBB30_161:
                                        ; implicit-def: $vgpr63_vgpr64
.LBB30_162:
	ds_load_b64 v[63:64], v66
.LBB30_163:
	s_and_saveexec_b32 s4, s0
	s_cbranch_execz .LBB30_167
; %bb.164:
	v_add_nc_u32_e32 v75, -14, v0
	s_movk_i32 s5, 0x170
	s_mov_b32 s0, 0
.LBB30_165:                             ; =>This Inner Loop Header: Depth=1
	scratch_load_b64 v[76:77], v74, off
	v_dual_mov_b32 v78, s5 :: v_dual_add_nc_u32 v75, -1, v75
	v_add_nc_u32_e32 v74, 8, v74
	s_add_i32 s5, s5, 8
	ds_load_b64 v[78:79], v78
	v_cmp_eq_u32_e32 vcc_lo, 0, v75
	s_or_b32 s0, vcc_lo, s0
	s_waitcnt vmcnt(0) lgkmcnt(0)
	v_fma_f64 v[63:64], v[76:77], v[78:79], v[63:64]
	s_and_not1_b32 exec_lo, exec_lo, s0
	s_cbranch_execnz .LBB30_165
; %bb.166:
	s_or_b32 exec_lo, exec_lo, s0
.LBB30_167:
	s_delay_alu instid0(SALU_CYCLE_1)
	s_or_b32 exec_lo, exec_lo, s4
	v_mov_b32_e32 v74, 0
	ds_load_b64 v[74:75], v74 offset:104
	s_waitcnt lgkmcnt(0)
	v_mul_f64 v[63:64], v[63:64], v[74:75]
	scratch_store_b64 off, v[63:64], off offset:104
.LBB30_168:
	s_or_b32 exec_lo, exec_lo, s3
	scratch_load_b64 v[63:64], off, off offset:96
	v_cmp_lt_u32_e64 s0, 12, v0
	s_waitcnt vmcnt(0)
	ds_store_b64 v66, v[63:64]
	s_waitcnt lgkmcnt(0)
	s_waitcnt_vscnt null, 0x0
	s_barrier
	buffer_gl0_inv
	s_and_saveexec_b32 s3, s0
	s_cbranch_execz .LBB30_178
; %bb.169:
	s_and_not1_b32 vcc_lo, exec_lo, s2
	s_cbranch_vccnz .LBB30_171
; %bb.170:
	scratch_load_b64 v[63:64], v67, off
	ds_load_b64 v[74:75], v66
	s_waitcnt vmcnt(0) lgkmcnt(0)
	v_mul_f64 v[63:64], v[63:64], v[74:75]
	s_cbranch_execz .LBB30_172
	s_branch .LBB30_173
.LBB30_171:
                                        ; implicit-def: $vgpr63_vgpr64
.LBB30_172:
	ds_load_b64 v[63:64], v66
.LBB30_173:
	s_and_saveexec_b32 s4, s1
	s_cbranch_execz .LBB30_177
; %bb.174:
	v_dual_mov_b32 v74, 0 :: v_dual_add_nc_u32 v75, -13, v0
	s_movk_i32 s5, 0x168
	s_mov_b32 s1, 0
	s_delay_alu instid0(VALU_DEP_1)
	v_add_nc_u32_e32 v74, 0x68, v74
.LBB30_175:                             ; =>This Inner Loop Header: Depth=1
	scratch_load_b64 v[76:77], v74, off
	v_dual_mov_b32 v78, s5 :: v_dual_add_nc_u32 v75, -1, v75
	v_add_nc_u32_e32 v74, 8, v74
	s_add_i32 s5, s5, 8
	ds_load_b64 v[78:79], v78
	v_cmp_eq_u32_e32 vcc_lo, 0, v75
	s_or_b32 s1, vcc_lo, s1
	s_waitcnt vmcnt(0) lgkmcnt(0)
	v_fma_f64 v[63:64], v[76:77], v[78:79], v[63:64]
	s_and_not1_b32 exec_lo, exec_lo, s1
	s_cbranch_execnz .LBB30_175
; %bb.176:
	s_or_b32 exec_lo, exec_lo, s1
.LBB30_177:
	s_delay_alu instid0(SALU_CYCLE_1)
	s_or_b32 exec_lo, exec_lo, s4
	v_mov_b32_e32 v74, 0
	ds_load_b64 v[74:75], v74 offset:96
	s_waitcnt lgkmcnt(0)
	v_mul_f64 v[63:64], v[63:64], v[74:75]
	scratch_store_b64 off, v[63:64], off offset:96
.LBB30_178:
	s_or_b32 exec_lo, exec_lo, s3
	scratch_load_b64 v[63:64], off, off offset:88
	v_cmp_lt_u32_e64 s1, 11, v0
	s_waitcnt vmcnt(0)
	ds_store_b64 v66, v[63:64]
	s_waitcnt lgkmcnt(0)
	s_waitcnt_vscnt null, 0x0
	s_barrier
	buffer_gl0_inv
	s_and_saveexec_b32 s3, s1
	s_cbranch_execz .LBB30_188
; %bb.179:
	s_and_not1_b32 vcc_lo, exec_lo, s2
	s_cbranch_vccnz .LBB30_181
; %bb.180:
	scratch_load_b64 v[63:64], v67, off
	ds_load_b64 v[74:75], v66
	s_waitcnt vmcnt(0) lgkmcnt(0)
	v_mul_f64 v[63:64], v[63:64], v[74:75]
	s_cbranch_execz .LBB30_182
	s_branch .LBB30_183
.LBB30_181:
                                        ; implicit-def: $vgpr63_vgpr64
.LBB30_182:
	ds_load_b64 v[63:64], v66
.LBB30_183:
	s_and_saveexec_b32 s4, s0
	s_cbranch_execz .LBB30_187
; %bb.184:
	v_add_nc_u32_e32 v74, -12, v0
	s_movk_i32 s5, 0x160
	s_mov_b32 s0, 0
.LBB30_185:                             ; =>This Inner Loop Header: Depth=1
	scratch_load_b64 v[75:76], v73, off
	v_dual_mov_b32 v77, s5 :: v_dual_add_nc_u32 v74, -1, v74
	v_add_nc_u32_e32 v73, 8, v73
	s_add_i32 s5, s5, 8
	ds_load_b64 v[77:78], v77
	v_cmp_eq_u32_e32 vcc_lo, 0, v74
	s_or_b32 s0, vcc_lo, s0
	s_waitcnt vmcnt(0) lgkmcnt(0)
	v_fma_f64 v[63:64], v[75:76], v[77:78], v[63:64]
	s_and_not1_b32 exec_lo, exec_lo, s0
	s_cbranch_execnz .LBB30_185
; %bb.186:
	s_or_b32 exec_lo, exec_lo, s0
.LBB30_187:
	s_delay_alu instid0(SALU_CYCLE_1)
	s_or_b32 exec_lo, exec_lo, s4
	v_mov_b32_e32 v73, 0
	ds_load_b64 v[73:74], v73 offset:88
	s_waitcnt lgkmcnt(0)
	v_mul_f64 v[63:64], v[63:64], v[73:74]
	scratch_store_b64 off, v[63:64], off offset:88
.LBB30_188:
	s_or_b32 exec_lo, exec_lo, s3
	scratch_load_b64 v[63:64], off, off offset:80
	v_cmp_lt_u32_e64 s0, 10, v0
	s_waitcnt vmcnt(0)
	ds_store_b64 v66, v[63:64]
	s_waitcnt lgkmcnt(0)
	s_waitcnt_vscnt null, 0x0
	s_barrier
	buffer_gl0_inv
	s_and_saveexec_b32 s3, s0
	s_cbranch_execz .LBB30_198
; %bb.189:
	s_and_not1_b32 vcc_lo, exec_lo, s2
	s_cbranch_vccnz .LBB30_191
; %bb.190:
	scratch_load_b64 v[63:64], v67, off
	ds_load_b64 v[73:74], v66
	s_waitcnt vmcnt(0) lgkmcnt(0)
	v_mul_f64 v[63:64], v[63:64], v[73:74]
	s_cbranch_execz .LBB30_192
	s_branch .LBB30_193
.LBB30_191:
                                        ; implicit-def: $vgpr63_vgpr64
.LBB30_192:
	ds_load_b64 v[63:64], v66
.LBB30_193:
	s_and_saveexec_b32 s4, s1
	s_cbranch_execz .LBB30_197
; %bb.194:
	v_dual_mov_b32 v73, 0 :: v_dual_add_nc_u32 v74, -11, v0
	s_movk_i32 s5, 0x158
	s_mov_b32 s1, 0
	s_delay_alu instid0(VALU_DEP_1)
	v_add_nc_u32_e32 v73, 0x58, v73
.LBB30_195:                             ; =>This Inner Loop Header: Depth=1
	scratch_load_b64 v[75:76], v73, off
	v_dual_mov_b32 v77, s5 :: v_dual_add_nc_u32 v74, -1, v74
	v_add_nc_u32_e32 v73, 8, v73
	s_add_i32 s5, s5, 8
	ds_load_b64 v[77:78], v77
	v_cmp_eq_u32_e32 vcc_lo, 0, v74
	s_or_b32 s1, vcc_lo, s1
	s_waitcnt vmcnt(0) lgkmcnt(0)
	v_fma_f64 v[63:64], v[75:76], v[77:78], v[63:64]
	s_and_not1_b32 exec_lo, exec_lo, s1
	s_cbranch_execnz .LBB30_195
; %bb.196:
	s_or_b32 exec_lo, exec_lo, s1
.LBB30_197:
	s_delay_alu instid0(SALU_CYCLE_1)
	s_or_b32 exec_lo, exec_lo, s4
	v_mov_b32_e32 v73, 0
	ds_load_b64 v[73:74], v73 offset:80
	s_waitcnt lgkmcnt(0)
	v_mul_f64 v[63:64], v[63:64], v[73:74]
	scratch_store_b64 off, v[63:64], off offset:80
.LBB30_198:
	s_or_b32 exec_lo, exec_lo, s3
	scratch_load_b64 v[63:64], off, off offset:72
	v_cmp_lt_u32_e64 s1, 9, v0
	s_waitcnt vmcnt(0)
	ds_store_b64 v66, v[63:64]
	s_waitcnt lgkmcnt(0)
	s_waitcnt_vscnt null, 0x0
	s_barrier
	buffer_gl0_inv
	s_and_saveexec_b32 s3, s1
	s_cbranch_execz .LBB30_208
; %bb.199:
	s_and_not1_b32 vcc_lo, exec_lo, s2
	s_cbranch_vccnz .LBB30_201
; %bb.200:
	scratch_load_b64 v[63:64], v67, off
	ds_load_b64 v[73:74], v66
	s_waitcnt vmcnt(0) lgkmcnt(0)
	v_mul_f64 v[63:64], v[63:64], v[73:74]
	s_cbranch_execz .LBB30_202
	s_branch .LBB30_203
.LBB30_201:
                                        ; implicit-def: $vgpr63_vgpr64
.LBB30_202:
	ds_load_b64 v[63:64], v66
.LBB30_203:
	s_and_saveexec_b32 s4, s0
	s_cbranch_execz .LBB30_207
; %bb.204:
	v_add_nc_u32_e32 v73, -10, v0
	s_movk_i32 s5, 0x150
	s_mov_b32 s0, 0
.LBB30_205:                             ; =>This Inner Loop Header: Depth=1
	scratch_load_b64 v[74:75], v72, off
	v_dual_mov_b32 v76, s5 :: v_dual_add_nc_u32 v73, -1, v73
	v_add_nc_u32_e32 v72, 8, v72
	s_add_i32 s5, s5, 8
	ds_load_b64 v[76:77], v76
	v_cmp_eq_u32_e32 vcc_lo, 0, v73
	s_or_b32 s0, vcc_lo, s0
	s_waitcnt vmcnt(0) lgkmcnt(0)
	v_fma_f64 v[63:64], v[74:75], v[76:77], v[63:64]
	s_and_not1_b32 exec_lo, exec_lo, s0
	s_cbranch_execnz .LBB30_205
; %bb.206:
	s_or_b32 exec_lo, exec_lo, s0
.LBB30_207:
	s_delay_alu instid0(SALU_CYCLE_1)
	s_or_b32 exec_lo, exec_lo, s4
	v_mov_b32_e32 v72, 0
	ds_load_b64 v[72:73], v72 offset:72
	s_waitcnt lgkmcnt(0)
	v_mul_f64 v[63:64], v[63:64], v[72:73]
	scratch_store_b64 off, v[63:64], off offset:72
.LBB30_208:
	s_or_b32 exec_lo, exec_lo, s3
	scratch_load_b64 v[63:64], off, off offset:64
	v_cmp_lt_u32_e64 s0, 8, v0
	s_waitcnt vmcnt(0)
	ds_store_b64 v66, v[63:64]
	s_waitcnt lgkmcnt(0)
	s_waitcnt_vscnt null, 0x0
	s_barrier
	buffer_gl0_inv
	s_and_saveexec_b32 s3, s0
	s_cbranch_execz .LBB30_218
; %bb.209:
	s_and_not1_b32 vcc_lo, exec_lo, s2
	s_cbranch_vccnz .LBB30_211
; %bb.210:
	scratch_load_b64 v[63:64], v67, off
	ds_load_b64 v[72:73], v66
	s_waitcnt vmcnt(0) lgkmcnt(0)
	v_mul_f64 v[63:64], v[63:64], v[72:73]
	s_cbranch_execz .LBB30_212
	s_branch .LBB30_213
.LBB30_211:
                                        ; implicit-def: $vgpr63_vgpr64
.LBB30_212:
	ds_load_b64 v[63:64], v66
.LBB30_213:
	s_and_saveexec_b32 s4, s1
	s_cbranch_execz .LBB30_217
; %bb.214:
	v_dual_mov_b32 v72, 0 :: v_dual_add_nc_u32 v73, -9, v0
	s_movk_i32 s5, 0x148
	s_mov_b32 s1, 0
	s_delay_alu instid0(VALU_DEP_1)
	v_add_nc_u32_e32 v72, 0x48, v72
.LBB30_215:                             ; =>This Inner Loop Header: Depth=1
	scratch_load_b64 v[74:75], v72, off
	v_dual_mov_b32 v76, s5 :: v_dual_add_nc_u32 v73, -1, v73
	v_add_nc_u32_e32 v72, 8, v72
	s_add_i32 s5, s5, 8
	ds_load_b64 v[76:77], v76
	v_cmp_eq_u32_e32 vcc_lo, 0, v73
	s_or_b32 s1, vcc_lo, s1
	s_waitcnt vmcnt(0) lgkmcnt(0)
	v_fma_f64 v[63:64], v[74:75], v[76:77], v[63:64]
	s_and_not1_b32 exec_lo, exec_lo, s1
	s_cbranch_execnz .LBB30_215
; %bb.216:
	s_or_b32 exec_lo, exec_lo, s1
.LBB30_217:
	s_delay_alu instid0(SALU_CYCLE_1)
	s_or_b32 exec_lo, exec_lo, s4
	v_mov_b32_e32 v72, 0
	ds_load_b64 v[72:73], v72 offset:64
	s_waitcnt lgkmcnt(0)
	v_mul_f64 v[63:64], v[63:64], v[72:73]
	scratch_store_b64 off, v[63:64], off offset:64
.LBB30_218:
	s_or_b32 exec_lo, exec_lo, s3
	scratch_load_b64 v[63:64], off, off offset:56
	v_cmp_lt_u32_e64 s1, 7, v0
	s_waitcnt vmcnt(0)
	ds_store_b64 v66, v[63:64]
	s_waitcnt lgkmcnt(0)
	s_waitcnt_vscnt null, 0x0
	s_barrier
	buffer_gl0_inv
	s_and_saveexec_b32 s3, s1
	s_cbranch_execz .LBB30_228
; %bb.219:
	s_and_not1_b32 vcc_lo, exec_lo, s2
	s_cbranch_vccnz .LBB30_221
; %bb.220:
	scratch_load_b64 v[63:64], v67, off
	ds_load_b64 v[72:73], v66
	s_waitcnt vmcnt(0) lgkmcnt(0)
	v_mul_f64 v[63:64], v[63:64], v[72:73]
	s_cbranch_execz .LBB30_222
	s_branch .LBB30_223
.LBB30_221:
                                        ; implicit-def: $vgpr63_vgpr64
.LBB30_222:
	ds_load_b64 v[63:64], v66
.LBB30_223:
	s_and_saveexec_b32 s4, s0
	s_cbranch_execz .LBB30_227
; %bb.224:
	v_add_nc_u32_e32 v72, -8, v0
	s_movk_i32 s5, 0x140
	s_mov_b32 s0, 0
.LBB30_225:                             ; =>This Inner Loop Header: Depth=1
	scratch_load_b64 v[73:74], v71, off
	v_dual_mov_b32 v75, s5 :: v_dual_add_nc_u32 v72, -1, v72
	v_add_nc_u32_e32 v71, 8, v71
	s_add_i32 s5, s5, 8
	ds_load_b64 v[75:76], v75
	v_cmp_eq_u32_e32 vcc_lo, 0, v72
	s_or_b32 s0, vcc_lo, s0
	s_waitcnt vmcnt(0) lgkmcnt(0)
	v_fma_f64 v[63:64], v[73:74], v[75:76], v[63:64]
	s_and_not1_b32 exec_lo, exec_lo, s0
	s_cbranch_execnz .LBB30_225
; %bb.226:
	s_or_b32 exec_lo, exec_lo, s0
.LBB30_227:
	s_delay_alu instid0(SALU_CYCLE_1)
	s_or_b32 exec_lo, exec_lo, s4
	v_mov_b32_e32 v71, 0
	ds_load_b64 v[71:72], v71 offset:56
	s_waitcnt lgkmcnt(0)
	v_mul_f64 v[63:64], v[63:64], v[71:72]
	scratch_store_b64 off, v[63:64], off offset:56
.LBB30_228:
	s_or_b32 exec_lo, exec_lo, s3
	scratch_load_b64 v[63:64], off, off offset:48
	v_cmp_lt_u32_e64 s0, 6, v0
	s_waitcnt vmcnt(0)
	ds_store_b64 v66, v[63:64]
	s_waitcnt lgkmcnt(0)
	s_waitcnt_vscnt null, 0x0
	s_barrier
	buffer_gl0_inv
	s_and_saveexec_b32 s3, s0
	s_cbranch_execz .LBB30_238
; %bb.229:
	s_and_not1_b32 vcc_lo, exec_lo, s2
	s_cbranch_vccnz .LBB30_231
; %bb.230:
	scratch_load_b64 v[63:64], v67, off
	ds_load_b64 v[71:72], v66
	s_waitcnt vmcnt(0) lgkmcnt(0)
	v_mul_f64 v[63:64], v[63:64], v[71:72]
	s_cbranch_execz .LBB30_232
	s_branch .LBB30_233
.LBB30_231:
                                        ; implicit-def: $vgpr63_vgpr64
.LBB30_232:
	ds_load_b64 v[63:64], v66
.LBB30_233:
	s_and_saveexec_b32 s4, s1
	s_cbranch_execz .LBB30_237
; %bb.234:
	v_add_nc_u32_e64 v71, 0, 56
	v_add_nc_u32_e32 v72, -7, v0
	s_movk_i32 s5, 0x138
	s_mov_b32 s1, 0
.LBB30_235:                             ; =>This Inner Loop Header: Depth=1
	scratch_load_b64 v[73:74], v71, off
	v_dual_mov_b32 v75, s5 :: v_dual_add_nc_u32 v72, -1, v72
	v_add_nc_u32_e32 v71, 8, v71
	s_add_i32 s5, s5, 8
	ds_load_b64 v[75:76], v75
	v_cmp_eq_u32_e32 vcc_lo, 0, v72
	s_or_b32 s1, vcc_lo, s1
	s_waitcnt vmcnt(0) lgkmcnt(0)
	v_fma_f64 v[63:64], v[73:74], v[75:76], v[63:64]
	s_and_not1_b32 exec_lo, exec_lo, s1
	s_cbranch_execnz .LBB30_235
; %bb.236:
	s_or_b32 exec_lo, exec_lo, s1
.LBB30_237:
	s_delay_alu instid0(SALU_CYCLE_1)
	s_or_b32 exec_lo, exec_lo, s4
	v_mov_b32_e32 v71, 0
	ds_load_b64 v[71:72], v71 offset:48
	s_waitcnt lgkmcnt(0)
	v_mul_f64 v[63:64], v[63:64], v[71:72]
	scratch_store_b64 off, v[63:64], off offset:48
.LBB30_238:
	s_or_b32 exec_lo, exec_lo, s3
	scratch_load_b64 v[63:64], off, off offset:40
	v_cmp_lt_u32_e64 s1, 5, v0
	s_waitcnt vmcnt(0)
	ds_store_b64 v66, v[63:64]
	s_waitcnt lgkmcnt(0)
	s_waitcnt_vscnt null, 0x0
	s_barrier
	buffer_gl0_inv
	s_and_saveexec_b32 s3, s1
	s_cbranch_execz .LBB30_248
; %bb.239:
	s_and_not1_b32 vcc_lo, exec_lo, s2
	s_cbranch_vccnz .LBB30_241
; %bb.240:
	scratch_load_b64 v[63:64], v67, off
	ds_load_b64 v[71:72], v66
	s_waitcnt vmcnt(0) lgkmcnt(0)
	v_mul_f64 v[63:64], v[63:64], v[71:72]
	s_cbranch_execz .LBB30_242
	s_branch .LBB30_243
.LBB30_241:
                                        ; implicit-def: $vgpr63_vgpr64
.LBB30_242:
	ds_load_b64 v[63:64], v66
.LBB30_243:
	s_and_saveexec_b32 s4, s0
	s_cbranch_execz .LBB30_247
; %bb.244:
	v_add_nc_u32_e32 v71, -6, v0
	s_movk_i32 s5, 0x130
	s_mov_b32 s0, 0
.LBB30_245:                             ; =>This Inner Loop Header: Depth=1
	scratch_load_b64 v[72:73], v70, off
	v_dual_mov_b32 v74, s5 :: v_dual_add_nc_u32 v71, -1, v71
	v_add_nc_u32_e32 v70, 8, v70
	s_add_i32 s5, s5, 8
	ds_load_b64 v[74:75], v74
	v_cmp_eq_u32_e32 vcc_lo, 0, v71
	s_or_b32 s0, vcc_lo, s0
	s_waitcnt vmcnt(0) lgkmcnt(0)
	v_fma_f64 v[63:64], v[72:73], v[74:75], v[63:64]
	s_and_not1_b32 exec_lo, exec_lo, s0
	s_cbranch_execnz .LBB30_245
; %bb.246:
	s_or_b32 exec_lo, exec_lo, s0
.LBB30_247:
	s_delay_alu instid0(SALU_CYCLE_1)
	s_or_b32 exec_lo, exec_lo, s4
	v_mov_b32_e32 v70, 0
	ds_load_b64 v[70:71], v70 offset:40
	s_waitcnt lgkmcnt(0)
	v_mul_f64 v[63:64], v[63:64], v[70:71]
	scratch_store_b64 off, v[63:64], off offset:40
.LBB30_248:
	s_or_b32 exec_lo, exec_lo, s3
	scratch_load_b64 v[63:64], off, off offset:32
	v_cmp_lt_u32_e64 s0, 4, v0
	s_waitcnt vmcnt(0)
	ds_store_b64 v66, v[63:64]
	s_waitcnt lgkmcnt(0)
	s_waitcnt_vscnt null, 0x0
	s_barrier
	buffer_gl0_inv
	s_and_saveexec_b32 s3, s0
	s_cbranch_execz .LBB30_258
; %bb.249:
	s_and_not1_b32 vcc_lo, exec_lo, s2
	s_cbranch_vccnz .LBB30_251
; %bb.250:
	scratch_load_b64 v[63:64], v67, off
	ds_load_b64 v[70:71], v66
	s_waitcnt vmcnt(0) lgkmcnt(0)
	v_mul_f64 v[63:64], v[63:64], v[70:71]
	s_cbranch_execz .LBB30_252
	s_branch .LBB30_253
.LBB30_251:
                                        ; implicit-def: $vgpr63_vgpr64
.LBB30_252:
	ds_load_b64 v[63:64], v66
.LBB30_253:
	s_and_saveexec_b32 s4, s1
	s_cbranch_execz .LBB30_257
; %bb.254:
	v_add_nc_u32_e64 v70, 0, 40
	v_add_nc_u32_e32 v71, -5, v0
	s_movk_i32 s5, 0x128
	s_mov_b32 s1, 0
.LBB30_255:                             ; =>This Inner Loop Header: Depth=1
	scratch_load_b64 v[72:73], v70, off
	v_dual_mov_b32 v74, s5 :: v_dual_add_nc_u32 v71, -1, v71
	v_add_nc_u32_e32 v70, 8, v70
	s_add_i32 s5, s5, 8
	ds_load_b64 v[74:75], v74
	v_cmp_eq_u32_e32 vcc_lo, 0, v71
	s_or_b32 s1, vcc_lo, s1
	s_waitcnt vmcnt(0) lgkmcnt(0)
	v_fma_f64 v[63:64], v[72:73], v[74:75], v[63:64]
	s_and_not1_b32 exec_lo, exec_lo, s1
	s_cbranch_execnz .LBB30_255
; %bb.256:
	s_or_b32 exec_lo, exec_lo, s1
.LBB30_257:
	s_delay_alu instid0(SALU_CYCLE_1)
	s_or_b32 exec_lo, exec_lo, s4
	v_mov_b32_e32 v70, 0
	ds_load_b64 v[70:71], v70 offset:32
	s_waitcnt lgkmcnt(0)
	v_mul_f64 v[63:64], v[63:64], v[70:71]
	scratch_store_b64 off, v[63:64], off offset:32
.LBB30_258:
	s_or_b32 exec_lo, exec_lo, s3
	scratch_load_b64 v[63:64], off, off offset:24
	v_cmp_lt_u32_e64 s1, 3, v0
	s_waitcnt vmcnt(0)
	ds_store_b64 v66, v[63:64]
	s_waitcnt lgkmcnt(0)
	s_waitcnt_vscnt null, 0x0
	s_barrier
	buffer_gl0_inv
	s_and_saveexec_b32 s3, s1
	s_cbranch_execz .LBB30_268
; %bb.259:
	s_and_not1_b32 vcc_lo, exec_lo, s2
	s_cbranch_vccnz .LBB30_261
; %bb.260:
	scratch_load_b64 v[63:64], v67, off
	ds_load_b64 v[70:71], v66
	s_waitcnt vmcnt(0) lgkmcnt(0)
	v_mul_f64 v[63:64], v[63:64], v[70:71]
	s_cbranch_execz .LBB30_262
	s_branch .LBB30_263
.LBB30_261:
                                        ; implicit-def: $vgpr63_vgpr64
.LBB30_262:
	ds_load_b64 v[63:64], v66
.LBB30_263:
	s_and_saveexec_b32 s4, s0
	s_cbranch_execz .LBB30_267
; %bb.264:
	v_add_nc_u32_e32 v70, -4, v0
	s_movk_i32 s5, 0x120
	s_mov_b32 s0, 0
.LBB30_265:                             ; =>This Inner Loop Header: Depth=1
	scratch_load_b64 v[71:72], v69, off
	v_dual_mov_b32 v73, s5 :: v_dual_add_nc_u32 v70, -1, v70
	v_add_nc_u32_e32 v69, 8, v69
	s_add_i32 s5, s5, 8
	ds_load_b64 v[73:74], v73
	v_cmp_eq_u32_e32 vcc_lo, 0, v70
	s_or_b32 s0, vcc_lo, s0
	s_waitcnt vmcnt(0) lgkmcnt(0)
	v_fma_f64 v[63:64], v[71:72], v[73:74], v[63:64]
	s_and_not1_b32 exec_lo, exec_lo, s0
	s_cbranch_execnz .LBB30_265
; %bb.266:
	s_or_b32 exec_lo, exec_lo, s0
.LBB30_267:
	s_delay_alu instid0(SALU_CYCLE_1)
	s_or_b32 exec_lo, exec_lo, s4
	v_mov_b32_e32 v69, 0
	ds_load_b64 v[69:70], v69 offset:24
	s_waitcnt lgkmcnt(0)
	v_mul_f64 v[63:64], v[63:64], v[69:70]
	scratch_store_b64 off, v[63:64], off offset:24
.LBB30_268:
	s_or_b32 exec_lo, exec_lo, s3
	scratch_load_b64 v[63:64], off, off offset:16
	v_cmp_lt_u32_e64 s0, 2, v0
	s_waitcnt vmcnt(0)
	ds_store_b64 v66, v[63:64]
	s_waitcnt lgkmcnt(0)
	s_waitcnt_vscnt null, 0x0
	s_barrier
	buffer_gl0_inv
	s_and_saveexec_b32 s3, s0
	s_cbranch_execz .LBB30_278
; %bb.269:
	s_and_not1_b32 vcc_lo, exec_lo, s2
	s_cbranch_vccnz .LBB30_271
; %bb.270:
	scratch_load_b64 v[63:64], v67, off
	ds_load_b64 v[69:70], v66
	s_waitcnt vmcnt(0) lgkmcnt(0)
	v_mul_f64 v[63:64], v[63:64], v[69:70]
	s_cbranch_execz .LBB30_272
	s_branch .LBB30_273
.LBB30_271:
                                        ; implicit-def: $vgpr63_vgpr64
.LBB30_272:
	ds_load_b64 v[63:64], v66
.LBB30_273:
	s_and_saveexec_b32 s4, s1
	s_cbranch_execz .LBB30_277
; %bb.274:
	v_add_nc_u32_e64 v69, 0, 24
	v_add_nc_u32_e32 v70, -3, v0
	s_movk_i32 s5, 0x118
	s_mov_b32 s1, 0
.LBB30_275:                             ; =>This Inner Loop Header: Depth=1
	scratch_load_b64 v[71:72], v69, off
	v_dual_mov_b32 v73, s5 :: v_dual_add_nc_u32 v70, -1, v70
	v_add_nc_u32_e32 v69, 8, v69
	s_add_i32 s5, s5, 8
	ds_load_b64 v[73:74], v73
	v_cmp_eq_u32_e32 vcc_lo, 0, v70
	s_or_b32 s1, vcc_lo, s1
	s_waitcnt vmcnt(0) lgkmcnt(0)
	v_fma_f64 v[63:64], v[71:72], v[73:74], v[63:64]
	s_and_not1_b32 exec_lo, exec_lo, s1
	s_cbranch_execnz .LBB30_275
; %bb.276:
	s_or_b32 exec_lo, exec_lo, s1
.LBB30_277:
	s_delay_alu instid0(SALU_CYCLE_1)
	s_or_b32 exec_lo, exec_lo, s4
	v_mov_b32_e32 v69, 0
	ds_load_b64 v[69:70], v69 offset:16
	s_waitcnt lgkmcnt(0)
	v_mul_f64 v[63:64], v[63:64], v[69:70]
	scratch_store_b64 off, v[63:64], off offset:16
.LBB30_278:
	s_or_b32 exec_lo, exec_lo, s3
	scratch_load_b64 v[63:64], off, off offset:8
	v_cmp_lt_u32_e64 s1, 1, v0
	s_waitcnt vmcnt(0)
	ds_store_b64 v66, v[63:64]
	s_waitcnt lgkmcnt(0)
	s_waitcnt_vscnt null, 0x0
	s_barrier
	buffer_gl0_inv
	s_and_saveexec_b32 s3, s1
	s_cbranch_execz .LBB30_288
; %bb.279:
	s_and_not1_b32 vcc_lo, exec_lo, s2
	s_cbranch_vccnz .LBB30_281
; %bb.280:
	scratch_load_b64 v[63:64], v67, off
	ds_load_b64 v[69:70], v66
	s_waitcnt vmcnt(0) lgkmcnt(0)
	v_mul_f64 v[63:64], v[63:64], v[69:70]
	s_cbranch_execz .LBB30_282
	s_branch .LBB30_283
.LBB30_281:
                                        ; implicit-def: $vgpr63_vgpr64
.LBB30_282:
	ds_load_b64 v[63:64], v66
.LBB30_283:
	s_and_saveexec_b32 s4, s0
	s_cbranch_execz .LBB30_287
; %bb.284:
	v_add_nc_u32_e32 v69, -2, v0
	s_movk_i32 s5, 0x110
	s_mov_b32 s0, 0
.LBB30_285:                             ; =>This Inner Loop Header: Depth=1
	scratch_load_b64 v[70:71], v68, off
	v_dual_mov_b32 v72, s5 :: v_dual_add_nc_u32 v69, -1, v69
	v_add_nc_u32_e32 v68, 8, v68
	s_add_i32 s5, s5, 8
	ds_load_b64 v[72:73], v72
	v_cmp_eq_u32_e32 vcc_lo, 0, v69
	s_or_b32 s0, vcc_lo, s0
	s_waitcnt vmcnt(0) lgkmcnt(0)
	v_fma_f64 v[63:64], v[70:71], v[72:73], v[63:64]
	s_and_not1_b32 exec_lo, exec_lo, s0
	s_cbranch_execnz .LBB30_285
; %bb.286:
	s_or_b32 exec_lo, exec_lo, s0
.LBB30_287:
	s_delay_alu instid0(SALU_CYCLE_1)
	s_or_b32 exec_lo, exec_lo, s4
	v_mov_b32_e32 v68, 0
	ds_load_b64 v[68:69], v68 offset:8
	s_waitcnt lgkmcnt(0)
	v_mul_f64 v[63:64], v[63:64], v[68:69]
	scratch_store_b64 off, v[63:64], off offset:8
.LBB30_288:
	s_or_b32 exec_lo, exec_lo, s3
	scratch_load_b64 v[63:64], off, off
	s_mov_b32 s0, 0
	s_mov_b32 s3, exec_lo
	s_waitcnt vmcnt(0)
	ds_store_b64 v66, v[63:64]
	s_waitcnt lgkmcnt(0)
	s_waitcnt_vscnt null, 0x0
	s_barrier
	buffer_gl0_inv
	v_cmpx_ne_u32_e32 0, v0
	s_cbranch_execz .LBB30_298
; %bb.289:
	s_and_not1_b32 vcc_lo, exec_lo, s2
	s_cbranch_vccnz .LBB30_291
; %bb.290:
	scratch_load_b64 v[63:64], v67, off
	ds_load_b64 v[68:69], v66
	s_waitcnt vmcnt(0) lgkmcnt(0)
	v_mul_f64 v[63:64], v[63:64], v[68:69]
	s_cbranch_execz .LBB30_292
	s_branch .LBB30_293
.LBB30_291:
                                        ; implicit-def: $vgpr63_vgpr64
.LBB30_292:
	ds_load_b64 v[63:64], v66
.LBB30_293:
	s_and_saveexec_b32 s4, s1
	s_cbranch_execz .LBB30_297
; %bb.294:
	v_or_b32_e64 v68, 0, 8
	v_add_nc_u32_e32 v69, -1, v0
	s_movk_i32 s5, 0x108
	s_mov_b32 s1, 0
.LBB30_295:                             ; =>This Inner Loop Header: Depth=1
	scratch_load_b64 v[70:71], v68, off
	v_dual_mov_b32 v72, s5 :: v_dual_add_nc_u32 v69, -1, v69
	v_add_nc_u32_e32 v68, 8, v68
	s_add_i32 s5, s5, 8
	ds_load_b64 v[72:73], v72
	v_cmp_eq_u32_e32 vcc_lo, 0, v69
	s_or_b32 s1, vcc_lo, s1
	s_waitcnt vmcnt(0) lgkmcnt(0)
	v_fma_f64 v[63:64], v[70:71], v[72:73], v[63:64]
	s_and_not1_b32 exec_lo, exec_lo, s1
	s_cbranch_execnz .LBB30_295
; %bb.296:
	s_or_b32 exec_lo, exec_lo, s1
.LBB30_297:
	s_delay_alu instid0(SALU_CYCLE_1)
	s_or_b32 exec_lo, exec_lo, s4
	v_mov_b32_e32 v68, 0
	ds_load_b64 v[68:69], v68
	s_waitcnt lgkmcnt(0)
	v_mul_f64 v[63:64], v[63:64], v[68:69]
	scratch_store_b64 off, v[63:64], off
.LBB30_298:
	s_or_b32 exec_lo, exec_lo, s3
.LBB30_299:
	s_delay_alu instid0(SALU_CYCLE_1)
	s_and_b32 vcc_lo, exec_lo, s0
	s_cbranch_vccz .LBB30_595
; %bb.300:
	scratch_load_b64 v[63:64], off, off offset:8
	v_cmp_eq_u32_e64 s0, 0, v0
	s_waitcnt vmcnt(0)
	ds_store_b64 v66, v[63:64]
	s_waitcnt lgkmcnt(0)
	s_waitcnt_vscnt null, 0x0
	s_barrier
	buffer_gl0_inv
	s_and_saveexec_b32 s1, s0
	s_cbranch_execz .LBB30_306
; %bb.301:
	s_and_b32 vcc_lo, exec_lo, s2
	s_cbranch_vccz .LBB30_303
; %bb.302:
	scratch_load_b64 v[63:64], v67, off
	ds_load_b64 v[68:69], v66
	s_waitcnt vmcnt(0) lgkmcnt(0)
	v_mul_f64 v[63:64], v[63:64], v[68:69]
	s_cbranch_execz .LBB30_304
	s_branch .LBB30_305
.LBB30_303:
                                        ; implicit-def: $vgpr63_vgpr64
.LBB30_304:
	ds_load_b64 v[63:64], v66
.LBB30_305:
	v_mov_b32_e32 v68, 0
	ds_load_b64 v[68:69], v68 offset:8
	s_waitcnt lgkmcnt(0)
	v_mul_f64 v[63:64], v[63:64], v[68:69]
	scratch_store_b64 off, v[63:64], off offset:8
.LBB30_306:
	s_or_b32 exec_lo, exec_lo, s1
	scratch_load_b64 v[63:64], off, off offset:16
	v_cndmask_b32_e64 v68, 0, 1, s2
	s_mov_b32 s1, exec_lo
	s_waitcnt vmcnt(0)
	ds_store_b64 v66, v[63:64]
	s_waitcnt lgkmcnt(0)
	s_waitcnt_vscnt null, 0x0
	s_barrier
	buffer_gl0_inv
	v_cmpx_gt_u32_e32 2, v0
	s_cbranch_execz .LBB30_314
; %bb.307:
	s_and_not1_b32 vcc_lo, exec_lo, s2
	s_cbranch_vccnz .LBB30_309
; %bb.308:
	scratch_load_b64 v[63:64], v67, off
	ds_load_b64 v[69:70], v66
	s_waitcnt vmcnt(0) lgkmcnt(0)
	v_mul_f64 v[63:64], v[63:64], v[69:70]
	s_cbranch_execz .LBB30_310
	s_branch .LBB30_311
.LBB30_309:
                                        ; implicit-def: $vgpr63_vgpr64
.LBB30_310:
	ds_load_b64 v[63:64], v66
.LBB30_311:
	s_and_saveexec_b32 s2, s0
	s_cbranch_execz .LBB30_313
; %bb.312:
	scratch_load_b64 v[69:70], v67, off offset:8
	ds_load_b64 v[71:72], v66 offset:8
	s_waitcnt vmcnt(0) lgkmcnt(0)
	v_fma_f64 v[63:64], v[69:70], v[71:72], v[63:64]
.LBB30_313:
	s_or_b32 exec_lo, exec_lo, s2
	v_mov_b32_e32 v69, 0
	ds_load_b64 v[69:70], v69 offset:16
	s_waitcnt lgkmcnt(0)
	v_mul_f64 v[63:64], v[63:64], v[69:70]
	scratch_store_b64 off, v[63:64], off offset:16
.LBB30_314:
	s_or_b32 exec_lo, exec_lo, s1
	scratch_load_b64 v[63:64], off, off offset:24
	s_mov_b32 s1, exec_lo
	s_waitcnt vmcnt(0)
	ds_store_b64 v66, v[63:64]
	s_waitcnt lgkmcnt(0)
	s_waitcnt_vscnt null, 0x0
	s_barrier
	buffer_gl0_inv
	v_cmpx_gt_u32_e32 3, v0
	s_cbranch_execz .LBB30_324
; %bb.315:
	v_cmp_ne_u32_e32 vcc_lo, 1, v68
	s_cbranch_vccnz .LBB30_317
; %bb.316:
	scratch_load_b64 v[63:64], v67, off
	ds_load_b64 v[69:70], v66
	s_waitcnt vmcnt(0) lgkmcnt(0)
	v_mul_f64 v[63:64], v[63:64], v[69:70]
	s_cbranch_execz .LBB30_318
	s_branch .LBB30_319
.LBB30_317:
                                        ; implicit-def: $vgpr63_vgpr64
.LBB30_318:
	ds_load_b64 v[63:64], v66
.LBB30_319:
	s_mov_b32 s2, exec_lo
	v_cmpx_ne_u32_e32 2, v0
	s_cbranch_execz .LBB30_323
; %bb.320:
	scratch_load_b64 v[69:70], v67, off offset:8
	ds_load_b64 v[71:72], v66 offset:8
	s_waitcnt vmcnt(0) lgkmcnt(0)
	v_fma_f64 v[63:64], v[69:70], v[71:72], v[63:64]
	s_and_saveexec_b32 s3, s0
	s_cbranch_execz .LBB30_322
; %bb.321:
	scratch_load_b64 v[69:70], off, off offset:16
	v_mov_b32_e32 v71, 0
	ds_load_b64 v[71:72], v71 offset:272
	s_waitcnt vmcnt(0) lgkmcnt(0)
	v_fma_f64 v[63:64], v[69:70], v[71:72], v[63:64]
.LBB30_322:
	s_or_b32 exec_lo, exec_lo, s3
.LBB30_323:
	s_delay_alu instid0(SALU_CYCLE_1)
	s_or_b32 exec_lo, exec_lo, s2
	v_mov_b32_e32 v69, 0
	ds_load_b64 v[69:70], v69 offset:24
	s_waitcnt lgkmcnt(0)
	v_mul_f64 v[63:64], v[63:64], v[69:70]
	scratch_store_b64 off, v[63:64], off offset:24
.LBB30_324:
	s_or_b32 exec_lo, exec_lo, s1
	scratch_load_b64 v[63:64], off, off offset:32
	s_mov_b32 s0, exec_lo
	s_waitcnt vmcnt(0)
	ds_store_b64 v66, v[63:64]
	s_waitcnt lgkmcnt(0)
	s_waitcnt_vscnt null, 0x0
	s_barrier
	buffer_gl0_inv
	v_cmpx_gt_u32_e32 4, v0
	s_cbranch_execz .LBB30_334
; %bb.325:
	v_cmp_ne_u32_e32 vcc_lo, 1, v68
	s_cbranch_vccnz .LBB30_327
; %bb.326:
	scratch_load_b64 v[63:64], v67, off
	ds_load_b64 v[69:70], v66
	s_waitcnt vmcnt(0) lgkmcnt(0)
	v_mul_f64 v[63:64], v[63:64], v[69:70]
	s_cbranch_execz .LBB30_328
	s_branch .LBB30_329
.LBB30_327:
                                        ; implicit-def: $vgpr63_vgpr64
.LBB30_328:
	ds_load_b64 v[63:64], v66
.LBB30_329:
	s_mov_b32 s1, exec_lo
	v_cmpx_ne_u32_e32 3, v0
	s_cbranch_execz .LBB30_333
; %bb.330:
	v_add_nc_u32_e32 v69, 0x108, v65
	v_add3_u32 v70, 0, v65, 8
	v_mov_b32_e32 v71, v0
	s_mov_b32 s2, 0
.LBB30_331:                             ; =>This Inner Loop Header: Depth=1
	scratch_load_b64 v[72:73], v70, off
	ds_load_b64 v[74:75], v69
	v_add_nc_u32_e32 v71, 1, v71
	v_add_nc_u32_e32 v69, 8, v69
	v_add_nc_u32_e32 v70, 8, v70
	s_delay_alu instid0(VALU_DEP_3)
	v_cmp_lt_u32_e32 vcc_lo, 2, v71
	s_or_b32 s2, vcc_lo, s2
	s_waitcnt vmcnt(0) lgkmcnt(0)
	v_fma_f64 v[63:64], v[72:73], v[74:75], v[63:64]
	s_and_not1_b32 exec_lo, exec_lo, s2
	s_cbranch_execnz .LBB30_331
; %bb.332:
	s_or_b32 exec_lo, exec_lo, s2
.LBB30_333:
	s_delay_alu instid0(SALU_CYCLE_1)
	s_or_b32 exec_lo, exec_lo, s1
	v_mov_b32_e32 v69, 0
	ds_load_b64 v[69:70], v69 offset:32
	s_waitcnt lgkmcnt(0)
	v_mul_f64 v[63:64], v[63:64], v[69:70]
	scratch_store_b64 off, v[63:64], off offset:32
.LBB30_334:
	s_or_b32 exec_lo, exec_lo, s0
	scratch_load_b64 v[63:64], off, off offset:40
	s_mov_b32 s0, exec_lo
	s_waitcnt vmcnt(0)
	ds_store_b64 v66, v[63:64]
	s_waitcnt lgkmcnt(0)
	s_waitcnt_vscnt null, 0x0
	s_barrier
	buffer_gl0_inv
	v_cmpx_gt_u32_e32 5, v0
	s_cbranch_execz .LBB30_344
; %bb.335:
	v_cmp_ne_u32_e32 vcc_lo, 1, v68
	s_cbranch_vccnz .LBB30_337
; %bb.336:
	scratch_load_b64 v[63:64], v67, off
	ds_load_b64 v[69:70], v66
	s_waitcnt vmcnt(0) lgkmcnt(0)
	v_mul_f64 v[63:64], v[63:64], v[69:70]
	s_cbranch_execz .LBB30_338
	s_branch .LBB30_339
.LBB30_337:
                                        ; implicit-def: $vgpr63_vgpr64
.LBB30_338:
	ds_load_b64 v[63:64], v66
.LBB30_339:
	s_mov_b32 s1, exec_lo
	v_cmpx_ne_u32_e32 4, v0
	s_cbranch_execz .LBB30_343
; %bb.340:
	v_add_nc_u32_e32 v69, 0x108, v65
	v_add3_u32 v70, 0, v65, 8
	v_mov_b32_e32 v71, v0
	s_mov_b32 s2, 0
.LBB30_341:                             ; =>This Inner Loop Header: Depth=1
	scratch_load_b64 v[72:73], v70, off
	ds_load_b64 v[74:75], v69
	v_add_nc_u32_e32 v71, 1, v71
	v_add_nc_u32_e32 v69, 8, v69
	v_add_nc_u32_e32 v70, 8, v70
	s_delay_alu instid0(VALU_DEP_3)
	v_cmp_lt_u32_e32 vcc_lo, 3, v71
	s_or_b32 s2, vcc_lo, s2
	s_waitcnt vmcnt(0) lgkmcnt(0)
	v_fma_f64 v[63:64], v[72:73], v[74:75], v[63:64]
	s_and_not1_b32 exec_lo, exec_lo, s2
	s_cbranch_execnz .LBB30_341
; %bb.342:
	s_or_b32 exec_lo, exec_lo, s2
.LBB30_343:
	s_delay_alu instid0(SALU_CYCLE_1)
	s_or_b32 exec_lo, exec_lo, s1
	v_mov_b32_e32 v69, 0
	ds_load_b64 v[69:70], v69 offset:40
	s_waitcnt lgkmcnt(0)
	v_mul_f64 v[63:64], v[63:64], v[69:70]
	scratch_store_b64 off, v[63:64], off offset:40
.LBB30_344:
	;; [unrolled: 58-line block ×25, first 2 shown]
	s_or_b32 exec_lo, exec_lo, s0
	scratch_load_b64 v[63:64], off, off offset:232
	v_cmp_gt_u32_e64 s0, 29, v0
	s_waitcnt vmcnt(0)
	ds_store_b64 v66, v[63:64]
	s_waitcnt lgkmcnt(0)
	s_waitcnt_vscnt null, 0x0
	s_barrier
	buffer_gl0_inv
	s_and_saveexec_b32 s1, s0
	s_cbranch_execz .LBB30_584
; %bb.575:
	v_cmp_ne_u32_e32 vcc_lo, 1, v68
	s_cbranch_vccnz .LBB30_577
; %bb.576:
	scratch_load_b64 v[63:64], v67, off
	ds_load_b64 v[69:70], v66
	s_waitcnt vmcnt(0) lgkmcnt(0)
	v_mul_f64 v[63:64], v[63:64], v[69:70]
	s_cbranch_execz .LBB30_578
	s_branch .LBB30_579
.LBB30_577:
                                        ; implicit-def: $vgpr63_vgpr64
.LBB30_578:
	ds_load_b64 v[63:64], v66
.LBB30_579:
	s_mov_b32 s2, exec_lo
	v_cmpx_ne_u32_e32 28, v0
	s_cbranch_execz .LBB30_583
; %bb.580:
	v_add_nc_u32_e32 v69, 0x108, v65
	v_add3_u32 v70, 0, v65, 8
	v_mov_b32_e32 v71, v0
	s_mov_b32 s3, 0
.LBB30_581:                             ; =>This Inner Loop Header: Depth=1
	scratch_load_b64 v[72:73], v70, off
	ds_load_b64 v[74:75], v69
	v_add_nc_u32_e32 v71, 1, v71
	v_add_nc_u32_e32 v69, 8, v69
	;; [unrolled: 1-line block ×3, first 2 shown]
	s_delay_alu instid0(VALU_DEP_3)
	v_cmp_lt_u32_e32 vcc_lo, 27, v71
	s_or_b32 s3, vcc_lo, s3
	s_waitcnt vmcnt(0) lgkmcnt(0)
	v_fma_f64 v[63:64], v[72:73], v[74:75], v[63:64]
	s_and_not1_b32 exec_lo, exec_lo, s3
	s_cbranch_execnz .LBB30_581
; %bb.582:
	s_or_b32 exec_lo, exec_lo, s3
.LBB30_583:
	s_delay_alu instid0(SALU_CYCLE_1)
	s_or_b32 exec_lo, exec_lo, s2
	v_mov_b32_e32 v69, 0
	ds_load_b64 v[69:70], v69 offset:232
	s_waitcnt lgkmcnt(0)
	v_mul_f64 v[63:64], v[63:64], v[69:70]
	scratch_store_b64 off, v[63:64], off offset:232
.LBB30_584:
	s_or_b32 exec_lo, exec_lo, s1
	scratch_load_b64 v[63:64], off, off offset:240
	s_mov_b32 s1, exec_lo
	s_waitcnt vmcnt(0)
	ds_store_b64 v66, v[63:64]
	s_waitcnt lgkmcnt(0)
	s_waitcnt_vscnt null, 0x0
	s_barrier
	buffer_gl0_inv
	v_cmpx_ne_u32_e32 30, v0
	s_cbranch_execz .LBB30_594
; %bb.585:
	v_cmp_ne_u32_e32 vcc_lo, 1, v68
	s_cbranch_vccnz .LBB30_587
; %bb.586:
	scratch_load_b64 v[63:64], v67, off
	ds_load_b64 v[67:68], v66
	s_waitcnt vmcnt(0) lgkmcnt(0)
	v_mul_f64 v[63:64], v[63:64], v[67:68]
	s_cbranch_execz .LBB30_588
	s_branch .LBB30_589
.LBB30_587:
                                        ; implicit-def: $vgpr63_vgpr64
.LBB30_588:
	ds_load_b64 v[63:64], v66
.LBB30_589:
	s_and_saveexec_b32 s2, s0
	s_cbranch_execz .LBB30_593
; %bb.590:
	v_add_nc_u32_e32 v66, 0x108, v65
	v_add3_u32 v65, 0, v65, 8
	s_mov_b32 s0, 0
.LBB30_591:                             ; =>This Inner Loop Header: Depth=1
	scratch_load_b64 v[67:68], v65, off
	ds_load_b64 v[69:70], v66
	v_add_nc_u32_e32 v0, 1, v0
	v_add_nc_u32_e32 v66, 8, v66
	;; [unrolled: 1-line block ×3, first 2 shown]
	s_delay_alu instid0(VALU_DEP_3)
	v_cmp_lt_u32_e32 vcc_lo, 28, v0
	s_or_b32 s0, vcc_lo, s0
	s_waitcnt vmcnt(0) lgkmcnt(0)
	v_fma_f64 v[63:64], v[67:68], v[69:70], v[63:64]
	s_and_not1_b32 exec_lo, exec_lo, s0
	s_cbranch_execnz .LBB30_591
; %bb.592:
	s_or_b32 exec_lo, exec_lo, s0
.LBB30_593:
	s_delay_alu instid0(SALU_CYCLE_1)
	s_or_b32 exec_lo, exec_lo, s2
	v_mov_b32_e32 v0, 0
	ds_load_b64 v[65:66], v0 offset:240
	s_waitcnt lgkmcnt(0)
	v_mul_f64 v[63:64], v[63:64], v[65:66]
	scratch_store_b64 off, v[63:64], off offset:240
.LBB30_594:
	s_or_b32 exec_lo, exec_lo, s1
.LBB30_595:
	s_clause 0x7
	scratch_load_b128 v[63:66], off, off
	scratch_load_b128 v[67:70], off, off offset:16
	scratch_load_b128 v[71:74], off, off offset:32
	;; [unrolled: 1-line block ×7, first 2 shown]
	s_waitcnt vmcnt(7)
	s_clause 0x1
	global_store_b64 v[3:4], v[63:64], off
	global_store_b64 v[1:2], v[65:66], off
	scratch_load_b128 v[0:3], off, off offset:128
	s_waitcnt vmcnt(7)
	s_clause 0x1
	global_store_b64 v[11:12], v[67:68], off
	global_store_b64 v[9:10], v[69:70], off
	s_waitcnt vmcnt(6)
	s_clause 0x1
	global_store_b64 v[7:8], v[71:72], off
	global_store_b64 v[5:6], v[73:74], off
	;; [unrolled: 4-line block ×3, first 2 shown]
	s_clause 0x6
	scratch_load_b128 v[63:66], off, off offset:144
	scratch_load_b128 v[9:12], off, off offset:160
	;; [unrolled: 1-line block ×6, first 2 shown]
	scratch_load_b64 v[13:14], off, off offset:240
	s_waitcnt vmcnt(11)
	s_clause 0x1
	global_store_b64 v[15:16], v[79:80], off
	global_store_b64 v[19:20], v[81:82], off
	s_waitcnt vmcnt(10)
	s_clause 0x1
	global_store_b64 v[23:24], v[83:84], off
	global_store_b64 v[25:26], v[85:86], off
	;; [unrolled: 4-line block ×11, first 2 shown]
	s_waitcnt vmcnt(0)
	global_store_b64 v[21:22], v[13:14], off
.LBB30_596:
	s_endpgm
	.section	.rodata,"a",@progbits
	.p2align	6, 0x0
	.amdhsa_kernel _ZN9rocsolver6v33100L18trti2_kernel_smallILi31EdPdEEv13rocblas_fill_17rocblas_diagonal_T1_iil
		.amdhsa_group_segment_fixed_size 504
		.amdhsa_private_segment_fixed_size 256
		.amdhsa_kernarg_size 32
		.amdhsa_user_sgpr_count 15
		.amdhsa_user_sgpr_dispatch_ptr 0
		.amdhsa_user_sgpr_queue_ptr 0
		.amdhsa_user_sgpr_kernarg_segment_ptr 1
		.amdhsa_user_sgpr_dispatch_id 0
		.amdhsa_user_sgpr_private_segment_size 0
		.amdhsa_wavefront_size32 1
		.amdhsa_uses_dynamic_stack 0
		.amdhsa_enable_private_segment 1
		.amdhsa_system_sgpr_workgroup_id_x 1
		.amdhsa_system_sgpr_workgroup_id_y 0
		.amdhsa_system_sgpr_workgroup_id_z 0
		.amdhsa_system_sgpr_workgroup_info 0
		.amdhsa_system_vgpr_workitem_id 0
		.amdhsa_next_free_vgpr 100
		.amdhsa_next_free_sgpr 16
		.amdhsa_reserve_vcc 1
		.amdhsa_float_round_mode_32 0
		.amdhsa_float_round_mode_16_64 0
		.amdhsa_float_denorm_mode_32 3
		.amdhsa_float_denorm_mode_16_64 3
		.amdhsa_dx10_clamp 1
		.amdhsa_ieee_mode 1
		.amdhsa_fp16_overflow 0
		.amdhsa_workgroup_processor_mode 1
		.amdhsa_memory_ordered 1
		.amdhsa_forward_progress 0
		.amdhsa_shared_vgpr_count 0
		.amdhsa_exception_fp_ieee_invalid_op 0
		.amdhsa_exception_fp_denorm_src 0
		.amdhsa_exception_fp_ieee_div_zero 0
		.amdhsa_exception_fp_ieee_overflow 0
		.amdhsa_exception_fp_ieee_underflow 0
		.amdhsa_exception_fp_ieee_inexact 0
		.amdhsa_exception_int_div_zero 0
	.end_amdhsa_kernel
	.section	.text._ZN9rocsolver6v33100L18trti2_kernel_smallILi31EdPdEEv13rocblas_fill_17rocblas_diagonal_T1_iil,"axG",@progbits,_ZN9rocsolver6v33100L18trti2_kernel_smallILi31EdPdEEv13rocblas_fill_17rocblas_diagonal_T1_iil,comdat
.Lfunc_end30:
	.size	_ZN9rocsolver6v33100L18trti2_kernel_smallILi31EdPdEEv13rocblas_fill_17rocblas_diagonal_T1_iil, .Lfunc_end30-_ZN9rocsolver6v33100L18trti2_kernel_smallILi31EdPdEEv13rocblas_fill_17rocblas_diagonal_T1_iil
                                        ; -- End function
	.section	.AMDGPU.csdata,"",@progbits
; Kernel info:
; codeLenInByte = 16752
; NumSgprs: 18
; NumVgprs: 100
; ScratchSize: 256
; MemoryBound: 0
; FloatMode: 240
; IeeeMode: 1
; LDSByteSize: 504 bytes/workgroup (compile time only)
; SGPRBlocks: 2
; VGPRBlocks: 12
; NumSGPRsForWavesPerEU: 18
; NumVGPRsForWavesPerEU: 100
; Occupancy: 12
; WaveLimiterHint : 0
; COMPUTE_PGM_RSRC2:SCRATCH_EN: 1
; COMPUTE_PGM_RSRC2:USER_SGPR: 15
; COMPUTE_PGM_RSRC2:TRAP_HANDLER: 0
; COMPUTE_PGM_RSRC2:TGID_X_EN: 1
; COMPUTE_PGM_RSRC2:TGID_Y_EN: 0
; COMPUTE_PGM_RSRC2:TGID_Z_EN: 0
; COMPUTE_PGM_RSRC2:TIDIG_COMP_CNT: 0
	.section	.text._ZN9rocsolver6v33100L18trti2_kernel_smallILi32EdPdEEv13rocblas_fill_17rocblas_diagonal_T1_iil,"axG",@progbits,_ZN9rocsolver6v33100L18trti2_kernel_smallILi32EdPdEEv13rocblas_fill_17rocblas_diagonal_T1_iil,comdat
	.globl	_ZN9rocsolver6v33100L18trti2_kernel_smallILi32EdPdEEv13rocblas_fill_17rocblas_diagonal_T1_iil ; -- Begin function _ZN9rocsolver6v33100L18trti2_kernel_smallILi32EdPdEEv13rocblas_fill_17rocblas_diagonal_T1_iil
	.p2align	8
	.type	_ZN9rocsolver6v33100L18trti2_kernel_smallILi32EdPdEEv13rocblas_fill_17rocblas_diagonal_T1_iil,@function
_ZN9rocsolver6v33100L18trti2_kernel_smallILi32EdPdEEv13rocblas_fill_17rocblas_diagonal_T1_iil: ; @_ZN9rocsolver6v33100L18trti2_kernel_smallILi32EdPdEEv13rocblas_fill_17rocblas_diagonal_T1_iil
; %bb.0:
	s_mov_b32 s2, exec_lo
	v_cmpx_gt_u32_e32 32, v0
	s_cbranch_execz .LBB31_616
; %bb.1:
	s_load_b256 s[0:7], s[0:1], 0x0
	s_ashr_i32 s10, s15, 31
	v_lshlrev_b32_e32 v67, 3, v0
	s_waitcnt lgkmcnt(0)
	s_ashr_i32 s9, s4, 31
	s_mov_b32 s8, s4
	s_mul_i32 s4, s15, s7
	s_mul_hi_u32 s7, s15, s6
	v_add3_u32 v1, s5, s5, v0
	s_mul_i32 s11, s10, s6
	s_add_i32 s4, s7, s4
	s_mul_i32 s6, s15, s6
	s_add_i32 s7, s4, s11
	v_add_nc_u32_e32 v5, s5, v1
	s_lshl_b64 s[6:7], s[6:7], 3
	v_ashrrev_i32_e32 v2, 31, v1
	s_add_u32 s4, s2, s6
	s_addc_u32 s6, s3, s7
	s_lshl_b64 s[2:3], s[8:9], 3
	v_add_nc_u32_e32 v11, s5, v5
	s_add_u32 s2, s4, s2
	s_addc_u32 s3, s6, s3
	v_add_co_u32 v9, s4, s2, v67
	s_mov_b32 s10, s5
	s_ashr_i32 s11, s5, 31
	v_ashrrev_i32_e32 v6, 31, v5
	v_add_co_ci_u32_e64 v10, null, s3, 0, s4
	v_lshlrev_b64 v[1:2], 3, v[1:2]
	s_lshl_b64 s[6:7], s[10:11], 3
	v_add_nc_u32_e32 v15, s5, v11
	v_add_co_u32 v3, vcc_lo, v9, s6
	v_ashrrev_i32_e32 v12, 31, v11
	v_add_co_ci_u32_e32 v4, vcc_lo, s7, v10, vcc_lo
	v_lshlrev_b64 v[5:6], 3, v[5:6]
	v_add_co_u32 v7, vcc_lo, s2, v1
	v_ashrrev_i32_e32 v16, 31, v15
	v_add_co_ci_u32_e32 v8, vcc_lo, s3, v2, vcc_lo
	v_lshlrev_b64 v[1:2], 3, v[11:12]
	v_add_nc_u32_e32 v11, s5, v15
	v_add_co_u32 v13, vcc_lo, s2, v5
	v_lshlrev_b64 v[15:16], 3, v[15:16]
	s_clause 0x1
	global_load_b64 v[27:28], v67, s[2:3]
	global_load_b64 v[29:30], v[3:4], off
	v_add_co_ci_u32_e32 v14, vcc_lo, s3, v6, vcc_lo
	v_add_co_u32 v5, vcc_lo, s2, v1
	v_add_co_ci_u32_e32 v6, vcc_lo, s3, v2, vcc_lo
	v_add_co_u32 v1, vcc_lo, s2, v15
	v_add_nc_u32_e32 v15, s5, v11
	v_ashrrev_i32_e32 v12, 31, v11
	v_add_co_ci_u32_e32 v2, vcc_lo, s3, v16, vcc_lo
	s_clause 0x3
	global_load_b64 v[35:36], v[7:8], off
	global_load_b64 v[37:38], v[13:14], off
	;; [unrolled: 1-line block ×4, first 2 shown]
	v_add_nc_u32_e32 v21, s5, v15
	v_ashrrev_i32_e32 v16, 31, v15
	v_lshlrev_b64 v[11:12], 3, v[11:12]
	s_cmpk_lg_i32 s1, 0x84
	s_delay_alu instid0(VALU_DEP_3) | instskip(SKIP_2) | instid1(VALU_DEP_4)
	v_add_nc_u32_e32 v23, s5, v21
	v_ashrrev_i32_e32 v22, 31, v21
	v_lshlrev_b64 v[15:16], 3, v[15:16]
	v_add_co_u32 v19, vcc_lo, s2, v11
	s_delay_alu instid0(VALU_DEP_4) | instskip(SKIP_3) | instid1(VALU_DEP_4)
	v_ashrrev_i32_e32 v24, 31, v23
	v_add_co_ci_u32_e32 v20, vcc_lo, s3, v12, vcc_lo
	v_lshlrev_b64 v[11:12], 3, v[21:22]
	v_add_co_u32 v17, vcc_lo, s2, v15
	v_lshlrev_b64 v[21:22], 3, v[23:24]
	v_add_co_ci_u32_e32 v18, vcc_lo, s3, v16, vcc_lo
	s_delay_alu instid0(VALU_DEP_4) | instskip(SKIP_1) | instid1(VALU_DEP_4)
	v_add_co_u32 v15, vcc_lo, s2, v11
	v_add_co_ci_u32_e32 v16, vcc_lo, s3, v12, vcc_lo
	v_add_co_u32 v11, vcc_lo, s2, v21
	v_add_co_ci_u32_e32 v12, vcc_lo, s3, v22, vcc_lo
	s_clause 0x3
	global_load_b64 v[43:44], v[19:20], off
	global_load_b64 v[45:46], v[17:18], off
	;; [unrolled: 1-line block ×4, first 2 shown]
	v_add_nc_u32_e32 v21, s5, v23
	s_delay_alu instid0(VALU_DEP_1) | instskip(SKIP_1) | instid1(VALU_DEP_2)
	v_add_nc_u32_e32 v23, s5, v21
	v_ashrrev_i32_e32 v22, 31, v21
	v_add_nc_u32_e32 v25, s5, v23
	s_delay_alu instid0(VALU_DEP_2) | instskip(SKIP_1) | instid1(VALU_DEP_3)
	v_lshlrev_b64 v[21:22], 3, v[21:22]
	v_ashrrev_i32_e32 v24, 31, v23
	v_add_nc_u32_e32 v31, s5, v25
	v_ashrrev_i32_e32 v26, 31, v25
	s_delay_alu instid0(VALU_DEP_3) | instskip(SKIP_1) | instid1(VALU_DEP_4)
	v_lshlrev_b64 v[53:54], 3, v[23:24]
	v_add_co_u32 v23, vcc_lo, s2, v21
	v_add_nc_u32_e32 v33, s5, v31
	v_add_co_ci_u32_e32 v24, vcc_lo, s3, v22, vcc_lo
	v_lshlrev_b64 v[56:57], 3, v[25:26]
	v_ashrrev_i32_e32 v32, 31, v31
	s_delay_alu instid0(VALU_DEP_4) | instskip(SKIP_1) | instid1(VALU_DEP_2)
	v_add_nc_u32_e32 v55, s5, v33
	v_ashrrev_i32_e32 v34, 31, v33
	v_add_nc_u32_e32 v63, s5, v55
	s_delay_alu instid0(VALU_DEP_1) | instskip(SKIP_1) | instid1(VALU_DEP_2)
	v_add_nc_u32_e32 v65, s5, v63
	v_ashrrev_i32_e32 v64, 31, v63
	v_add_nc_u32_e32 v68, s5, v65
	v_ashrrev_i32_e32 v66, 31, v65
	s_delay_alu instid0(VALU_DEP_2) | instskip(SKIP_1) | instid1(VALU_DEP_2)
	v_add_nc_u32_e32 v74, s5, v68
	v_ashrrev_i32_e32 v69, 31, v68
	v_add_nc_u32_e32 v80, s5, v74
	v_ashrrev_i32_e32 v75, 31, v74
	s_delay_alu instid0(VALU_DEP_2) | instskip(SKIP_1) | instid1(VALU_DEP_2)
	v_add_nc_u32_e32 v82, s5, v80
	v_ashrrev_i32_e32 v81, 31, v80
	v_add_nc_u32_e32 v84, s5, v82
	v_ashrrev_i32_e32 v83, 31, v82
	s_delay_alu instid0(VALU_DEP_2) | instskip(SKIP_1) | instid1(VALU_DEP_2)
	v_add_nc_u32_e32 v86, s5, v84
	v_ashrrev_i32_e32 v85, 31, v84
	v_add_nc_u32_e32 v88, s5, v86
	v_ashrrev_i32_e32 v87, 31, v86
	s_delay_alu instid0(VALU_DEP_2) | instskip(SKIP_1) | instid1(VALU_DEP_2)
	v_add_nc_u32_e32 v90, s5, v88
	v_ashrrev_i32_e32 v89, 31, v88
	v_add_nc_u32_e32 v92, s5, v90
	v_ashrrev_i32_e32 v91, 31, v90
	s_delay_alu instid0(VALU_DEP_2) | instskip(SKIP_1) | instid1(VALU_DEP_2)
	v_add_nc_u32_e32 v94, s5, v92
	v_ashrrev_i32_e32 v93, 31, v92
	v_add_nc_u32_e32 v96, s5, v94
	v_ashrrev_i32_e32 v95, 31, v94
	s_delay_alu instid0(VALU_DEP_2) | instskip(SKIP_1) | instid1(VALU_DEP_2)
	v_add_nc_u32_e32 v98, s5, v96
	v_ashrrev_i32_e32 v97, 31, v96
	v_add_nc_u32_e32 v100, s5, v98
	v_ashrrev_i32_e32 v99, 31, v98
	s_delay_alu instid0(VALU_DEP_2) | instskip(SKIP_1) | instid1(VALU_DEP_2)
	v_add_nc_u32_e32 v51, s5, v100
	v_ashrrev_i32_e32 v101, 31, v100
	v_ashrrev_i32_e32 v52, 31, v51
	s_delay_alu instid0(VALU_DEP_1) | instskip(NEXT) | instid1(VALU_DEP_1)
	v_lshlrev_b64 v[51:52], 3, v[51:52]
	v_add_co_u32 v21, vcc_lo, s2, v51
	s_delay_alu instid0(VALU_DEP_2)
	v_add_co_ci_u32_e32 v22, vcc_lo, s3, v52, vcc_lo
	v_add_co_u32 v25, vcc_lo, s2, v53
	v_add_co_ci_u32_e32 v26, vcc_lo, s3, v54, vcc_lo
	global_load_b64 v[70:71], v[21:22], off
	s_waitcnt vmcnt(9)
	scratch_store_b128 off, v[27:30], off
	v_lshlrev_b64 v[29:30], 3, v[31:32]
	v_add_co_u32 v27, vcc_lo, s2, v56
	v_ashrrev_i32_e32 v56, 31, v55
	v_lshlrev_b64 v[31:32], 3, v[33:34]
	v_add_co_ci_u32_e32 v28, vcc_lo, s3, v57, vcc_lo
	v_add_co_u32 v29, vcc_lo, s2, v29
	s_delay_alu instid0(VALU_DEP_4)
	v_lshlrev_b64 v[33:34], 3, v[55:56]
	s_clause 0x1
	global_load_b64 v[51:52], v[23:24], off
	global_load_b64 v[53:54], v[25:26], off
	v_add_co_ci_u32_e32 v30, vcc_lo, s3, v30, vcc_lo
	v_add_co_u32 v31, vcc_lo, s2, v31
	v_add_co_ci_u32_e32 v32, vcc_lo, s3, v32, vcc_lo
	v_add_co_u32 v33, vcc_lo, s2, v33
	v_add_co_ci_u32_e32 v34, vcc_lo, s3, v34, vcc_lo
	s_waitcnt vmcnt(9)
	scratch_store_b128 off, v[35:38], off offset:16
	s_waitcnt vmcnt(7)
	scratch_store_b128 off, v[39:42], off offset:32
	s_clause 0x3
	global_load_b64 v[55:56], v[27:28], off
	global_load_b64 v[57:58], v[29:30], off
	;; [unrolled: 1-line block ×4, first 2 shown]
	v_lshlrev_b64 v[35:36], 3, v[63:64]
	v_lshlrev_b64 v[37:38], 3, v[65:66]
	;; [unrolled: 1-line block ×6, first 2 shown]
	v_add_co_u32 v35, vcc_lo, s2, v35
	v_add_co_ci_u32_e32 v36, vcc_lo, s3, v36, vcc_lo
	v_add_co_u32 v37, vcc_lo, s2, v37
	v_add_co_ci_u32_e32 v38, vcc_lo, s3, v38, vcc_lo
	;; [unrolled: 2-line block ×4, first 2 shown]
	s_waitcnt vmcnt(9)
	scratch_store_b128 off, v[43:46], off offset:48
	s_waitcnt vmcnt(7)
	scratch_store_b128 off, v[47:50], off offset:64
	s_clause 0x3
	global_load_b64 v[72:73], v[35:36], off
	global_load_b64 v[74:75], v[37:38], off
	;; [unrolled: 1-line block ×4, first 2 shown]
	v_lshlrev_b64 v[43:44], 3, v[80:81]
	v_lshlrev_b64 v[45:46], 3, v[82:83]
	;; [unrolled: 1-line block ×4, first 2 shown]
	s_delay_alu instid0(VALU_DEP_4)
	v_add_co_u32 v43, vcc_lo, s2, v43
	v_add_co_ci_u32_e32 v44, vcc_lo, s3, v44, vcc_lo
	v_add_co_u32 v45, vcc_lo, s2, v45
	v_add_co_ci_u32_e32 v46, vcc_lo, s3, v46, vcc_lo
	;; [unrolled: 2-line block ×4, first 2 shown]
	global_load_b64 v[80:81], v[43:44], off
	s_waitcnt vmcnt(9)
	scratch_store_b128 off, v[51:54], off offset:80
	v_lshlrev_b64 v[51:52], 3, v[88:89]
	v_lshlrev_b64 v[53:54], 3, v[90:91]
	s_waitcnt vmcnt(7)
	scratch_store_b128 off, v[55:58], off offset:96
	s_waitcnt vmcnt(5)
	scratch_store_b128 off, v[59:62], off offset:112
	v_add_co_u32 v51, vcc_lo, s2, v51
	v_add_co_ci_u32_e32 v52, vcc_lo, s3, v52, vcc_lo
	v_add_co_u32 v53, vcc_lo, s2, v53
	v_lshlrev_b64 v[57:58], 3, v[94:95]
	v_add_co_ci_u32_e32 v54, vcc_lo, s3, v54, vcc_lo
	v_add_co_u32 v55, vcc_lo, s2, v63
	v_add_co_ci_u32_e32 v56, vcc_lo, s3, v64, vcc_lo
	v_lshlrev_b64 v[61:62], 3, v[96:97]
	v_add_co_u32 v59, vcc_lo, s2, v57
	v_add_co_ci_u32_e32 v60, vcc_lo, s3, v58, vcc_lo
	v_lshlrev_b64 v[57:58], 3, v[98:99]
	s_delay_alu instid0(VALU_DEP_4)
	v_add_co_u32 v61, vcc_lo, s2, v61
	v_add_co_ci_u32_e32 v62, vcc_lo, s3, v62, vcc_lo
	s_clause 0x3
	global_load_b64 v[82:83], v[45:46], off
	global_load_b64 v[84:85], v[47:48], off
	;; [unrolled: 1-line block ×4, first 2 shown]
	v_add_co_u32 v63, vcc_lo, s2, v57
	v_add_co_ci_u32_e32 v64, vcc_lo, s3, v58, vcc_lo
	v_add_co_u32 v57, vcc_lo, s2, v65
	v_add_co_ci_u32_e32 v58, vcc_lo, s3, v66, vcc_lo
	s_waitcnt vmcnt(7)
	scratch_store_b128 off, v[72:75], off offset:128
	s_clause 0x2
	global_load_b64 v[90:91], v[53:54], off
	global_load_b64 v[72:73], v[55:56], off
	;; [unrolled: 1-line block ×3, first 2 shown]
	s_waitcnt vmcnt(8)
	scratch_store_b128 off, v[76:79], off offset:144
	s_clause 0x2
	global_load_b64 v[76:77], v[61:62], off
	global_load_b64 v[78:79], v[63:64], off
	;; [unrolled: 1-line block ×3, first 2 shown]
	v_mov_b32_e32 v65, 0
	v_mov_b32_e32 v66, 0xbff00000
	s_cselect_b32 s2, -1, 0
	s_cmpk_eq_i32 s1, 0x84
	s_waitcnt vmcnt(9)
	scratch_store_b128 off, v[80:83], off offset:160
	s_waitcnt vmcnt(7)
	scratch_store_b128 off, v[84:87], off offset:176
	;; [unrolled: 2-line block ×6, first 2 shown]
	s_cbranch_scc1 .LBB31_3
; %bb.2:
	scratch_load_b64 v[65:66], v67, off
	s_waitcnt vmcnt(0)
	v_div_scale_f64 v[68:69], null, v[65:66], v[65:66], 1.0
	v_div_scale_f64 v[74:75], vcc_lo, 1.0, v[65:66], 1.0
	s_delay_alu instid0(VALU_DEP_2) | instskip(SKIP_2) | instid1(VALU_DEP_1)
	v_rcp_f64_e32 v[70:71], v[68:69]
	s_waitcnt_depctr 0xfff
	v_fma_f64 v[72:73], -v[68:69], v[70:71], 1.0
	v_fma_f64 v[70:71], v[70:71], v[72:73], v[70:71]
	s_delay_alu instid0(VALU_DEP_1) | instskip(NEXT) | instid1(VALU_DEP_1)
	v_fma_f64 v[72:73], -v[68:69], v[70:71], 1.0
	v_fma_f64 v[70:71], v[70:71], v[72:73], v[70:71]
	s_delay_alu instid0(VALU_DEP_1) | instskip(NEXT) | instid1(VALU_DEP_1)
	v_mul_f64 v[72:73], v[74:75], v[70:71]
	v_fma_f64 v[68:69], -v[68:69], v[72:73], v[74:75]
	s_delay_alu instid0(VALU_DEP_1) | instskip(NEXT) | instid1(VALU_DEP_1)
	v_div_fmas_f64 v[68:69], v[68:69], v[70:71], v[72:73]
	v_div_fixup_f64 v[65:66], v[68:69], v[65:66], 1.0
	scratch_store_b64 v67, v[65:66], off
	v_xor_b32_e32 v66, 0x80000000, v66
.LBB31_3:
	v_add_nc_u32_e32 v68, 0x100, v67
	v_add_nc_u32_e32 v69, 0, v67
	s_cmpk_eq_i32 s0, 0x79
	s_mov_b32 s0, -1
	ds_store_b64 v67, v[65:66]
	s_cbranch_scc1 .LBB31_309
; %bb.4:
	scratch_load_b64 v[65:66], off, off offset:240
	v_cmp_eq_u32_e64 s0, 31, v0
	s_movk_i32 s1, 0x50
	s_movk_i32 s3, 0x60
	;; [unrolled: 1-line block ×10, first 2 shown]
	s_waitcnt vmcnt(0)
	ds_store_b64 v68, v[65:66]
	s_waitcnt lgkmcnt(0)
	s_waitcnt_vscnt null, 0x0
	s_barrier
	buffer_gl0_inv
	s_and_saveexec_b32 s12, s0
	s_cbranch_execz .LBB31_10
; %bb.5:
	s_and_b32 vcc_lo, exec_lo, s2
	s_cbranch_vccz .LBB31_7
; %bb.6:
	scratch_load_b64 v[65:66], v69, off
	ds_load_b64 v[70:71], v68
	s_waitcnt vmcnt(0) lgkmcnt(0)
	v_mul_f64 v[65:66], v[65:66], v[70:71]
	s_cbranch_execz .LBB31_8
	s_branch .LBB31_9
.LBB31_7:
                                        ; implicit-def: $vgpr65_vgpr66
.LBB31_8:
	ds_load_b64 v[65:66], v68
.LBB31_9:
	v_mov_b32_e32 v70, 0
	ds_load_b64 v[70:71], v70 offset:240
	s_waitcnt lgkmcnt(0)
	v_mul_f64 v[65:66], v[65:66], v[70:71]
	scratch_store_b64 off, v[65:66], off offset:240
.LBB31_10:
	s_or_b32 exec_lo, exec_lo, s12
	scratch_load_b64 v[65:66], off, off offset:232
	v_add_nc_u32_e64 v70, 0, 16
	v_add_nc_u32_e64 v71, 0, 32
	;; [unrolled: 1-line block ×14, first 2 shown]
	v_cmp_lt_u32_e64 s1, 29, v0
	s_waitcnt vmcnt(0)
	ds_store_b64 v68, v[65:66]
	s_waitcnt lgkmcnt(0)
	s_waitcnt_vscnt null, 0x0
	s_barrier
	buffer_gl0_inv
	s_and_saveexec_b32 s3, s1
	s_cbranch_execz .LBB31_18
; %bb.11:
	s_and_not1_b32 vcc_lo, exec_lo, s2
	s_cbranch_vccnz .LBB31_13
; %bb.12:
	scratch_load_b64 v[65:66], v69, off
	ds_load_b64 v[84:85], v68
	s_waitcnt vmcnt(0) lgkmcnt(0)
	v_mul_f64 v[65:66], v[65:66], v[84:85]
	s_cbranch_execz .LBB31_14
	s_branch .LBB31_15
.LBB31_13:
                                        ; implicit-def: $vgpr65_vgpr66
.LBB31_14:
	ds_load_b64 v[65:66], v68
.LBB31_15:
	s_and_saveexec_b32 s4, s0
	s_cbranch_execz .LBB31_17
; %bb.16:
	scratch_load_b64 v[84:85], off, off offset:240
	v_mov_b32_e32 v86, 0
	ds_load_b64 v[86:87], v86 offset:496
	s_waitcnt vmcnt(0) lgkmcnt(0)
	v_fma_f64 v[65:66], v[84:85], v[86:87], v[65:66]
.LBB31_17:
	s_or_b32 exec_lo, exec_lo, s4
	v_mov_b32_e32 v84, 0
	ds_load_b64 v[84:85], v84 offset:232
	s_waitcnt lgkmcnt(0)
	v_mul_f64 v[65:66], v[65:66], v[84:85]
	scratch_store_b64 off, v[65:66], off offset:232
.LBB31_18:
	s_or_b32 exec_lo, exec_lo, s3
	scratch_load_b64 v[65:66], off, off offset:224
	v_cmp_lt_u32_e64 s0, 28, v0
	s_waitcnt vmcnt(0)
	ds_store_b64 v68, v[65:66]
	s_waitcnt lgkmcnt(0)
	s_waitcnt_vscnt null, 0x0
	s_barrier
	buffer_gl0_inv
	s_and_saveexec_b32 s3, s0
	s_cbranch_execz .LBB31_28
; %bb.19:
	s_and_not1_b32 vcc_lo, exec_lo, s2
	s_cbranch_vccnz .LBB31_21
; %bb.20:
	scratch_load_b64 v[65:66], v69, off
	ds_load_b64 v[84:85], v68
	s_waitcnt vmcnt(0) lgkmcnt(0)
	v_mul_f64 v[65:66], v[65:66], v[84:85]
	s_cbranch_execz .LBB31_22
	s_branch .LBB31_23
.LBB31_21:
                                        ; implicit-def: $vgpr65_vgpr66
.LBB31_22:
	ds_load_b64 v[65:66], v68
.LBB31_23:
	s_and_saveexec_b32 s4, s1
	s_cbranch_execz .LBB31_27
; %bb.24:
	v_mov_b32_e32 v84, 0
	v_subrev_nc_u32_e32 v85, 29, v0
	s_movk_i32 s5, 0x1e8
	s_mov_b32 s1, 0
	s_delay_alu instid0(VALU_DEP_2)
	v_add_nc_u32_e32 v84, 0xe8, v84
.LBB31_25:                              ; =>This Inner Loop Header: Depth=1
	scratch_load_b64 v[86:87], v84, off
	v_dual_mov_b32 v88, s5 :: v_dual_add_nc_u32 v85, -1, v85
	v_add_nc_u32_e32 v84, 8, v84
	s_add_i32 s5, s5, 8
	ds_load_b64 v[88:89], v88
	v_cmp_eq_u32_e32 vcc_lo, 0, v85
	s_or_b32 s1, vcc_lo, s1
	s_waitcnt vmcnt(0) lgkmcnt(0)
	v_fma_f64 v[65:66], v[86:87], v[88:89], v[65:66]
	s_and_not1_b32 exec_lo, exec_lo, s1
	s_cbranch_execnz .LBB31_25
; %bb.26:
	s_or_b32 exec_lo, exec_lo, s1
.LBB31_27:
	s_delay_alu instid0(SALU_CYCLE_1)
	s_or_b32 exec_lo, exec_lo, s4
	v_mov_b32_e32 v84, 0
	ds_load_b64 v[84:85], v84 offset:224
	s_waitcnt lgkmcnt(0)
	v_mul_f64 v[65:66], v[65:66], v[84:85]
	scratch_store_b64 off, v[65:66], off offset:224
.LBB31_28:
	s_or_b32 exec_lo, exec_lo, s3
	scratch_load_b64 v[65:66], off, off offset:216
	v_cmp_lt_u32_e64 s1, 27, v0
	s_waitcnt vmcnt(0)
	ds_store_b64 v68, v[65:66]
	s_waitcnt lgkmcnt(0)
	s_waitcnt_vscnt null, 0x0
	s_barrier
	buffer_gl0_inv
	s_and_saveexec_b32 s3, s1
	s_cbranch_execz .LBB31_38
; %bb.29:
	s_and_not1_b32 vcc_lo, exec_lo, s2
	s_cbranch_vccnz .LBB31_31
; %bb.30:
	scratch_load_b64 v[65:66], v69, off
	ds_load_b64 v[84:85], v68
	s_waitcnt vmcnt(0) lgkmcnt(0)
	v_mul_f64 v[65:66], v[65:66], v[84:85]
	s_cbranch_execz .LBB31_32
	s_branch .LBB31_33
.LBB31_31:
                                        ; implicit-def: $vgpr65_vgpr66
.LBB31_32:
	ds_load_b64 v[65:66], v68
.LBB31_33:
	s_and_saveexec_b32 s4, s0
	s_cbranch_execz .LBB31_37
; %bb.34:
	v_subrev_nc_u32_e32 v84, 28, v0
	s_movk_i32 s5, 0x1e0
	s_mov_b32 s0, 0
.LBB31_35:                              ; =>This Inner Loop Header: Depth=1
	scratch_load_b64 v[85:86], v83, off
	v_dual_mov_b32 v87, s5 :: v_dual_add_nc_u32 v84, -1, v84
	v_add_nc_u32_e32 v83, 8, v83
	s_add_i32 s5, s5, 8
	ds_load_b64 v[87:88], v87
	v_cmp_eq_u32_e32 vcc_lo, 0, v84
	s_or_b32 s0, vcc_lo, s0
	s_waitcnt vmcnt(0) lgkmcnt(0)
	v_fma_f64 v[65:66], v[85:86], v[87:88], v[65:66]
	s_and_not1_b32 exec_lo, exec_lo, s0
	s_cbranch_execnz .LBB31_35
; %bb.36:
	s_or_b32 exec_lo, exec_lo, s0
.LBB31_37:
	s_delay_alu instid0(SALU_CYCLE_1)
	s_or_b32 exec_lo, exec_lo, s4
	v_mov_b32_e32 v83, 0
	ds_load_b64 v[83:84], v83 offset:216
	s_waitcnt lgkmcnt(0)
	v_mul_f64 v[65:66], v[65:66], v[83:84]
	scratch_store_b64 off, v[65:66], off offset:216
.LBB31_38:
	s_or_b32 exec_lo, exec_lo, s3
	scratch_load_b64 v[65:66], off, off offset:208
	v_cmp_lt_u32_e64 s0, 26, v0
	s_waitcnt vmcnt(0)
	ds_store_b64 v68, v[65:66]
	s_waitcnt lgkmcnt(0)
	s_waitcnt_vscnt null, 0x0
	s_barrier
	buffer_gl0_inv
	s_and_saveexec_b32 s3, s0
	s_cbranch_execz .LBB31_48
; %bb.39:
	s_and_not1_b32 vcc_lo, exec_lo, s2
	s_cbranch_vccnz .LBB31_41
; %bb.40:
	scratch_load_b64 v[65:66], v69, off
	ds_load_b64 v[83:84], v68
	s_waitcnt vmcnt(0) lgkmcnt(0)
	v_mul_f64 v[65:66], v[65:66], v[83:84]
	s_cbranch_execz .LBB31_42
	s_branch .LBB31_43
.LBB31_41:
                                        ; implicit-def: $vgpr65_vgpr66
.LBB31_42:
	ds_load_b64 v[65:66], v68
.LBB31_43:
	s_and_saveexec_b32 s4, s1
	s_cbranch_execz .LBB31_47
; %bb.44:
	v_mov_b32_e32 v83, 0
	v_subrev_nc_u32_e32 v84, 27, v0
	s_movk_i32 s5, 0x1d8
	s_mov_b32 s1, 0
	s_delay_alu instid0(VALU_DEP_2)
	v_add_nc_u32_e32 v83, 0xd8, v83
.LBB31_45:                              ; =>This Inner Loop Header: Depth=1
	scratch_load_b64 v[85:86], v83, off
	v_dual_mov_b32 v87, s5 :: v_dual_add_nc_u32 v84, -1, v84
	v_add_nc_u32_e32 v83, 8, v83
	s_add_i32 s5, s5, 8
	ds_load_b64 v[87:88], v87
	v_cmp_eq_u32_e32 vcc_lo, 0, v84
	s_or_b32 s1, vcc_lo, s1
	s_waitcnt vmcnt(0) lgkmcnt(0)
	v_fma_f64 v[65:66], v[85:86], v[87:88], v[65:66]
	s_and_not1_b32 exec_lo, exec_lo, s1
	s_cbranch_execnz .LBB31_45
; %bb.46:
	s_or_b32 exec_lo, exec_lo, s1
.LBB31_47:
	s_delay_alu instid0(SALU_CYCLE_1)
	s_or_b32 exec_lo, exec_lo, s4
	v_mov_b32_e32 v83, 0
	ds_load_b64 v[83:84], v83 offset:208
	s_waitcnt lgkmcnt(0)
	v_mul_f64 v[65:66], v[65:66], v[83:84]
	scratch_store_b64 off, v[65:66], off offset:208
.LBB31_48:
	s_or_b32 exec_lo, exec_lo, s3
	scratch_load_b64 v[65:66], off, off offset:200
	v_cmp_lt_u32_e64 s1, 25, v0
	s_waitcnt vmcnt(0)
	ds_store_b64 v68, v[65:66]
	s_waitcnt lgkmcnt(0)
	s_waitcnt_vscnt null, 0x0
	s_barrier
	buffer_gl0_inv
	s_and_saveexec_b32 s3, s1
	s_cbranch_execz .LBB31_58
; %bb.49:
	s_and_not1_b32 vcc_lo, exec_lo, s2
	s_cbranch_vccnz .LBB31_51
; %bb.50:
	scratch_load_b64 v[65:66], v69, off
	ds_load_b64 v[83:84], v68
	s_waitcnt vmcnt(0) lgkmcnt(0)
	v_mul_f64 v[65:66], v[65:66], v[83:84]
	s_cbranch_execz .LBB31_52
	s_branch .LBB31_53
.LBB31_51:
                                        ; implicit-def: $vgpr65_vgpr66
.LBB31_52:
	ds_load_b64 v[65:66], v68
.LBB31_53:
	s_and_saveexec_b32 s4, s0
	s_cbranch_execz .LBB31_57
; %bb.54:
	v_subrev_nc_u32_e32 v83, 26, v0
	s_movk_i32 s5, 0x1d0
	s_mov_b32 s0, 0
.LBB31_55:                              ; =>This Inner Loop Header: Depth=1
	scratch_load_b64 v[84:85], v82, off
	v_dual_mov_b32 v86, s5 :: v_dual_add_nc_u32 v83, -1, v83
	v_add_nc_u32_e32 v82, 8, v82
	s_add_i32 s5, s5, 8
	ds_load_b64 v[86:87], v86
	v_cmp_eq_u32_e32 vcc_lo, 0, v83
	s_or_b32 s0, vcc_lo, s0
	s_waitcnt vmcnt(0) lgkmcnt(0)
	v_fma_f64 v[65:66], v[84:85], v[86:87], v[65:66]
	s_and_not1_b32 exec_lo, exec_lo, s0
	s_cbranch_execnz .LBB31_55
; %bb.56:
	s_or_b32 exec_lo, exec_lo, s0
.LBB31_57:
	s_delay_alu instid0(SALU_CYCLE_1)
	s_or_b32 exec_lo, exec_lo, s4
	v_mov_b32_e32 v82, 0
	ds_load_b64 v[82:83], v82 offset:200
	s_waitcnt lgkmcnt(0)
	v_mul_f64 v[65:66], v[65:66], v[82:83]
	scratch_store_b64 off, v[65:66], off offset:200
.LBB31_58:
	s_or_b32 exec_lo, exec_lo, s3
	scratch_load_b64 v[65:66], off, off offset:192
	v_cmp_lt_u32_e64 s0, 24, v0
	s_waitcnt vmcnt(0)
	ds_store_b64 v68, v[65:66]
	s_waitcnt lgkmcnt(0)
	s_waitcnt_vscnt null, 0x0
	s_barrier
	buffer_gl0_inv
	s_and_saveexec_b32 s3, s0
	s_cbranch_execz .LBB31_68
; %bb.59:
	s_and_not1_b32 vcc_lo, exec_lo, s2
	s_cbranch_vccnz .LBB31_61
; %bb.60:
	scratch_load_b64 v[65:66], v69, off
	ds_load_b64 v[82:83], v68
	s_waitcnt vmcnt(0) lgkmcnt(0)
	v_mul_f64 v[65:66], v[65:66], v[82:83]
	s_cbranch_execz .LBB31_62
	s_branch .LBB31_63
.LBB31_61:
                                        ; implicit-def: $vgpr65_vgpr66
.LBB31_62:
	ds_load_b64 v[65:66], v68
.LBB31_63:
	s_and_saveexec_b32 s4, s1
	s_cbranch_execz .LBB31_67
; %bb.64:
	v_mov_b32_e32 v82, 0
	v_subrev_nc_u32_e32 v83, 25, v0
	s_movk_i32 s5, 0x1c8
	s_mov_b32 s1, 0
	s_delay_alu instid0(VALU_DEP_2)
	v_add_nc_u32_e32 v82, 0xc8, v82
.LBB31_65:                              ; =>This Inner Loop Header: Depth=1
	scratch_load_b64 v[84:85], v82, off
	v_dual_mov_b32 v86, s5 :: v_dual_add_nc_u32 v83, -1, v83
	v_add_nc_u32_e32 v82, 8, v82
	s_add_i32 s5, s5, 8
	ds_load_b64 v[86:87], v86
	v_cmp_eq_u32_e32 vcc_lo, 0, v83
	s_or_b32 s1, vcc_lo, s1
	s_waitcnt vmcnt(0) lgkmcnt(0)
	v_fma_f64 v[65:66], v[84:85], v[86:87], v[65:66]
	s_and_not1_b32 exec_lo, exec_lo, s1
	s_cbranch_execnz .LBB31_65
; %bb.66:
	s_or_b32 exec_lo, exec_lo, s1
.LBB31_67:
	s_delay_alu instid0(SALU_CYCLE_1)
	s_or_b32 exec_lo, exec_lo, s4
	v_mov_b32_e32 v82, 0
	ds_load_b64 v[82:83], v82 offset:192
	s_waitcnt lgkmcnt(0)
	v_mul_f64 v[65:66], v[65:66], v[82:83]
	scratch_store_b64 off, v[65:66], off offset:192
.LBB31_68:
	s_or_b32 exec_lo, exec_lo, s3
	scratch_load_b64 v[65:66], off, off offset:184
	v_cmp_lt_u32_e64 s1, 23, v0
	s_waitcnt vmcnt(0)
	ds_store_b64 v68, v[65:66]
	s_waitcnt lgkmcnt(0)
	s_waitcnt_vscnt null, 0x0
	s_barrier
	buffer_gl0_inv
	s_and_saveexec_b32 s3, s1
	s_cbranch_execz .LBB31_78
; %bb.69:
	s_and_not1_b32 vcc_lo, exec_lo, s2
	s_cbranch_vccnz .LBB31_71
; %bb.70:
	scratch_load_b64 v[65:66], v69, off
	ds_load_b64 v[82:83], v68
	s_waitcnt vmcnt(0) lgkmcnt(0)
	v_mul_f64 v[65:66], v[65:66], v[82:83]
	s_cbranch_execz .LBB31_72
	s_branch .LBB31_73
.LBB31_71:
                                        ; implicit-def: $vgpr65_vgpr66
.LBB31_72:
	ds_load_b64 v[65:66], v68
.LBB31_73:
	s_and_saveexec_b32 s4, s0
	s_cbranch_execz .LBB31_77
; %bb.74:
	v_subrev_nc_u32_e32 v82, 24, v0
	s_movk_i32 s5, 0x1c0
	s_mov_b32 s0, 0
.LBB31_75:                              ; =>This Inner Loop Header: Depth=1
	scratch_load_b64 v[83:84], v81, off
	v_dual_mov_b32 v85, s5 :: v_dual_add_nc_u32 v82, -1, v82
	v_add_nc_u32_e32 v81, 8, v81
	s_add_i32 s5, s5, 8
	ds_load_b64 v[85:86], v85
	v_cmp_eq_u32_e32 vcc_lo, 0, v82
	s_or_b32 s0, vcc_lo, s0
	s_waitcnt vmcnt(0) lgkmcnt(0)
	v_fma_f64 v[65:66], v[83:84], v[85:86], v[65:66]
	s_and_not1_b32 exec_lo, exec_lo, s0
	s_cbranch_execnz .LBB31_75
; %bb.76:
	s_or_b32 exec_lo, exec_lo, s0
.LBB31_77:
	s_delay_alu instid0(SALU_CYCLE_1)
	s_or_b32 exec_lo, exec_lo, s4
	v_mov_b32_e32 v81, 0
	ds_load_b64 v[81:82], v81 offset:184
	s_waitcnt lgkmcnt(0)
	v_mul_f64 v[65:66], v[65:66], v[81:82]
	scratch_store_b64 off, v[65:66], off offset:184
.LBB31_78:
	s_or_b32 exec_lo, exec_lo, s3
	scratch_load_b64 v[65:66], off, off offset:176
	v_cmp_lt_u32_e64 s0, 22, v0
	s_waitcnt vmcnt(0)
	ds_store_b64 v68, v[65:66]
	s_waitcnt lgkmcnt(0)
	s_waitcnt_vscnt null, 0x0
	s_barrier
	buffer_gl0_inv
	s_and_saveexec_b32 s3, s0
	s_cbranch_execz .LBB31_88
; %bb.79:
	s_and_not1_b32 vcc_lo, exec_lo, s2
	s_cbranch_vccnz .LBB31_81
; %bb.80:
	scratch_load_b64 v[65:66], v69, off
	ds_load_b64 v[81:82], v68
	s_waitcnt vmcnt(0) lgkmcnt(0)
	v_mul_f64 v[65:66], v[65:66], v[81:82]
	s_cbranch_execz .LBB31_82
	s_branch .LBB31_83
.LBB31_81:
                                        ; implicit-def: $vgpr65_vgpr66
.LBB31_82:
	ds_load_b64 v[65:66], v68
.LBB31_83:
	s_and_saveexec_b32 s4, s1
	s_cbranch_execz .LBB31_87
; %bb.84:
	v_mov_b32_e32 v81, 0
	v_subrev_nc_u32_e32 v82, 23, v0
	s_movk_i32 s5, 0x1b8
	s_mov_b32 s1, 0
	s_delay_alu instid0(VALU_DEP_2)
	v_add_nc_u32_e32 v81, 0xb8, v81
.LBB31_85:                              ; =>This Inner Loop Header: Depth=1
	scratch_load_b64 v[83:84], v81, off
	v_dual_mov_b32 v85, s5 :: v_dual_add_nc_u32 v82, -1, v82
	v_add_nc_u32_e32 v81, 8, v81
	s_add_i32 s5, s5, 8
	ds_load_b64 v[85:86], v85
	v_cmp_eq_u32_e32 vcc_lo, 0, v82
	s_or_b32 s1, vcc_lo, s1
	s_waitcnt vmcnt(0) lgkmcnt(0)
	v_fma_f64 v[65:66], v[83:84], v[85:86], v[65:66]
	s_and_not1_b32 exec_lo, exec_lo, s1
	s_cbranch_execnz .LBB31_85
; %bb.86:
	s_or_b32 exec_lo, exec_lo, s1
.LBB31_87:
	s_delay_alu instid0(SALU_CYCLE_1)
	s_or_b32 exec_lo, exec_lo, s4
	v_mov_b32_e32 v81, 0
	ds_load_b64 v[81:82], v81 offset:176
	s_waitcnt lgkmcnt(0)
	v_mul_f64 v[65:66], v[65:66], v[81:82]
	scratch_store_b64 off, v[65:66], off offset:176
.LBB31_88:
	s_or_b32 exec_lo, exec_lo, s3
	scratch_load_b64 v[65:66], off, off offset:168
	v_cmp_lt_u32_e64 s1, 21, v0
	s_waitcnt vmcnt(0)
	ds_store_b64 v68, v[65:66]
	s_waitcnt lgkmcnt(0)
	s_waitcnt_vscnt null, 0x0
	s_barrier
	buffer_gl0_inv
	s_and_saveexec_b32 s3, s1
	s_cbranch_execz .LBB31_98
; %bb.89:
	s_and_not1_b32 vcc_lo, exec_lo, s2
	s_cbranch_vccnz .LBB31_91
; %bb.90:
	scratch_load_b64 v[65:66], v69, off
	ds_load_b64 v[81:82], v68
	s_waitcnt vmcnt(0) lgkmcnt(0)
	v_mul_f64 v[65:66], v[65:66], v[81:82]
	s_cbranch_execz .LBB31_92
	s_branch .LBB31_93
.LBB31_91:
                                        ; implicit-def: $vgpr65_vgpr66
.LBB31_92:
	ds_load_b64 v[65:66], v68
.LBB31_93:
	s_and_saveexec_b32 s4, s0
	s_cbranch_execz .LBB31_97
; %bb.94:
	v_subrev_nc_u32_e32 v81, 22, v0
	s_movk_i32 s5, 0x1b0
	s_mov_b32 s0, 0
.LBB31_95:                              ; =>This Inner Loop Header: Depth=1
	scratch_load_b64 v[82:83], v80, off
	v_dual_mov_b32 v84, s5 :: v_dual_add_nc_u32 v81, -1, v81
	v_add_nc_u32_e32 v80, 8, v80
	s_add_i32 s5, s5, 8
	ds_load_b64 v[84:85], v84
	v_cmp_eq_u32_e32 vcc_lo, 0, v81
	s_or_b32 s0, vcc_lo, s0
	s_waitcnt vmcnt(0) lgkmcnt(0)
	v_fma_f64 v[65:66], v[82:83], v[84:85], v[65:66]
	s_and_not1_b32 exec_lo, exec_lo, s0
	s_cbranch_execnz .LBB31_95
; %bb.96:
	s_or_b32 exec_lo, exec_lo, s0
.LBB31_97:
	s_delay_alu instid0(SALU_CYCLE_1)
	s_or_b32 exec_lo, exec_lo, s4
	v_mov_b32_e32 v80, 0
	ds_load_b64 v[80:81], v80 offset:168
	s_waitcnt lgkmcnt(0)
	v_mul_f64 v[65:66], v[65:66], v[80:81]
	scratch_store_b64 off, v[65:66], off offset:168
.LBB31_98:
	s_or_b32 exec_lo, exec_lo, s3
	scratch_load_b64 v[65:66], off, off offset:160
	v_cmp_lt_u32_e64 s0, 20, v0
	s_waitcnt vmcnt(0)
	ds_store_b64 v68, v[65:66]
	s_waitcnt lgkmcnt(0)
	s_waitcnt_vscnt null, 0x0
	s_barrier
	buffer_gl0_inv
	s_and_saveexec_b32 s3, s0
	s_cbranch_execz .LBB31_108
; %bb.99:
	s_and_not1_b32 vcc_lo, exec_lo, s2
	s_cbranch_vccnz .LBB31_101
; %bb.100:
	scratch_load_b64 v[65:66], v69, off
	ds_load_b64 v[80:81], v68
	s_waitcnt vmcnt(0) lgkmcnt(0)
	v_mul_f64 v[65:66], v[65:66], v[80:81]
	s_cbranch_execz .LBB31_102
	s_branch .LBB31_103
.LBB31_101:
                                        ; implicit-def: $vgpr65_vgpr66
.LBB31_102:
	ds_load_b64 v[65:66], v68
.LBB31_103:
	s_and_saveexec_b32 s4, s1
	s_cbranch_execz .LBB31_107
; %bb.104:
	v_mov_b32_e32 v80, 0
	v_subrev_nc_u32_e32 v81, 21, v0
	s_movk_i32 s5, 0x1a8
	s_mov_b32 s1, 0
	s_delay_alu instid0(VALU_DEP_2)
	v_add_nc_u32_e32 v80, 0xa8, v80
.LBB31_105:                             ; =>This Inner Loop Header: Depth=1
	scratch_load_b64 v[82:83], v80, off
	v_dual_mov_b32 v84, s5 :: v_dual_add_nc_u32 v81, -1, v81
	v_add_nc_u32_e32 v80, 8, v80
	s_add_i32 s5, s5, 8
	ds_load_b64 v[84:85], v84
	v_cmp_eq_u32_e32 vcc_lo, 0, v81
	s_or_b32 s1, vcc_lo, s1
	s_waitcnt vmcnt(0) lgkmcnt(0)
	v_fma_f64 v[65:66], v[82:83], v[84:85], v[65:66]
	s_and_not1_b32 exec_lo, exec_lo, s1
	s_cbranch_execnz .LBB31_105
; %bb.106:
	s_or_b32 exec_lo, exec_lo, s1
.LBB31_107:
	s_delay_alu instid0(SALU_CYCLE_1)
	s_or_b32 exec_lo, exec_lo, s4
	v_mov_b32_e32 v80, 0
	ds_load_b64 v[80:81], v80 offset:160
	s_waitcnt lgkmcnt(0)
	v_mul_f64 v[65:66], v[65:66], v[80:81]
	scratch_store_b64 off, v[65:66], off offset:160
.LBB31_108:
	s_or_b32 exec_lo, exec_lo, s3
	scratch_load_b64 v[65:66], off, off offset:152
	v_cmp_lt_u32_e64 s1, 19, v0
	s_waitcnt vmcnt(0)
	ds_store_b64 v68, v[65:66]
	s_waitcnt lgkmcnt(0)
	s_waitcnt_vscnt null, 0x0
	s_barrier
	buffer_gl0_inv
	s_and_saveexec_b32 s3, s1
	s_cbranch_execz .LBB31_118
; %bb.109:
	s_and_not1_b32 vcc_lo, exec_lo, s2
	s_cbranch_vccnz .LBB31_111
; %bb.110:
	scratch_load_b64 v[65:66], v69, off
	ds_load_b64 v[80:81], v68
	s_waitcnt vmcnt(0) lgkmcnt(0)
	v_mul_f64 v[65:66], v[65:66], v[80:81]
	s_cbranch_execz .LBB31_112
	s_branch .LBB31_113
.LBB31_111:
                                        ; implicit-def: $vgpr65_vgpr66
.LBB31_112:
	ds_load_b64 v[65:66], v68
.LBB31_113:
	s_and_saveexec_b32 s4, s0
	s_cbranch_execz .LBB31_117
; %bb.114:
	v_subrev_nc_u32_e32 v80, 20, v0
	s_movk_i32 s5, 0x1a0
	s_mov_b32 s0, 0
.LBB31_115:                             ; =>This Inner Loop Header: Depth=1
	scratch_load_b64 v[81:82], v79, off
	v_dual_mov_b32 v83, s5 :: v_dual_add_nc_u32 v80, -1, v80
	v_add_nc_u32_e32 v79, 8, v79
	s_add_i32 s5, s5, 8
	ds_load_b64 v[83:84], v83
	v_cmp_eq_u32_e32 vcc_lo, 0, v80
	s_or_b32 s0, vcc_lo, s0
	s_waitcnt vmcnt(0) lgkmcnt(0)
	v_fma_f64 v[65:66], v[81:82], v[83:84], v[65:66]
	s_and_not1_b32 exec_lo, exec_lo, s0
	s_cbranch_execnz .LBB31_115
; %bb.116:
	s_or_b32 exec_lo, exec_lo, s0
.LBB31_117:
	s_delay_alu instid0(SALU_CYCLE_1)
	s_or_b32 exec_lo, exec_lo, s4
	v_mov_b32_e32 v79, 0
	ds_load_b64 v[79:80], v79 offset:152
	s_waitcnt lgkmcnt(0)
	v_mul_f64 v[65:66], v[65:66], v[79:80]
	scratch_store_b64 off, v[65:66], off offset:152
.LBB31_118:
	s_or_b32 exec_lo, exec_lo, s3
	scratch_load_b64 v[65:66], off, off offset:144
	v_cmp_lt_u32_e64 s0, 18, v0
	s_waitcnt vmcnt(0)
	ds_store_b64 v68, v[65:66]
	s_waitcnt lgkmcnt(0)
	s_waitcnt_vscnt null, 0x0
	s_barrier
	buffer_gl0_inv
	s_and_saveexec_b32 s3, s0
	s_cbranch_execz .LBB31_128
; %bb.119:
	s_and_not1_b32 vcc_lo, exec_lo, s2
	s_cbranch_vccnz .LBB31_121
; %bb.120:
	scratch_load_b64 v[65:66], v69, off
	ds_load_b64 v[79:80], v68
	s_waitcnt vmcnt(0) lgkmcnt(0)
	v_mul_f64 v[65:66], v[65:66], v[79:80]
	s_cbranch_execz .LBB31_122
	s_branch .LBB31_123
.LBB31_121:
                                        ; implicit-def: $vgpr65_vgpr66
.LBB31_122:
	ds_load_b64 v[65:66], v68
.LBB31_123:
	s_and_saveexec_b32 s4, s1
	s_cbranch_execz .LBB31_127
; %bb.124:
	v_mov_b32_e32 v79, 0
	v_subrev_nc_u32_e32 v80, 19, v0
	s_movk_i32 s5, 0x198
	s_mov_b32 s1, 0
	s_delay_alu instid0(VALU_DEP_2)
	v_add_nc_u32_e32 v79, 0x98, v79
.LBB31_125:                             ; =>This Inner Loop Header: Depth=1
	scratch_load_b64 v[81:82], v79, off
	v_dual_mov_b32 v83, s5 :: v_dual_add_nc_u32 v80, -1, v80
	v_add_nc_u32_e32 v79, 8, v79
	s_add_i32 s5, s5, 8
	ds_load_b64 v[83:84], v83
	v_cmp_eq_u32_e32 vcc_lo, 0, v80
	s_or_b32 s1, vcc_lo, s1
	s_waitcnt vmcnt(0) lgkmcnt(0)
	v_fma_f64 v[65:66], v[81:82], v[83:84], v[65:66]
	s_and_not1_b32 exec_lo, exec_lo, s1
	s_cbranch_execnz .LBB31_125
; %bb.126:
	s_or_b32 exec_lo, exec_lo, s1
.LBB31_127:
	s_delay_alu instid0(SALU_CYCLE_1)
	s_or_b32 exec_lo, exec_lo, s4
	v_mov_b32_e32 v79, 0
	ds_load_b64 v[79:80], v79 offset:144
	s_waitcnt lgkmcnt(0)
	v_mul_f64 v[65:66], v[65:66], v[79:80]
	scratch_store_b64 off, v[65:66], off offset:144
.LBB31_128:
	s_or_b32 exec_lo, exec_lo, s3
	scratch_load_b64 v[65:66], off, off offset:136
	v_cmp_lt_u32_e64 s1, 17, v0
	s_waitcnt vmcnt(0)
	ds_store_b64 v68, v[65:66]
	s_waitcnt lgkmcnt(0)
	s_waitcnt_vscnt null, 0x0
	s_barrier
	buffer_gl0_inv
	s_and_saveexec_b32 s3, s1
	s_cbranch_execz .LBB31_138
; %bb.129:
	s_and_not1_b32 vcc_lo, exec_lo, s2
	s_cbranch_vccnz .LBB31_131
; %bb.130:
	scratch_load_b64 v[65:66], v69, off
	ds_load_b64 v[79:80], v68
	s_waitcnt vmcnt(0) lgkmcnt(0)
	v_mul_f64 v[65:66], v[65:66], v[79:80]
	s_cbranch_execz .LBB31_132
	s_branch .LBB31_133
.LBB31_131:
                                        ; implicit-def: $vgpr65_vgpr66
.LBB31_132:
	ds_load_b64 v[65:66], v68
.LBB31_133:
	s_and_saveexec_b32 s4, s0
	s_cbranch_execz .LBB31_137
; %bb.134:
	v_subrev_nc_u32_e32 v79, 18, v0
	s_movk_i32 s5, 0x190
	s_mov_b32 s0, 0
.LBB31_135:                             ; =>This Inner Loop Header: Depth=1
	scratch_load_b64 v[80:81], v78, off
	v_dual_mov_b32 v82, s5 :: v_dual_add_nc_u32 v79, -1, v79
	v_add_nc_u32_e32 v78, 8, v78
	s_add_i32 s5, s5, 8
	ds_load_b64 v[82:83], v82
	v_cmp_eq_u32_e32 vcc_lo, 0, v79
	s_or_b32 s0, vcc_lo, s0
	s_waitcnt vmcnt(0) lgkmcnt(0)
	v_fma_f64 v[65:66], v[80:81], v[82:83], v[65:66]
	s_and_not1_b32 exec_lo, exec_lo, s0
	s_cbranch_execnz .LBB31_135
; %bb.136:
	s_or_b32 exec_lo, exec_lo, s0
.LBB31_137:
	s_delay_alu instid0(SALU_CYCLE_1)
	s_or_b32 exec_lo, exec_lo, s4
	v_mov_b32_e32 v78, 0
	ds_load_b64 v[78:79], v78 offset:136
	s_waitcnt lgkmcnt(0)
	v_mul_f64 v[65:66], v[65:66], v[78:79]
	scratch_store_b64 off, v[65:66], off offset:136
.LBB31_138:
	s_or_b32 exec_lo, exec_lo, s3
	scratch_load_b64 v[65:66], off, off offset:128
	v_cmp_lt_u32_e64 s0, 16, v0
	s_waitcnt vmcnt(0)
	ds_store_b64 v68, v[65:66]
	s_waitcnt lgkmcnt(0)
	s_waitcnt_vscnt null, 0x0
	s_barrier
	buffer_gl0_inv
	s_and_saveexec_b32 s3, s0
	s_cbranch_execz .LBB31_148
; %bb.139:
	s_and_not1_b32 vcc_lo, exec_lo, s2
	s_cbranch_vccnz .LBB31_141
; %bb.140:
	scratch_load_b64 v[65:66], v69, off
	ds_load_b64 v[78:79], v68
	s_waitcnt vmcnt(0) lgkmcnt(0)
	v_mul_f64 v[65:66], v[65:66], v[78:79]
	s_cbranch_execz .LBB31_142
	s_branch .LBB31_143
.LBB31_141:
                                        ; implicit-def: $vgpr65_vgpr66
.LBB31_142:
	ds_load_b64 v[65:66], v68
.LBB31_143:
	s_and_saveexec_b32 s4, s1
	s_cbranch_execz .LBB31_147
; %bb.144:
	v_mov_b32_e32 v78, 0
	v_subrev_nc_u32_e32 v79, 17, v0
	s_movk_i32 s5, 0x188
	s_mov_b32 s1, 0
	s_delay_alu instid0(VALU_DEP_2)
	v_add_nc_u32_e32 v78, 0x88, v78
.LBB31_145:                             ; =>This Inner Loop Header: Depth=1
	scratch_load_b64 v[80:81], v78, off
	v_dual_mov_b32 v82, s5 :: v_dual_add_nc_u32 v79, -1, v79
	v_add_nc_u32_e32 v78, 8, v78
	s_add_i32 s5, s5, 8
	ds_load_b64 v[82:83], v82
	v_cmp_eq_u32_e32 vcc_lo, 0, v79
	s_or_b32 s1, vcc_lo, s1
	s_waitcnt vmcnt(0) lgkmcnt(0)
	v_fma_f64 v[65:66], v[80:81], v[82:83], v[65:66]
	s_and_not1_b32 exec_lo, exec_lo, s1
	s_cbranch_execnz .LBB31_145
; %bb.146:
	s_or_b32 exec_lo, exec_lo, s1
.LBB31_147:
	s_delay_alu instid0(SALU_CYCLE_1)
	s_or_b32 exec_lo, exec_lo, s4
	v_mov_b32_e32 v78, 0
	ds_load_b64 v[78:79], v78 offset:128
	s_waitcnt lgkmcnt(0)
	v_mul_f64 v[65:66], v[65:66], v[78:79]
	scratch_store_b64 off, v[65:66], off offset:128
.LBB31_148:
	s_or_b32 exec_lo, exec_lo, s3
	scratch_load_b64 v[65:66], off, off offset:120
	v_cmp_lt_u32_e64 s1, 15, v0
	s_waitcnt vmcnt(0)
	ds_store_b64 v68, v[65:66]
	s_waitcnt lgkmcnt(0)
	s_waitcnt_vscnt null, 0x0
	s_barrier
	buffer_gl0_inv
	s_and_saveexec_b32 s3, s1
	s_cbranch_execz .LBB31_158
; %bb.149:
	s_and_not1_b32 vcc_lo, exec_lo, s2
	s_cbranch_vccnz .LBB31_151
; %bb.150:
	scratch_load_b64 v[65:66], v69, off
	ds_load_b64 v[78:79], v68
	s_waitcnt vmcnt(0) lgkmcnt(0)
	v_mul_f64 v[65:66], v[65:66], v[78:79]
	s_cbranch_execz .LBB31_152
	s_branch .LBB31_153
.LBB31_151:
                                        ; implicit-def: $vgpr65_vgpr66
.LBB31_152:
	ds_load_b64 v[65:66], v68
.LBB31_153:
	s_and_saveexec_b32 s4, s0
	s_cbranch_execz .LBB31_157
; %bb.154:
	v_add_nc_u32_e32 v78, -16, v0
	s_movk_i32 s5, 0x180
	s_mov_b32 s0, 0
.LBB31_155:                             ; =>This Inner Loop Header: Depth=1
	scratch_load_b64 v[79:80], v77, off
	v_dual_mov_b32 v81, s5 :: v_dual_add_nc_u32 v78, -1, v78
	v_add_nc_u32_e32 v77, 8, v77
	s_add_i32 s5, s5, 8
	ds_load_b64 v[81:82], v81
	v_cmp_eq_u32_e32 vcc_lo, 0, v78
	s_or_b32 s0, vcc_lo, s0
	s_waitcnt vmcnt(0) lgkmcnt(0)
	v_fma_f64 v[65:66], v[79:80], v[81:82], v[65:66]
	s_and_not1_b32 exec_lo, exec_lo, s0
	s_cbranch_execnz .LBB31_155
; %bb.156:
	s_or_b32 exec_lo, exec_lo, s0
.LBB31_157:
	s_delay_alu instid0(SALU_CYCLE_1)
	s_or_b32 exec_lo, exec_lo, s4
	v_mov_b32_e32 v77, 0
	ds_load_b64 v[77:78], v77 offset:120
	s_waitcnt lgkmcnt(0)
	v_mul_f64 v[65:66], v[65:66], v[77:78]
	scratch_store_b64 off, v[65:66], off offset:120
.LBB31_158:
	s_or_b32 exec_lo, exec_lo, s3
	scratch_load_b64 v[65:66], off, off offset:112
	v_cmp_lt_u32_e64 s0, 14, v0
	s_waitcnt vmcnt(0)
	ds_store_b64 v68, v[65:66]
	s_waitcnt lgkmcnt(0)
	s_waitcnt_vscnt null, 0x0
	s_barrier
	buffer_gl0_inv
	s_and_saveexec_b32 s3, s0
	s_cbranch_execz .LBB31_168
; %bb.159:
	s_and_not1_b32 vcc_lo, exec_lo, s2
	s_cbranch_vccnz .LBB31_161
; %bb.160:
	scratch_load_b64 v[65:66], v69, off
	ds_load_b64 v[77:78], v68
	s_waitcnt vmcnt(0) lgkmcnt(0)
	v_mul_f64 v[65:66], v[65:66], v[77:78]
	s_cbranch_execz .LBB31_162
	s_branch .LBB31_163
.LBB31_161:
                                        ; implicit-def: $vgpr65_vgpr66
.LBB31_162:
	ds_load_b64 v[65:66], v68
.LBB31_163:
	s_and_saveexec_b32 s4, s1
	s_cbranch_execz .LBB31_167
; %bb.164:
	v_dual_mov_b32 v77, 0 :: v_dual_add_nc_u32 v78, -15, v0
	s_movk_i32 s5, 0x178
	s_mov_b32 s1, 0
	s_delay_alu instid0(VALU_DEP_1)
	v_add_nc_u32_e32 v77, 0x78, v77
.LBB31_165:                             ; =>This Inner Loop Header: Depth=1
	scratch_load_b64 v[79:80], v77, off
	v_dual_mov_b32 v81, s5 :: v_dual_add_nc_u32 v78, -1, v78
	v_add_nc_u32_e32 v77, 8, v77
	s_add_i32 s5, s5, 8
	ds_load_b64 v[81:82], v81
	v_cmp_eq_u32_e32 vcc_lo, 0, v78
	s_or_b32 s1, vcc_lo, s1
	s_waitcnt vmcnt(0) lgkmcnt(0)
	v_fma_f64 v[65:66], v[79:80], v[81:82], v[65:66]
	s_and_not1_b32 exec_lo, exec_lo, s1
	s_cbranch_execnz .LBB31_165
; %bb.166:
	s_or_b32 exec_lo, exec_lo, s1
.LBB31_167:
	s_delay_alu instid0(SALU_CYCLE_1)
	s_or_b32 exec_lo, exec_lo, s4
	v_mov_b32_e32 v77, 0
	ds_load_b64 v[77:78], v77 offset:112
	s_waitcnt lgkmcnt(0)
	v_mul_f64 v[65:66], v[65:66], v[77:78]
	scratch_store_b64 off, v[65:66], off offset:112
.LBB31_168:
	s_or_b32 exec_lo, exec_lo, s3
	scratch_load_b64 v[65:66], off, off offset:104
	v_cmp_lt_u32_e64 s1, 13, v0
	s_waitcnt vmcnt(0)
	ds_store_b64 v68, v[65:66]
	s_waitcnt lgkmcnt(0)
	s_waitcnt_vscnt null, 0x0
	s_barrier
	buffer_gl0_inv
	s_and_saveexec_b32 s3, s1
	s_cbranch_execz .LBB31_178
; %bb.169:
	s_and_not1_b32 vcc_lo, exec_lo, s2
	s_cbranch_vccnz .LBB31_171
; %bb.170:
	scratch_load_b64 v[65:66], v69, off
	ds_load_b64 v[77:78], v68
	s_waitcnt vmcnt(0) lgkmcnt(0)
	v_mul_f64 v[65:66], v[65:66], v[77:78]
	s_cbranch_execz .LBB31_172
	s_branch .LBB31_173
.LBB31_171:
                                        ; implicit-def: $vgpr65_vgpr66
.LBB31_172:
	ds_load_b64 v[65:66], v68
.LBB31_173:
	s_and_saveexec_b32 s4, s0
	s_cbranch_execz .LBB31_177
; %bb.174:
	v_add_nc_u32_e32 v77, -14, v0
	s_movk_i32 s5, 0x170
	s_mov_b32 s0, 0
.LBB31_175:                             ; =>This Inner Loop Header: Depth=1
	scratch_load_b64 v[78:79], v76, off
	v_dual_mov_b32 v80, s5 :: v_dual_add_nc_u32 v77, -1, v77
	v_add_nc_u32_e32 v76, 8, v76
	s_add_i32 s5, s5, 8
	ds_load_b64 v[80:81], v80
	v_cmp_eq_u32_e32 vcc_lo, 0, v77
	s_or_b32 s0, vcc_lo, s0
	s_waitcnt vmcnt(0) lgkmcnt(0)
	v_fma_f64 v[65:66], v[78:79], v[80:81], v[65:66]
	s_and_not1_b32 exec_lo, exec_lo, s0
	s_cbranch_execnz .LBB31_175
; %bb.176:
	s_or_b32 exec_lo, exec_lo, s0
.LBB31_177:
	s_delay_alu instid0(SALU_CYCLE_1)
	s_or_b32 exec_lo, exec_lo, s4
	v_mov_b32_e32 v76, 0
	ds_load_b64 v[76:77], v76 offset:104
	s_waitcnt lgkmcnt(0)
	v_mul_f64 v[65:66], v[65:66], v[76:77]
	scratch_store_b64 off, v[65:66], off offset:104
.LBB31_178:
	s_or_b32 exec_lo, exec_lo, s3
	scratch_load_b64 v[65:66], off, off offset:96
	v_cmp_lt_u32_e64 s0, 12, v0
	s_waitcnt vmcnt(0)
	ds_store_b64 v68, v[65:66]
	s_waitcnt lgkmcnt(0)
	s_waitcnt_vscnt null, 0x0
	s_barrier
	buffer_gl0_inv
	s_and_saveexec_b32 s3, s0
	s_cbranch_execz .LBB31_188
; %bb.179:
	s_and_not1_b32 vcc_lo, exec_lo, s2
	s_cbranch_vccnz .LBB31_181
; %bb.180:
	scratch_load_b64 v[65:66], v69, off
	ds_load_b64 v[76:77], v68
	s_waitcnt vmcnt(0) lgkmcnt(0)
	v_mul_f64 v[65:66], v[65:66], v[76:77]
	s_cbranch_execz .LBB31_182
	s_branch .LBB31_183
.LBB31_181:
                                        ; implicit-def: $vgpr65_vgpr66
.LBB31_182:
	ds_load_b64 v[65:66], v68
.LBB31_183:
	s_and_saveexec_b32 s4, s1
	s_cbranch_execz .LBB31_187
; %bb.184:
	v_dual_mov_b32 v76, 0 :: v_dual_add_nc_u32 v77, -13, v0
	s_movk_i32 s5, 0x168
	s_mov_b32 s1, 0
	s_delay_alu instid0(VALU_DEP_1)
	v_add_nc_u32_e32 v76, 0x68, v76
.LBB31_185:                             ; =>This Inner Loop Header: Depth=1
	scratch_load_b64 v[78:79], v76, off
	v_dual_mov_b32 v80, s5 :: v_dual_add_nc_u32 v77, -1, v77
	v_add_nc_u32_e32 v76, 8, v76
	s_add_i32 s5, s5, 8
	ds_load_b64 v[80:81], v80
	v_cmp_eq_u32_e32 vcc_lo, 0, v77
	s_or_b32 s1, vcc_lo, s1
	s_waitcnt vmcnt(0) lgkmcnt(0)
	v_fma_f64 v[65:66], v[78:79], v[80:81], v[65:66]
	s_and_not1_b32 exec_lo, exec_lo, s1
	s_cbranch_execnz .LBB31_185
; %bb.186:
	s_or_b32 exec_lo, exec_lo, s1
.LBB31_187:
	s_delay_alu instid0(SALU_CYCLE_1)
	s_or_b32 exec_lo, exec_lo, s4
	v_mov_b32_e32 v76, 0
	ds_load_b64 v[76:77], v76 offset:96
	s_waitcnt lgkmcnt(0)
	v_mul_f64 v[65:66], v[65:66], v[76:77]
	scratch_store_b64 off, v[65:66], off offset:96
.LBB31_188:
	s_or_b32 exec_lo, exec_lo, s3
	scratch_load_b64 v[65:66], off, off offset:88
	v_cmp_lt_u32_e64 s1, 11, v0
	s_waitcnt vmcnt(0)
	ds_store_b64 v68, v[65:66]
	s_waitcnt lgkmcnt(0)
	s_waitcnt_vscnt null, 0x0
	s_barrier
	buffer_gl0_inv
	s_and_saveexec_b32 s3, s1
	s_cbranch_execz .LBB31_198
; %bb.189:
	s_and_not1_b32 vcc_lo, exec_lo, s2
	s_cbranch_vccnz .LBB31_191
; %bb.190:
	scratch_load_b64 v[65:66], v69, off
	ds_load_b64 v[76:77], v68
	s_waitcnt vmcnt(0) lgkmcnt(0)
	v_mul_f64 v[65:66], v[65:66], v[76:77]
	s_cbranch_execz .LBB31_192
	s_branch .LBB31_193
.LBB31_191:
                                        ; implicit-def: $vgpr65_vgpr66
.LBB31_192:
	ds_load_b64 v[65:66], v68
.LBB31_193:
	s_and_saveexec_b32 s4, s0
	s_cbranch_execz .LBB31_197
; %bb.194:
	v_add_nc_u32_e32 v76, -12, v0
	s_movk_i32 s5, 0x160
	s_mov_b32 s0, 0
.LBB31_195:                             ; =>This Inner Loop Header: Depth=1
	scratch_load_b64 v[77:78], v75, off
	v_dual_mov_b32 v79, s5 :: v_dual_add_nc_u32 v76, -1, v76
	v_add_nc_u32_e32 v75, 8, v75
	s_add_i32 s5, s5, 8
	ds_load_b64 v[79:80], v79
	v_cmp_eq_u32_e32 vcc_lo, 0, v76
	s_or_b32 s0, vcc_lo, s0
	s_waitcnt vmcnt(0) lgkmcnt(0)
	v_fma_f64 v[65:66], v[77:78], v[79:80], v[65:66]
	s_and_not1_b32 exec_lo, exec_lo, s0
	s_cbranch_execnz .LBB31_195
; %bb.196:
	s_or_b32 exec_lo, exec_lo, s0
.LBB31_197:
	s_delay_alu instid0(SALU_CYCLE_1)
	s_or_b32 exec_lo, exec_lo, s4
	v_mov_b32_e32 v75, 0
	ds_load_b64 v[75:76], v75 offset:88
	s_waitcnt lgkmcnt(0)
	v_mul_f64 v[65:66], v[65:66], v[75:76]
	scratch_store_b64 off, v[65:66], off offset:88
.LBB31_198:
	s_or_b32 exec_lo, exec_lo, s3
	scratch_load_b64 v[65:66], off, off offset:80
	v_cmp_lt_u32_e64 s0, 10, v0
	s_waitcnt vmcnt(0)
	ds_store_b64 v68, v[65:66]
	s_waitcnt lgkmcnt(0)
	s_waitcnt_vscnt null, 0x0
	s_barrier
	buffer_gl0_inv
	s_and_saveexec_b32 s3, s0
	s_cbranch_execz .LBB31_208
; %bb.199:
	s_and_not1_b32 vcc_lo, exec_lo, s2
	s_cbranch_vccnz .LBB31_201
; %bb.200:
	scratch_load_b64 v[65:66], v69, off
	ds_load_b64 v[75:76], v68
	s_waitcnt vmcnt(0) lgkmcnt(0)
	v_mul_f64 v[65:66], v[65:66], v[75:76]
	s_cbranch_execz .LBB31_202
	s_branch .LBB31_203
.LBB31_201:
                                        ; implicit-def: $vgpr65_vgpr66
.LBB31_202:
	ds_load_b64 v[65:66], v68
.LBB31_203:
	s_and_saveexec_b32 s4, s1
	s_cbranch_execz .LBB31_207
; %bb.204:
	v_dual_mov_b32 v75, 0 :: v_dual_add_nc_u32 v76, -11, v0
	s_movk_i32 s5, 0x158
	s_mov_b32 s1, 0
	s_delay_alu instid0(VALU_DEP_1)
	v_add_nc_u32_e32 v75, 0x58, v75
.LBB31_205:                             ; =>This Inner Loop Header: Depth=1
	scratch_load_b64 v[77:78], v75, off
	v_dual_mov_b32 v79, s5 :: v_dual_add_nc_u32 v76, -1, v76
	v_add_nc_u32_e32 v75, 8, v75
	s_add_i32 s5, s5, 8
	ds_load_b64 v[79:80], v79
	v_cmp_eq_u32_e32 vcc_lo, 0, v76
	s_or_b32 s1, vcc_lo, s1
	s_waitcnt vmcnt(0) lgkmcnt(0)
	v_fma_f64 v[65:66], v[77:78], v[79:80], v[65:66]
	s_and_not1_b32 exec_lo, exec_lo, s1
	s_cbranch_execnz .LBB31_205
; %bb.206:
	s_or_b32 exec_lo, exec_lo, s1
.LBB31_207:
	s_delay_alu instid0(SALU_CYCLE_1)
	s_or_b32 exec_lo, exec_lo, s4
	v_mov_b32_e32 v75, 0
	ds_load_b64 v[75:76], v75 offset:80
	s_waitcnt lgkmcnt(0)
	v_mul_f64 v[65:66], v[65:66], v[75:76]
	scratch_store_b64 off, v[65:66], off offset:80
.LBB31_208:
	s_or_b32 exec_lo, exec_lo, s3
	scratch_load_b64 v[65:66], off, off offset:72
	v_cmp_lt_u32_e64 s1, 9, v0
	s_waitcnt vmcnt(0)
	ds_store_b64 v68, v[65:66]
	s_waitcnt lgkmcnt(0)
	s_waitcnt_vscnt null, 0x0
	s_barrier
	buffer_gl0_inv
	s_and_saveexec_b32 s3, s1
	s_cbranch_execz .LBB31_218
; %bb.209:
	s_and_not1_b32 vcc_lo, exec_lo, s2
	s_cbranch_vccnz .LBB31_211
; %bb.210:
	scratch_load_b64 v[65:66], v69, off
	ds_load_b64 v[75:76], v68
	s_waitcnt vmcnt(0) lgkmcnt(0)
	v_mul_f64 v[65:66], v[65:66], v[75:76]
	s_cbranch_execz .LBB31_212
	s_branch .LBB31_213
.LBB31_211:
                                        ; implicit-def: $vgpr65_vgpr66
.LBB31_212:
	ds_load_b64 v[65:66], v68
.LBB31_213:
	s_and_saveexec_b32 s4, s0
	s_cbranch_execz .LBB31_217
; %bb.214:
	v_add_nc_u32_e32 v75, -10, v0
	s_movk_i32 s5, 0x150
	s_mov_b32 s0, 0
.LBB31_215:                             ; =>This Inner Loop Header: Depth=1
	scratch_load_b64 v[76:77], v74, off
	v_dual_mov_b32 v78, s5 :: v_dual_add_nc_u32 v75, -1, v75
	v_add_nc_u32_e32 v74, 8, v74
	s_add_i32 s5, s5, 8
	ds_load_b64 v[78:79], v78
	v_cmp_eq_u32_e32 vcc_lo, 0, v75
	s_or_b32 s0, vcc_lo, s0
	s_waitcnt vmcnt(0) lgkmcnt(0)
	v_fma_f64 v[65:66], v[76:77], v[78:79], v[65:66]
	s_and_not1_b32 exec_lo, exec_lo, s0
	s_cbranch_execnz .LBB31_215
; %bb.216:
	s_or_b32 exec_lo, exec_lo, s0
.LBB31_217:
	s_delay_alu instid0(SALU_CYCLE_1)
	s_or_b32 exec_lo, exec_lo, s4
	v_mov_b32_e32 v74, 0
	ds_load_b64 v[74:75], v74 offset:72
	s_waitcnt lgkmcnt(0)
	v_mul_f64 v[65:66], v[65:66], v[74:75]
	scratch_store_b64 off, v[65:66], off offset:72
.LBB31_218:
	s_or_b32 exec_lo, exec_lo, s3
	scratch_load_b64 v[65:66], off, off offset:64
	v_cmp_lt_u32_e64 s0, 8, v0
	s_waitcnt vmcnt(0)
	ds_store_b64 v68, v[65:66]
	s_waitcnt lgkmcnt(0)
	s_waitcnt_vscnt null, 0x0
	s_barrier
	buffer_gl0_inv
	s_and_saveexec_b32 s3, s0
	s_cbranch_execz .LBB31_228
; %bb.219:
	s_and_not1_b32 vcc_lo, exec_lo, s2
	s_cbranch_vccnz .LBB31_221
; %bb.220:
	scratch_load_b64 v[65:66], v69, off
	ds_load_b64 v[74:75], v68
	s_waitcnt vmcnt(0) lgkmcnt(0)
	v_mul_f64 v[65:66], v[65:66], v[74:75]
	s_cbranch_execz .LBB31_222
	s_branch .LBB31_223
.LBB31_221:
                                        ; implicit-def: $vgpr65_vgpr66
.LBB31_222:
	ds_load_b64 v[65:66], v68
.LBB31_223:
	s_and_saveexec_b32 s4, s1
	s_cbranch_execz .LBB31_227
; %bb.224:
	v_dual_mov_b32 v74, 0 :: v_dual_add_nc_u32 v75, -9, v0
	s_movk_i32 s5, 0x148
	s_mov_b32 s1, 0
	s_delay_alu instid0(VALU_DEP_1)
	v_add_nc_u32_e32 v74, 0x48, v74
.LBB31_225:                             ; =>This Inner Loop Header: Depth=1
	scratch_load_b64 v[76:77], v74, off
	v_dual_mov_b32 v78, s5 :: v_dual_add_nc_u32 v75, -1, v75
	v_add_nc_u32_e32 v74, 8, v74
	s_add_i32 s5, s5, 8
	ds_load_b64 v[78:79], v78
	v_cmp_eq_u32_e32 vcc_lo, 0, v75
	s_or_b32 s1, vcc_lo, s1
	s_waitcnt vmcnt(0) lgkmcnt(0)
	v_fma_f64 v[65:66], v[76:77], v[78:79], v[65:66]
	s_and_not1_b32 exec_lo, exec_lo, s1
	s_cbranch_execnz .LBB31_225
; %bb.226:
	s_or_b32 exec_lo, exec_lo, s1
.LBB31_227:
	s_delay_alu instid0(SALU_CYCLE_1)
	s_or_b32 exec_lo, exec_lo, s4
	v_mov_b32_e32 v74, 0
	ds_load_b64 v[74:75], v74 offset:64
	s_waitcnt lgkmcnt(0)
	v_mul_f64 v[65:66], v[65:66], v[74:75]
	scratch_store_b64 off, v[65:66], off offset:64
.LBB31_228:
	s_or_b32 exec_lo, exec_lo, s3
	scratch_load_b64 v[65:66], off, off offset:56
	v_cmp_lt_u32_e64 s1, 7, v0
	s_waitcnt vmcnt(0)
	ds_store_b64 v68, v[65:66]
	s_waitcnt lgkmcnt(0)
	s_waitcnt_vscnt null, 0x0
	s_barrier
	buffer_gl0_inv
	s_and_saveexec_b32 s3, s1
	s_cbranch_execz .LBB31_238
; %bb.229:
	s_and_not1_b32 vcc_lo, exec_lo, s2
	s_cbranch_vccnz .LBB31_231
; %bb.230:
	scratch_load_b64 v[65:66], v69, off
	ds_load_b64 v[74:75], v68
	s_waitcnt vmcnt(0) lgkmcnt(0)
	v_mul_f64 v[65:66], v[65:66], v[74:75]
	s_cbranch_execz .LBB31_232
	s_branch .LBB31_233
.LBB31_231:
                                        ; implicit-def: $vgpr65_vgpr66
.LBB31_232:
	ds_load_b64 v[65:66], v68
.LBB31_233:
	s_and_saveexec_b32 s4, s0
	s_cbranch_execz .LBB31_237
; %bb.234:
	v_add_nc_u32_e32 v74, -8, v0
	s_movk_i32 s5, 0x140
	s_mov_b32 s0, 0
.LBB31_235:                             ; =>This Inner Loop Header: Depth=1
	scratch_load_b64 v[75:76], v73, off
	v_dual_mov_b32 v77, s5 :: v_dual_add_nc_u32 v74, -1, v74
	v_add_nc_u32_e32 v73, 8, v73
	s_add_i32 s5, s5, 8
	ds_load_b64 v[77:78], v77
	v_cmp_eq_u32_e32 vcc_lo, 0, v74
	s_or_b32 s0, vcc_lo, s0
	s_waitcnt vmcnt(0) lgkmcnt(0)
	v_fma_f64 v[65:66], v[75:76], v[77:78], v[65:66]
	s_and_not1_b32 exec_lo, exec_lo, s0
	s_cbranch_execnz .LBB31_235
; %bb.236:
	s_or_b32 exec_lo, exec_lo, s0
.LBB31_237:
	s_delay_alu instid0(SALU_CYCLE_1)
	s_or_b32 exec_lo, exec_lo, s4
	v_mov_b32_e32 v73, 0
	ds_load_b64 v[73:74], v73 offset:56
	s_waitcnt lgkmcnt(0)
	v_mul_f64 v[65:66], v[65:66], v[73:74]
	scratch_store_b64 off, v[65:66], off offset:56
.LBB31_238:
	s_or_b32 exec_lo, exec_lo, s3
	scratch_load_b64 v[65:66], off, off offset:48
	v_cmp_lt_u32_e64 s0, 6, v0
	s_waitcnt vmcnt(0)
	ds_store_b64 v68, v[65:66]
	s_waitcnt lgkmcnt(0)
	s_waitcnt_vscnt null, 0x0
	s_barrier
	buffer_gl0_inv
	s_and_saveexec_b32 s3, s0
	s_cbranch_execz .LBB31_248
; %bb.239:
	s_and_not1_b32 vcc_lo, exec_lo, s2
	s_cbranch_vccnz .LBB31_241
; %bb.240:
	scratch_load_b64 v[65:66], v69, off
	ds_load_b64 v[73:74], v68
	s_waitcnt vmcnt(0) lgkmcnt(0)
	v_mul_f64 v[65:66], v[65:66], v[73:74]
	s_cbranch_execz .LBB31_242
	s_branch .LBB31_243
.LBB31_241:
                                        ; implicit-def: $vgpr65_vgpr66
.LBB31_242:
	ds_load_b64 v[65:66], v68
.LBB31_243:
	s_and_saveexec_b32 s4, s1
	s_cbranch_execz .LBB31_247
; %bb.244:
	v_add_nc_u32_e64 v73, 0, 56
	v_add_nc_u32_e32 v74, -7, v0
	s_movk_i32 s5, 0x138
	s_mov_b32 s1, 0
.LBB31_245:                             ; =>This Inner Loop Header: Depth=1
	scratch_load_b64 v[75:76], v73, off
	v_dual_mov_b32 v77, s5 :: v_dual_add_nc_u32 v74, -1, v74
	v_add_nc_u32_e32 v73, 8, v73
	s_add_i32 s5, s5, 8
	ds_load_b64 v[77:78], v77
	v_cmp_eq_u32_e32 vcc_lo, 0, v74
	s_or_b32 s1, vcc_lo, s1
	s_waitcnt vmcnt(0) lgkmcnt(0)
	v_fma_f64 v[65:66], v[75:76], v[77:78], v[65:66]
	s_and_not1_b32 exec_lo, exec_lo, s1
	s_cbranch_execnz .LBB31_245
; %bb.246:
	s_or_b32 exec_lo, exec_lo, s1
.LBB31_247:
	s_delay_alu instid0(SALU_CYCLE_1)
	s_or_b32 exec_lo, exec_lo, s4
	v_mov_b32_e32 v73, 0
	ds_load_b64 v[73:74], v73 offset:48
	s_waitcnt lgkmcnt(0)
	v_mul_f64 v[65:66], v[65:66], v[73:74]
	scratch_store_b64 off, v[65:66], off offset:48
.LBB31_248:
	s_or_b32 exec_lo, exec_lo, s3
	scratch_load_b64 v[65:66], off, off offset:40
	v_cmp_lt_u32_e64 s1, 5, v0
	s_waitcnt vmcnt(0)
	ds_store_b64 v68, v[65:66]
	s_waitcnt lgkmcnt(0)
	s_waitcnt_vscnt null, 0x0
	s_barrier
	buffer_gl0_inv
	s_and_saveexec_b32 s3, s1
	s_cbranch_execz .LBB31_258
; %bb.249:
	s_and_not1_b32 vcc_lo, exec_lo, s2
	s_cbranch_vccnz .LBB31_251
; %bb.250:
	scratch_load_b64 v[65:66], v69, off
	ds_load_b64 v[73:74], v68
	s_waitcnt vmcnt(0) lgkmcnt(0)
	v_mul_f64 v[65:66], v[65:66], v[73:74]
	s_cbranch_execz .LBB31_252
	s_branch .LBB31_253
.LBB31_251:
                                        ; implicit-def: $vgpr65_vgpr66
.LBB31_252:
	ds_load_b64 v[65:66], v68
.LBB31_253:
	s_and_saveexec_b32 s4, s0
	s_cbranch_execz .LBB31_257
; %bb.254:
	v_add_nc_u32_e32 v73, -6, v0
	s_movk_i32 s5, 0x130
	s_mov_b32 s0, 0
.LBB31_255:                             ; =>This Inner Loop Header: Depth=1
	scratch_load_b64 v[74:75], v72, off
	v_dual_mov_b32 v76, s5 :: v_dual_add_nc_u32 v73, -1, v73
	v_add_nc_u32_e32 v72, 8, v72
	s_add_i32 s5, s5, 8
	ds_load_b64 v[76:77], v76
	v_cmp_eq_u32_e32 vcc_lo, 0, v73
	s_or_b32 s0, vcc_lo, s0
	s_waitcnt vmcnt(0) lgkmcnt(0)
	v_fma_f64 v[65:66], v[74:75], v[76:77], v[65:66]
	s_and_not1_b32 exec_lo, exec_lo, s0
	s_cbranch_execnz .LBB31_255
; %bb.256:
	s_or_b32 exec_lo, exec_lo, s0
.LBB31_257:
	s_delay_alu instid0(SALU_CYCLE_1)
	s_or_b32 exec_lo, exec_lo, s4
	v_mov_b32_e32 v72, 0
	ds_load_b64 v[72:73], v72 offset:40
	s_waitcnt lgkmcnt(0)
	v_mul_f64 v[65:66], v[65:66], v[72:73]
	scratch_store_b64 off, v[65:66], off offset:40
.LBB31_258:
	s_or_b32 exec_lo, exec_lo, s3
	scratch_load_b64 v[65:66], off, off offset:32
	v_cmp_lt_u32_e64 s0, 4, v0
	s_waitcnt vmcnt(0)
	ds_store_b64 v68, v[65:66]
	s_waitcnt lgkmcnt(0)
	s_waitcnt_vscnt null, 0x0
	s_barrier
	buffer_gl0_inv
	s_and_saveexec_b32 s3, s0
	s_cbranch_execz .LBB31_268
; %bb.259:
	s_and_not1_b32 vcc_lo, exec_lo, s2
	s_cbranch_vccnz .LBB31_261
; %bb.260:
	scratch_load_b64 v[65:66], v69, off
	ds_load_b64 v[72:73], v68
	s_waitcnt vmcnt(0) lgkmcnt(0)
	v_mul_f64 v[65:66], v[65:66], v[72:73]
	s_cbranch_execz .LBB31_262
	s_branch .LBB31_263
.LBB31_261:
                                        ; implicit-def: $vgpr65_vgpr66
.LBB31_262:
	ds_load_b64 v[65:66], v68
.LBB31_263:
	s_and_saveexec_b32 s4, s1
	s_cbranch_execz .LBB31_267
; %bb.264:
	v_add_nc_u32_e64 v72, 0, 40
	v_add_nc_u32_e32 v73, -5, v0
	s_movk_i32 s5, 0x128
	s_mov_b32 s1, 0
.LBB31_265:                             ; =>This Inner Loop Header: Depth=1
	scratch_load_b64 v[74:75], v72, off
	v_dual_mov_b32 v76, s5 :: v_dual_add_nc_u32 v73, -1, v73
	v_add_nc_u32_e32 v72, 8, v72
	s_add_i32 s5, s5, 8
	ds_load_b64 v[76:77], v76
	v_cmp_eq_u32_e32 vcc_lo, 0, v73
	s_or_b32 s1, vcc_lo, s1
	s_waitcnt vmcnt(0) lgkmcnt(0)
	v_fma_f64 v[65:66], v[74:75], v[76:77], v[65:66]
	s_and_not1_b32 exec_lo, exec_lo, s1
	s_cbranch_execnz .LBB31_265
; %bb.266:
	s_or_b32 exec_lo, exec_lo, s1
.LBB31_267:
	s_delay_alu instid0(SALU_CYCLE_1)
	s_or_b32 exec_lo, exec_lo, s4
	v_mov_b32_e32 v72, 0
	ds_load_b64 v[72:73], v72 offset:32
	s_waitcnt lgkmcnt(0)
	v_mul_f64 v[65:66], v[65:66], v[72:73]
	scratch_store_b64 off, v[65:66], off offset:32
.LBB31_268:
	s_or_b32 exec_lo, exec_lo, s3
	scratch_load_b64 v[65:66], off, off offset:24
	v_cmp_lt_u32_e64 s1, 3, v0
	s_waitcnt vmcnt(0)
	ds_store_b64 v68, v[65:66]
	s_waitcnt lgkmcnt(0)
	s_waitcnt_vscnt null, 0x0
	s_barrier
	buffer_gl0_inv
	s_and_saveexec_b32 s3, s1
	s_cbranch_execz .LBB31_278
; %bb.269:
	s_and_not1_b32 vcc_lo, exec_lo, s2
	s_cbranch_vccnz .LBB31_271
; %bb.270:
	scratch_load_b64 v[65:66], v69, off
	ds_load_b64 v[72:73], v68
	s_waitcnt vmcnt(0) lgkmcnt(0)
	v_mul_f64 v[65:66], v[65:66], v[72:73]
	s_cbranch_execz .LBB31_272
	s_branch .LBB31_273
.LBB31_271:
                                        ; implicit-def: $vgpr65_vgpr66
.LBB31_272:
	ds_load_b64 v[65:66], v68
.LBB31_273:
	s_and_saveexec_b32 s4, s0
	s_cbranch_execz .LBB31_277
; %bb.274:
	v_add_nc_u32_e32 v72, -4, v0
	s_movk_i32 s5, 0x120
	s_mov_b32 s0, 0
.LBB31_275:                             ; =>This Inner Loop Header: Depth=1
	scratch_load_b64 v[73:74], v71, off
	v_dual_mov_b32 v75, s5 :: v_dual_add_nc_u32 v72, -1, v72
	v_add_nc_u32_e32 v71, 8, v71
	s_add_i32 s5, s5, 8
	ds_load_b64 v[75:76], v75
	v_cmp_eq_u32_e32 vcc_lo, 0, v72
	s_or_b32 s0, vcc_lo, s0
	s_waitcnt vmcnt(0) lgkmcnt(0)
	v_fma_f64 v[65:66], v[73:74], v[75:76], v[65:66]
	s_and_not1_b32 exec_lo, exec_lo, s0
	s_cbranch_execnz .LBB31_275
; %bb.276:
	s_or_b32 exec_lo, exec_lo, s0
.LBB31_277:
	s_delay_alu instid0(SALU_CYCLE_1)
	s_or_b32 exec_lo, exec_lo, s4
	v_mov_b32_e32 v71, 0
	ds_load_b64 v[71:72], v71 offset:24
	s_waitcnt lgkmcnt(0)
	v_mul_f64 v[65:66], v[65:66], v[71:72]
	scratch_store_b64 off, v[65:66], off offset:24
.LBB31_278:
	s_or_b32 exec_lo, exec_lo, s3
	scratch_load_b64 v[65:66], off, off offset:16
	v_cmp_lt_u32_e64 s0, 2, v0
	s_waitcnt vmcnt(0)
	ds_store_b64 v68, v[65:66]
	s_waitcnt lgkmcnt(0)
	s_waitcnt_vscnt null, 0x0
	s_barrier
	buffer_gl0_inv
	s_and_saveexec_b32 s3, s0
	s_cbranch_execz .LBB31_288
; %bb.279:
	s_and_not1_b32 vcc_lo, exec_lo, s2
	s_cbranch_vccnz .LBB31_281
; %bb.280:
	scratch_load_b64 v[65:66], v69, off
	ds_load_b64 v[71:72], v68
	s_waitcnt vmcnt(0) lgkmcnt(0)
	v_mul_f64 v[65:66], v[65:66], v[71:72]
	s_cbranch_execz .LBB31_282
	s_branch .LBB31_283
.LBB31_281:
                                        ; implicit-def: $vgpr65_vgpr66
.LBB31_282:
	ds_load_b64 v[65:66], v68
.LBB31_283:
	s_and_saveexec_b32 s4, s1
	s_cbranch_execz .LBB31_287
; %bb.284:
	v_add_nc_u32_e64 v71, 0, 24
	v_add_nc_u32_e32 v72, -3, v0
	s_movk_i32 s5, 0x118
	s_mov_b32 s1, 0
.LBB31_285:                             ; =>This Inner Loop Header: Depth=1
	scratch_load_b64 v[73:74], v71, off
	v_dual_mov_b32 v75, s5 :: v_dual_add_nc_u32 v72, -1, v72
	v_add_nc_u32_e32 v71, 8, v71
	s_add_i32 s5, s5, 8
	ds_load_b64 v[75:76], v75
	v_cmp_eq_u32_e32 vcc_lo, 0, v72
	s_or_b32 s1, vcc_lo, s1
	s_waitcnt vmcnt(0) lgkmcnt(0)
	v_fma_f64 v[65:66], v[73:74], v[75:76], v[65:66]
	s_and_not1_b32 exec_lo, exec_lo, s1
	s_cbranch_execnz .LBB31_285
; %bb.286:
	s_or_b32 exec_lo, exec_lo, s1
.LBB31_287:
	s_delay_alu instid0(SALU_CYCLE_1)
	s_or_b32 exec_lo, exec_lo, s4
	v_mov_b32_e32 v71, 0
	ds_load_b64 v[71:72], v71 offset:16
	s_waitcnt lgkmcnt(0)
	v_mul_f64 v[65:66], v[65:66], v[71:72]
	scratch_store_b64 off, v[65:66], off offset:16
.LBB31_288:
	s_or_b32 exec_lo, exec_lo, s3
	scratch_load_b64 v[65:66], off, off offset:8
	v_cmp_lt_u32_e64 s1, 1, v0
	s_waitcnt vmcnt(0)
	ds_store_b64 v68, v[65:66]
	s_waitcnt lgkmcnt(0)
	s_waitcnt_vscnt null, 0x0
	s_barrier
	buffer_gl0_inv
	s_and_saveexec_b32 s3, s1
	s_cbranch_execz .LBB31_298
; %bb.289:
	s_and_not1_b32 vcc_lo, exec_lo, s2
	s_cbranch_vccnz .LBB31_291
; %bb.290:
	scratch_load_b64 v[65:66], v69, off
	ds_load_b64 v[71:72], v68
	s_waitcnt vmcnt(0) lgkmcnt(0)
	v_mul_f64 v[65:66], v[65:66], v[71:72]
	s_cbranch_execz .LBB31_292
	s_branch .LBB31_293
.LBB31_291:
                                        ; implicit-def: $vgpr65_vgpr66
.LBB31_292:
	ds_load_b64 v[65:66], v68
.LBB31_293:
	s_and_saveexec_b32 s4, s0
	s_cbranch_execz .LBB31_297
; %bb.294:
	v_add_nc_u32_e32 v71, -2, v0
	s_movk_i32 s5, 0x110
	s_mov_b32 s0, 0
.LBB31_295:                             ; =>This Inner Loop Header: Depth=1
	scratch_load_b64 v[72:73], v70, off
	v_dual_mov_b32 v74, s5 :: v_dual_add_nc_u32 v71, -1, v71
	v_add_nc_u32_e32 v70, 8, v70
	s_add_i32 s5, s5, 8
	ds_load_b64 v[74:75], v74
	v_cmp_eq_u32_e32 vcc_lo, 0, v71
	s_or_b32 s0, vcc_lo, s0
	s_waitcnt vmcnt(0) lgkmcnt(0)
	v_fma_f64 v[65:66], v[72:73], v[74:75], v[65:66]
	s_and_not1_b32 exec_lo, exec_lo, s0
	s_cbranch_execnz .LBB31_295
; %bb.296:
	s_or_b32 exec_lo, exec_lo, s0
.LBB31_297:
	s_delay_alu instid0(SALU_CYCLE_1)
	s_or_b32 exec_lo, exec_lo, s4
	v_mov_b32_e32 v70, 0
	ds_load_b64 v[70:71], v70 offset:8
	s_waitcnt lgkmcnt(0)
	v_mul_f64 v[65:66], v[65:66], v[70:71]
	scratch_store_b64 off, v[65:66], off offset:8
.LBB31_298:
	s_or_b32 exec_lo, exec_lo, s3
	scratch_load_b64 v[65:66], off, off
	s_mov_b32 s0, 0
	s_mov_b32 s3, exec_lo
	s_waitcnt vmcnt(0)
	ds_store_b64 v68, v[65:66]
	s_waitcnt lgkmcnt(0)
	s_waitcnt_vscnt null, 0x0
	s_barrier
	buffer_gl0_inv
	v_cmpx_ne_u32_e32 0, v0
	s_cbranch_execz .LBB31_308
; %bb.299:
	s_and_not1_b32 vcc_lo, exec_lo, s2
	s_cbranch_vccnz .LBB31_301
; %bb.300:
	scratch_load_b64 v[65:66], v69, off
	ds_load_b64 v[70:71], v68
	s_waitcnt vmcnt(0) lgkmcnt(0)
	v_mul_f64 v[65:66], v[65:66], v[70:71]
	s_cbranch_execz .LBB31_302
	s_branch .LBB31_303
.LBB31_301:
                                        ; implicit-def: $vgpr65_vgpr66
.LBB31_302:
	ds_load_b64 v[65:66], v68
.LBB31_303:
	s_and_saveexec_b32 s4, s1
	s_cbranch_execz .LBB31_307
; %bb.304:
	v_or_b32_e64 v70, 0, 8
	v_add_nc_u32_e32 v71, -1, v0
	s_movk_i32 s5, 0x108
	s_mov_b32 s1, 0
.LBB31_305:                             ; =>This Inner Loop Header: Depth=1
	scratch_load_b64 v[72:73], v70, off
	v_dual_mov_b32 v74, s5 :: v_dual_add_nc_u32 v71, -1, v71
	v_add_nc_u32_e32 v70, 8, v70
	s_add_i32 s5, s5, 8
	ds_load_b64 v[74:75], v74
	v_cmp_eq_u32_e32 vcc_lo, 0, v71
	s_or_b32 s1, vcc_lo, s1
	s_waitcnt vmcnt(0) lgkmcnt(0)
	v_fma_f64 v[65:66], v[72:73], v[74:75], v[65:66]
	s_and_not1_b32 exec_lo, exec_lo, s1
	s_cbranch_execnz .LBB31_305
; %bb.306:
	s_or_b32 exec_lo, exec_lo, s1
.LBB31_307:
	s_delay_alu instid0(SALU_CYCLE_1)
	s_or_b32 exec_lo, exec_lo, s4
	v_mov_b32_e32 v70, 0
	ds_load_b64 v[70:71], v70
	s_waitcnt lgkmcnt(0)
	v_mul_f64 v[65:66], v[65:66], v[70:71]
	scratch_store_b64 off, v[65:66], off
.LBB31_308:
	s_or_b32 exec_lo, exec_lo, s3
.LBB31_309:
	s_delay_alu instid0(SALU_CYCLE_1)
	s_and_b32 vcc_lo, exec_lo, s0
	s_cbranch_vccz .LBB31_615
; %bb.310:
	scratch_load_b64 v[65:66], off, off offset:8
	v_cmp_eq_u32_e64 s0, 0, v0
	s_waitcnt vmcnt(0)
	ds_store_b64 v68, v[65:66]
	s_waitcnt lgkmcnt(0)
	s_waitcnt_vscnt null, 0x0
	s_barrier
	buffer_gl0_inv
	s_and_saveexec_b32 s1, s0
	s_cbranch_execz .LBB31_316
; %bb.311:
	s_and_b32 vcc_lo, exec_lo, s2
	s_cbranch_vccz .LBB31_313
; %bb.312:
	scratch_load_b64 v[65:66], v69, off
	ds_load_b64 v[70:71], v68
	s_waitcnt vmcnt(0) lgkmcnt(0)
	v_mul_f64 v[65:66], v[65:66], v[70:71]
	s_cbranch_execz .LBB31_314
	s_branch .LBB31_315
.LBB31_313:
                                        ; implicit-def: $vgpr65_vgpr66
.LBB31_314:
	ds_load_b64 v[65:66], v68
.LBB31_315:
	v_mov_b32_e32 v70, 0
	ds_load_b64 v[70:71], v70 offset:8
	s_waitcnt lgkmcnt(0)
	v_mul_f64 v[65:66], v[65:66], v[70:71]
	scratch_store_b64 off, v[65:66], off offset:8
.LBB31_316:
	s_or_b32 exec_lo, exec_lo, s1
	scratch_load_b64 v[65:66], off, off offset:16
	v_cndmask_b32_e64 v70, 0, 1, s2
	s_mov_b32 s1, exec_lo
	s_waitcnt vmcnt(0)
	ds_store_b64 v68, v[65:66]
	s_waitcnt lgkmcnt(0)
	s_waitcnt_vscnt null, 0x0
	s_barrier
	buffer_gl0_inv
	v_cmpx_gt_u32_e32 2, v0
	s_cbranch_execz .LBB31_324
; %bb.317:
	s_and_not1_b32 vcc_lo, exec_lo, s2
	s_cbranch_vccnz .LBB31_319
; %bb.318:
	scratch_load_b64 v[65:66], v69, off
	ds_load_b64 v[71:72], v68
	s_waitcnt vmcnt(0) lgkmcnt(0)
	v_mul_f64 v[65:66], v[65:66], v[71:72]
	s_cbranch_execz .LBB31_320
	s_branch .LBB31_321
.LBB31_319:
                                        ; implicit-def: $vgpr65_vgpr66
.LBB31_320:
	ds_load_b64 v[65:66], v68
.LBB31_321:
	s_and_saveexec_b32 s2, s0
	s_cbranch_execz .LBB31_323
; %bb.322:
	scratch_load_b64 v[71:72], v69, off offset:8
	ds_load_b64 v[73:74], v68 offset:8
	s_waitcnt vmcnt(0) lgkmcnt(0)
	v_fma_f64 v[65:66], v[71:72], v[73:74], v[65:66]
.LBB31_323:
	s_or_b32 exec_lo, exec_lo, s2
	v_mov_b32_e32 v71, 0
	ds_load_b64 v[71:72], v71 offset:16
	s_waitcnt lgkmcnt(0)
	v_mul_f64 v[65:66], v[65:66], v[71:72]
	scratch_store_b64 off, v[65:66], off offset:16
.LBB31_324:
	s_or_b32 exec_lo, exec_lo, s1
	scratch_load_b64 v[65:66], off, off offset:24
	s_mov_b32 s1, exec_lo
	s_waitcnt vmcnt(0)
	ds_store_b64 v68, v[65:66]
	s_waitcnt lgkmcnt(0)
	s_waitcnt_vscnt null, 0x0
	s_barrier
	buffer_gl0_inv
	v_cmpx_gt_u32_e32 3, v0
	s_cbranch_execz .LBB31_334
; %bb.325:
	v_cmp_ne_u32_e32 vcc_lo, 1, v70
	s_cbranch_vccnz .LBB31_327
; %bb.326:
	scratch_load_b64 v[65:66], v69, off
	ds_load_b64 v[71:72], v68
	s_waitcnt vmcnt(0) lgkmcnt(0)
	v_mul_f64 v[65:66], v[65:66], v[71:72]
	s_cbranch_execz .LBB31_328
	s_branch .LBB31_329
.LBB31_327:
                                        ; implicit-def: $vgpr65_vgpr66
.LBB31_328:
	ds_load_b64 v[65:66], v68
.LBB31_329:
	s_mov_b32 s2, exec_lo
	v_cmpx_ne_u32_e32 2, v0
	s_cbranch_execz .LBB31_333
; %bb.330:
	scratch_load_b64 v[71:72], v69, off offset:8
	ds_load_b64 v[73:74], v68 offset:8
	s_waitcnt vmcnt(0) lgkmcnt(0)
	v_fma_f64 v[65:66], v[71:72], v[73:74], v[65:66]
	s_and_saveexec_b32 s3, s0
	s_cbranch_execz .LBB31_332
; %bb.331:
	scratch_load_b64 v[71:72], off, off offset:16
	v_mov_b32_e32 v73, 0
	ds_load_b64 v[73:74], v73 offset:272
	s_waitcnt vmcnt(0) lgkmcnt(0)
	v_fma_f64 v[65:66], v[71:72], v[73:74], v[65:66]
.LBB31_332:
	s_or_b32 exec_lo, exec_lo, s3
.LBB31_333:
	s_delay_alu instid0(SALU_CYCLE_1)
	s_or_b32 exec_lo, exec_lo, s2
	v_mov_b32_e32 v71, 0
	ds_load_b64 v[71:72], v71 offset:24
	s_waitcnt lgkmcnt(0)
	v_mul_f64 v[65:66], v[65:66], v[71:72]
	scratch_store_b64 off, v[65:66], off offset:24
.LBB31_334:
	s_or_b32 exec_lo, exec_lo, s1
	scratch_load_b64 v[65:66], off, off offset:32
	s_mov_b32 s0, exec_lo
	s_waitcnt vmcnt(0)
	ds_store_b64 v68, v[65:66]
	s_waitcnt lgkmcnt(0)
	s_waitcnt_vscnt null, 0x0
	s_barrier
	buffer_gl0_inv
	v_cmpx_gt_u32_e32 4, v0
	s_cbranch_execz .LBB31_344
; %bb.335:
	v_cmp_ne_u32_e32 vcc_lo, 1, v70
	s_cbranch_vccnz .LBB31_337
; %bb.336:
	scratch_load_b64 v[65:66], v69, off
	ds_load_b64 v[71:72], v68
	s_waitcnt vmcnt(0) lgkmcnt(0)
	v_mul_f64 v[65:66], v[65:66], v[71:72]
	s_cbranch_execz .LBB31_338
	s_branch .LBB31_339
.LBB31_337:
                                        ; implicit-def: $vgpr65_vgpr66
.LBB31_338:
	ds_load_b64 v[65:66], v68
.LBB31_339:
	s_mov_b32 s1, exec_lo
	v_cmpx_ne_u32_e32 3, v0
	s_cbranch_execz .LBB31_343
; %bb.340:
	v_add_nc_u32_e32 v71, 0x108, v67
	v_add3_u32 v72, 0, v67, 8
	v_mov_b32_e32 v73, v0
	s_mov_b32 s2, 0
.LBB31_341:                             ; =>This Inner Loop Header: Depth=1
	scratch_load_b64 v[74:75], v72, off
	ds_load_b64 v[76:77], v71
	v_add_nc_u32_e32 v73, 1, v73
	v_add_nc_u32_e32 v71, 8, v71
	v_add_nc_u32_e32 v72, 8, v72
	s_delay_alu instid0(VALU_DEP_3)
	v_cmp_lt_u32_e32 vcc_lo, 2, v73
	s_or_b32 s2, vcc_lo, s2
	s_waitcnt vmcnt(0) lgkmcnt(0)
	v_fma_f64 v[65:66], v[74:75], v[76:77], v[65:66]
	s_and_not1_b32 exec_lo, exec_lo, s2
	s_cbranch_execnz .LBB31_341
; %bb.342:
	s_or_b32 exec_lo, exec_lo, s2
.LBB31_343:
	s_delay_alu instid0(SALU_CYCLE_1)
	s_or_b32 exec_lo, exec_lo, s1
	v_mov_b32_e32 v71, 0
	ds_load_b64 v[71:72], v71 offset:32
	s_waitcnt lgkmcnt(0)
	v_mul_f64 v[65:66], v[65:66], v[71:72]
	scratch_store_b64 off, v[65:66], off offset:32
.LBB31_344:
	s_or_b32 exec_lo, exec_lo, s0
	scratch_load_b64 v[65:66], off, off offset:40
	s_mov_b32 s0, exec_lo
	s_waitcnt vmcnt(0)
	ds_store_b64 v68, v[65:66]
	s_waitcnt lgkmcnt(0)
	s_waitcnt_vscnt null, 0x0
	s_barrier
	buffer_gl0_inv
	v_cmpx_gt_u32_e32 5, v0
	s_cbranch_execz .LBB31_354
; %bb.345:
	v_cmp_ne_u32_e32 vcc_lo, 1, v70
	s_cbranch_vccnz .LBB31_347
; %bb.346:
	scratch_load_b64 v[65:66], v69, off
	ds_load_b64 v[71:72], v68
	s_waitcnt vmcnt(0) lgkmcnt(0)
	v_mul_f64 v[65:66], v[65:66], v[71:72]
	s_cbranch_execz .LBB31_348
	s_branch .LBB31_349
.LBB31_347:
                                        ; implicit-def: $vgpr65_vgpr66
.LBB31_348:
	ds_load_b64 v[65:66], v68
.LBB31_349:
	s_mov_b32 s1, exec_lo
	v_cmpx_ne_u32_e32 4, v0
	s_cbranch_execz .LBB31_353
; %bb.350:
	v_add_nc_u32_e32 v71, 0x108, v67
	v_add3_u32 v72, 0, v67, 8
	v_mov_b32_e32 v73, v0
	s_mov_b32 s2, 0
.LBB31_351:                             ; =>This Inner Loop Header: Depth=1
	scratch_load_b64 v[74:75], v72, off
	ds_load_b64 v[76:77], v71
	v_add_nc_u32_e32 v73, 1, v73
	v_add_nc_u32_e32 v71, 8, v71
	v_add_nc_u32_e32 v72, 8, v72
	s_delay_alu instid0(VALU_DEP_3)
	v_cmp_lt_u32_e32 vcc_lo, 3, v73
	s_or_b32 s2, vcc_lo, s2
	s_waitcnt vmcnt(0) lgkmcnt(0)
	v_fma_f64 v[65:66], v[74:75], v[76:77], v[65:66]
	s_and_not1_b32 exec_lo, exec_lo, s2
	s_cbranch_execnz .LBB31_351
; %bb.352:
	s_or_b32 exec_lo, exec_lo, s2
.LBB31_353:
	s_delay_alu instid0(SALU_CYCLE_1)
	s_or_b32 exec_lo, exec_lo, s1
	v_mov_b32_e32 v71, 0
	ds_load_b64 v[71:72], v71 offset:40
	s_waitcnt lgkmcnt(0)
	v_mul_f64 v[65:66], v[65:66], v[71:72]
	scratch_store_b64 off, v[65:66], off offset:40
.LBB31_354:
	;; [unrolled: 58-line block ×26, first 2 shown]
	s_or_b32 exec_lo, exec_lo, s0
	scratch_load_b64 v[65:66], off, off offset:240
	v_cmp_gt_u32_e64 s0, 30, v0
	s_waitcnt vmcnt(0)
	ds_store_b64 v68, v[65:66]
	s_waitcnt lgkmcnt(0)
	s_waitcnt_vscnt null, 0x0
	s_barrier
	buffer_gl0_inv
	s_and_saveexec_b32 s1, s0
	s_cbranch_execz .LBB31_604
; %bb.595:
	v_cmp_ne_u32_e32 vcc_lo, 1, v70
	s_cbranch_vccnz .LBB31_597
; %bb.596:
	scratch_load_b64 v[65:66], v69, off
	ds_load_b64 v[71:72], v68
	s_waitcnt vmcnt(0) lgkmcnt(0)
	v_mul_f64 v[65:66], v[65:66], v[71:72]
	s_cbranch_execz .LBB31_598
	s_branch .LBB31_599
.LBB31_597:
                                        ; implicit-def: $vgpr65_vgpr66
.LBB31_598:
	ds_load_b64 v[65:66], v68
.LBB31_599:
	s_mov_b32 s2, exec_lo
	v_cmpx_ne_u32_e32 29, v0
	s_cbranch_execz .LBB31_603
; %bb.600:
	v_add_nc_u32_e32 v71, 0x108, v67
	v_add3_u32 v72, 0, v67, 8
	v_mov_b32_e32 v73, v0
	s_mov_b32 s3, 0
.LBB31_601:                             ; =>This Inner Loop Header: Depth=1
	scratch_load_b64 v[74:75], v72, off
	ds_load_b64 v[76:77], v71
	v_add_nc_u32_e32 v73, 1, v73
	v_add_nc_u32_e32 v71, 8, v71
	;; [unrolled: 1-line block ×3, first 2 shown]
	s_delay_alu instid0(VALU_DEP_3)
	v_cmp_lt_u32_e32 vcc_lo, 28, v73
	s_or_b32 s3, vcc_lo, s3
	s_waitcnt vmcnt(0) lgkmcnt(0)
	v_fma_f64 v[65:66], v[74:75], v[76:77], v[65:66]
	s_and_not1_b32 exec_lo, exec_lo, s3
	s_cbranch_execnz .LBB31_601
; %bb.602:
	s_or_b32 exec_lo, exec_lo, s3
.LBB31_603:
	s_delay_alu instid0(SALU_CYCLE_1)
	s_or_b32 exec_lo, exec_lo, s2
	v_mov_b32_e32 v71, 0
	ds_load_b64 v[71:72], v71 offset:240
	s_waitcnt lgkmcnt(0)
	v_mul_f64 v[65:66], v[65:66], v[71:72]
	scratch_store_b64 off, v[65:66], off offset:240
.LBB31_604:
	s_or_b32 exec_lo, exec_lo, s1
	scratch_load_b64 v[65:66], off, off offset:248
	s_mov_b32 s1, exec_lo
	s_waitcnt vmcnt(0)
	ds_store_b64 v68, v[65:66]
	s_waitcnt lgkmcnt(0)
	s_waitcnt_vscnt null, 0x0
	s_barrier
	buffer_gl0_inv
	v_cmpx_ne_u32_e32 31, v0
	s_cbranch_execz .LBB31_614
; %bb.605:
	v_cmp_ne_u32_e32 vcc_lo, 1, v70
	s_cbranch_vccnz .LBB31_607
; %bb.606:
	scratch_load_b64 v[65:66], v69, off
	ds_load_b64 v[69:70], v68
	s_waitcnt vmcnt(0) lgkmcnt(0)
	v_mul_f64 v[65:66], v[65:66], v[69:70]
	s_cbranch_execz .LBB31_608
	s_branch .LBB31_609
.LBB31_607:
                                        ; implicit-def: $vgpr65_vgpr66
.LBB31_608:
	ds_load_b64 v[65:66], v68
.LBB31_609:
	s_and_saveexec_b32 s2, s0
	s_cbranch_execz .LBB31_613
; %bb.610:
	v_add_nc_u32_e32 v68, 0x108, v67
	v_add3_u32 v67, 0, v67, 8
	s_mov_b32 s0, 0
.LBB31_611:                             ; =>This Inner Loop Header: Depth=1
	scratch_load_b64 v[69:70], v67, off
	ds_load_b64 v[71:72], v68
	v_add_nc_u32_e32 v0, 1, v0
	v_add_nc_u32_e32 v68, 8, v68
	;; [unrolled: 1-line block ×3, first 2 shown]
	s_delay_alu instid0(VALU_DEP_3)
	v_cmp_lt_u32_e32 vcc_lo, 29, v0
	s_or_b32 s0, vcc_lo, s0
	s_waitcnt vmcnt(0) lgkmcnt(0)
	v_fma_f64 v[65:66], v[69:70], v[71:72], v[65:66]
	s_and_not1_b32 exec_lo, exec_lo, s0
	s_cbranch_execnz .LBB31_611
; %bb.612:
	s_or_b32 exec_lo, exec_lo, s0
.LBB31_613:
	s_delay_alu instid0(SALU_CYCLE_1)
	s_or_b32 exec_lo, exec_lo, s2
	v_mov_b32_e32 v0, 0
	ds_load_b64 v[67:68], v0 offset:248
	s_waitcnt lgkmcnt(0)
	v_mul_f64 v[65:66], v[65:66], v[67:68]
	scratch_store_b64 off, v[65:66], off offset:248
.LBB31_614:
	s_or_b32 exec_lo, exec_lo, s1
.LBB31_615:
	s_clause 0x7
	scratch_load_b128 v[65:68], off, off
	scratch_load_b128 v[69:72], off, off offset:16
	scratch_load_b128 v[73:76], off, off offset:32
	;; [unrolled: 1-line block ×7, first 2 shown]
	s_waitcnt vmcnt(7)
	s_clause 0x1
	global_store_b64 v[9:10], v[65:66], off
	global_store_b64 v[3:4], v[67:68], off
	scratch_load_b128 v[65:68], off, off offset:112
	s_waitcnt vmcnt(7)
	global_store_b64 v[7:8], v[69:70], off
	scratch_load_b128 v[7:10], off, off offset:128
	global_store_b64 v[13:14], v[71:72], off
	scratch_load_b128 v[69:72], off, off offset:144
	s_waitcnt vmcnt(8)
	global_store_b64 v[5:6], v[73:74], off
	scratch_load_b128 v[3:6], off, off offset:160
	global_store_b64 v[1:2], v[75:76], off
	scratch_load_b128 v[73:76], off, off offset:176
	s_waitcnt vmcnt(9)
	s_clause 0x1
	global_store_b64 v[19:20], v[77:78], off
	global_store_b64 v[17:18], v[79:80], off
	scratch_load_b128 v[17:20], off, off offset:208
	s_waitcnt vmcnt(9)
	global_store_b64 v[15:16], v[81:82], off
	s_clause 0x1
	scratch_load_b128 v[13:16], off, off offset:224
	scratch_load_b128 v[77:80], off, off offset:240
	global_store_b64 v[11:12], v[83:84], off
	s_waitcnt vmcnt(10)
	s_clause 0x1
	global_store_b64 v[23:24], v[85:86], off
	global_store_b64 v[25:26], v[87:88], off
	s_waitcnt vmcnt(9)
	s_clause 0x1
	global_store_b64 v[27:28], v[89:90], off
	;; [unrolled: 4-line block ×7, first 2 shown]
	global_store_b64 v[49:50], v[75:76], off
	global_store_b64 v[51:52], v[93:94], off
	;; [unrolled: 1-line block ×3, first 2 shown]
	s_waitcnt vmcnt(2)
	s_clause 0x1
	global_store_b64 v[55:56], v[17:18], off
	global_store_b64 v[59:60], v[19:20], off
	s_waitcnt vmcnt(1)
	s_clause 0x1
	global_store_b64 v[61:62], v[13:14], off
	global_store_b64 v[63:64], v[15:16], off
	s_waitcnt vmcnt(0)
	s_clause 0x1
	global_store_b64 v[57:58], v[77:78], off
	global_store_b64 v[21:22], v[79:80], off
.LBB31_616:
	s_endpgm
	.section	.rodata,"a",@progbits
	.p2align	6, 0x0
	.amdhsa_kernel _ZN9rocsolver6v33100L18trti2_kernel_smallILi32EdPdEEv13rocblas_fill_17rocblas_diagonal_T1_iil
		.amdhsa_group_segment_fixed_size 512
		.amdhsa_private_segment_fixed_size 272
		.amdhsa_kernarg_size 32
		.amdhsa_user_sgpr_count 15
		.amdhsa_user_sgpr_dispatch_ptr 0
		.amdhsa_user_sgpr_queue_ptr 0
		.amdhsa_user_sgpr_kernarg_segment_ptr 1
		.amdhsa_user_sgpr_dispatch_id 0
		.amdhsa_user_sgpr_private_segment_size 0
		.amdhsa_wavefront_size32 1
		.amdhsa_uses_dynamic_stack 0
		.amdhsa_enable_private_segment 1
		.amdhsa_system_sgpr_workgroup_id_x 1
		.amdhsa_system_sgpr_workgroup_id_y 0
		.amdhsa_system_sgpr_workgroup_id_z 0
		.amdhsa_system_sgpr_workgroup_info 0
		.amdhsa_system_vgpr_workitem_id 0
		.amdhsa_next_free_vgpr 102
		.amdhsa_next_free_sgpr 16
		.amdhsa_reserve_vcc 1
		.amdhsa_float_round_mode_32 0
		.amdhsa_float_round_mode_16_64 0
		.amdhsa_float_denorm_mode_32 3
		.amdhsa_float_denorm_mode_16_64 3
		.amdhsa_dx10_clamp 1
		.amdhsa_ieee_mode 1
		.amdhsa_fp16_overflow 0
		.amdhsa_workgroup_processor_mode 1
		.amdhsa_memory_ordered 1
		.amdhsa_forward_progress 0
		.amdhsa_shared_vgpr_count 0
		.amdhsa_exception_fp_ieee_invalid_op 0
		.amdhsa_exception_fp_denorm_src 0
		.amdhsa_exception_fp_ieee_div_zero 0
		.amdhsa_exception_fp_ieee_overflow 0
		.amdhsa_exception_fp_ieee_underflow 0
		.amdhsa_exception_fp_ieee_inexact 0
		.amdhsa_exception_int_div_zero 0
	.end_amdhsa_kernel
	.section	.text._ZN9rocsolver6v33100L18trti2_kernel_smallILi32EdPdEEv13rocblas_fill_17rocblas_diagonal_T1_iil,"axG",@progbits,_ZN9rocsolver6v33100L18trti2_kernel_smallILi32EdPdEEv13rocblas_fill_17rocblas_diagonal_T1_iil,comdat
.Lfunc_end31:
	.size	_ZN9rocsolver6v33100L18trti2_kernel_smallILi32EdPdEEv13rocblas_fill_17rocblas_diagonal_T1_iil, .Lfunc_end31-_ZN9rocsolver6v33100L18trti2_kernel_smallILi32EdPdEEv13rocblas_fill_17rocblas_diagonal_T1_iil
                                        ; -- End function
	.section	.AMDGPU.csdata,"",@progbits
; Kernel info:
; codeLenInByte = 17284
; NumSgprs: 18
; NumVgprs: 102
; ScratchSize: 272
; MemoryBound: 0
; FloatMode: 240
; IeeeMode: 1
; LDSByteSize: 512 bytes/workgroup (compile time only)
; SGPRBlocks: 2
; VGPRBlocks: 12
; NumSGPRsForWavesPerEU: 18
; NumVGPRsForWavesPerEU: 102
; Occupancy: 12
; WaveLimiterHint : 0
; COMPUTE_PGM_RSRC2:SCRATCH_EN: 1
; COMPUTE_PGM_RSRC2:USER_SGPR: 15
; COMPUTE_PGM_RSRC2:TRAP_HANDLER: 0
; COMPUTE_PGM_RSRC2:TGID_X_EN: 1
; COMPUTE_PGM_RSRC2:TGID_Y_EN: 0
; COMPUTE_PGM_RSRC2:TGID_Z_EN: 0
; COMPUTE_PGM_RSRC2:TIDIG_COMP_CNT: 0
	.section	.text._ZN9rocsolver6v33100L18trti2_kernel_smallILi33EdPdEEv13rocblas_fill_17rocblas_diagonal_T1_iil,"axG",@progbits,_ZN9rocsolver6v33100L18trti2_kernel_smallILi33EdPdEEv13rocblas_fill_17rocblas_diagonal_T1_iil,comdat
	.globl	_ZN9rocsolver6v33100L18trti2_kernel_smallILi33EdPdEEv13rocblas_fill_17rocblas_diagonal_T1_iil ; -- Begin function _ZN9rocsolver6v33100L18trti2_kernel_smallILi33EdPdEEv13rocblas_fill_17rocblas_diagonal_T1_iil
	.p2align	8
	.type	_ZN9rocsolver6v33100L18trti2_kernel_smallILi33EdPdEEv13rocblas_fill_17rocblas_diagonal_T1_iil,@function
_ZN9rocsolver6v33100L18trti2_kernel_smallILi33EdPdEEv13rocblas_fill_17rocblas_diagonal_T1_iil: ; @_ZN9rocsolver6v33100L18trti2_kernel_smallILi33EdPdEEv13rocblas_fill_17rocblas_diagonal_T1_iil
; %bb.0:
	s_mov_b32 s2, exec_lo
	v_cmpx_gt_u32_e32 33, v0
	s_cbranch_execz .LBB32_636
; %bb.1:
	s_load_b256 s[0:7], s[0:1], 0x0
	s_ashr_i32 s10, s15, 31
	v_lshlrev_b32_e32 v71, 3, v0
	s_waitcnt lgkmcnt(0)
	v_add3_u32 v1, s5, s5, v0
	s_ashr_i32 s9, s4, 31
	s_mov_b32 s8, s4
	s_mul_i32 s4, s15, s7
	s_mul_hi_u32 s7, s15, s6
	v_add_nc_u32_e32 v3, s5, v1
	s_mul_i32 s11, s10, s6
	s_add_i32 s4, s7, s4
	s_mul_i32 s6, s15, s6
	s_add_i32 s7, s4, s11
	v_add_nc_u32_e32 v7, s5, v3
	s_lshl_b64 s[6:7], s[6:7], 3
	v_ashrrev_i32_e32 v2, 31, v1
	s_add_u32 s4, s2, s6
	s_addc_u32 s6, s3, s7
	s_lshl_b64 s[2:3], s[8:9], 3
	v_add_nc_u32_e32 v11, s5, v7
	s_add_u32 s2, s4, s2
	v_ashrrev_i32_e32 v4, 31, v3
	s_addc_u32 s3, s6, s3
	v_add_co_u32 v15, s4, s2, v71
	s_mov_b32 s10, s5
	s_ashr_i32 s11, s5, 31
	v_lshlrev_b64 v[5:6], 3, v[1:2]
	v_add_co_ci_u32_e64 v16, null, s3, 0, s4
	v_add_nc_u32_e32 v13, s5, v11
	s_lshl_b64 s[6:7], s[10:11], 3
	v_lshlrev_b64 v[3:4], 3, v[3:4]
	v_ashrrev_i32_e32 v8, 31, v7
	v_add_co_u32 v17, vcc_lo, v15, s6
	v_add_co_ci_u32_e32 v18, vcc_lo, s7, v16, vcc_lo
	v_add_nc_u32_e32 v19, s5, v13
	v_add_co_u32 v9, vcc_lo, s2, v5
	v_ashrrev_i32_e32 v12, 31, v11
	v_add_co_ci_u32_e32 v10, vcc_lo, s3, v6, vcc_lo
	v_lshlrev_b64 v[7:8], 3, v[7:8]
	v_add_co_u32 v5, vcc_lo, s2, v3
	v_ashrrev_i32_e32 v14, 31, v13
	v_add_nc_u32_e32 v21, s5, v19
	v_add_co_ci_u32_e32 v6, vcc_lo, s3, v4, vcc_lo
	v_lshlrev_b64 v[3:4], 3, v[11:12]
	v_add_co_u32 v7, vcc_lo, s2, v7
	v_ashrrev_i32_e32 v20, 31, v19
	v_lshlrev_b64 v[13:14], 3, v[13:14]
	v_add_nc_u32_e32 v25, s5, v21
	v_add_co_ci_u32_e32 v8, vcc_lo, s3, v8, vcc_lo
	v_add_co_u32 v11, vcc_lo, s2, v3
	v_ashrrev_i32_e32 v22, 31, v21
	v_add_co_ci_u32_e32 v12, vcc_lo, s3, v4, vcc_lo
	v_lshlrev_b64 v[19:20], 3, v[19:20]
	v_add_co_u32 v23, vcc_lo, s2, v13
	v_ashrrev_i32_e32 v26, 31, v25
	v_add_co_ci_u32_e32 v24, vcc_lo, s3, v14, vcc_lo
	v_lshlrev_b64 v[13:14], 3, v[21:22]
	v_add_co_u32 v21, vcc_lo, s2, v19
	s_delay_alu instid0(VALU_DEP_4) | instskip(SKIP_1) | instid1(VALU_DEP_4)
	v_lshlrev_b64 v[26:27], 3, v[25:26]
	v_add_co_ci_u32_e32 v22, vcc_lo, s3, v20, vcc_lo
	v_add_co_u32 v19, vcc_lo, s2, v13
	s_clause 0x5
	global_load_b64 v[1:2], v71, s[2:3]
	global_load_b64 v[3:4], v[17:18], off
	global_load_b64 v[72:73], v[9:10], off
	;; [unrolled: 1-line block ×5, first 2 shown]
	v_add_co_ci_u32_e32 v20, vcc_lo, s3, v14, vcc_lo
	v_add_co_u32 v13, vcc_lo, s2, v26
	v_add_co_ci_u32_e32 v14, vcc_lo, s3, v27, vcc_lo
	s_clause 0x3
	global_load_b64 v[80:81], v[23:24], off
	global_load_b64 v[82:83], v[21:22], off
	global_load_b64 v[84:85], v[19:20], off
	global_load_b64 v[86:87], v[13:14], off
	v_add_nc_u32_e32 v25, s5, v25
	s_cmpk_lg_i32 s1, 0x84
	s_delay_alu instid0(VALU_DEP_1) | instskip(SKIP_1) | instid1(VALU_DEP_2)
	v_add_nc_u32_e32 v27, s5, v25
	v_ashrrev_i32_e32 v26, 31, v25
	v_add_nc_u32_e32 v29, s5, v27
	v_ashrrev_i32_e32 v28, 31, v27
	s_delay_alu instid0(VALU_DEP_3) | instskip(NEXT) | instid1(VALU_DEP_3)
	v_lshlrev_b64 v[25:26], 3, v[25:26]
	v_add_nc_u32_e32 v31, s5, v29
	v_ashrrev_i32_e32 v30, 31, v29
	s_delay_alu instid0(VALU_DEP_4) | instskip(NEXT) | instid1(VALU_DEP_4)
	v_lshlrev_b64 v[27:28], 3, v[27:28]
	v_add_co_u32 v25, vcc_lo, s2, v25
	s_delay_alu instid0(VALU_DEP_4) | instskip(SKIP_3) | instid1(VALU_DEP_4)
	v_add_nc_u32_e32 v33, s5, v31
	v_ashrrev_i32_e32 v32, 31, v31
	v_lshlrev_b64 v[29:30], 3, v[29:30]
	v_add_co_ci_u32_e32 v26, vcc_lo, s3, v26, vcc_lo
	v_add_nc_u32_e32 v35, s5, v33
	v_ashrrev_i32_e32 v34, 31, v33
	v_add_co_u32 v27, vcc_lo, s2, v27
	v_lshlrev_b64 v[31:32], 3, v[31:32]
	s_delay_alu instid0(VALU_DEP_4) | instskip(SKIP_3) | instid1(VALU_DEP_4)
	v_add_nc_u32_e32 v37, s5, v35
	v_ashrrev_i32_e32 v36, 31, v35
	v_add_co_ci_u32_e32 v28, vcc_lo, s3, v28, vcc_lo
	v_add_co_u32 v29, vcc_lo, s2, v29
	v_add_nc_u32_e32 v39, s5, v37
	v_lshlrev_b64 v[33:34], 3, v[33:34]
	v_ashrrev_i32_e32 v38, 31, v37
	v_add_co_ci_u32_e32 v30, vcc_lo, s3, v30, vcc_lo
	s_delay_alu instid0(VALU_DEP_4) | instskip(SKIP_3) | instid1(VALU_DEP_4)
	v_add_nc_u32_e32 v41, s5, v39
	v_add_co_u32 v31, vcc_lo, s2, v31
	v_lshlrev_b64 v[35:36], 3, v[35:36]
	v_ashrrev_i32_e32 v40, 31, v39
	v_add_nc_u32_e32 v43, s5, v41
	v_add_co_ci_u32_e32 v32, vcc_lo, s3, v32, vcc_lo
	v_add_co_u32 v33, vcc_lo, s2, v33
	v_lshlrev_b64 v[37:38], 3, v[37:38]
	s_delay_alu instid0(VALU_DEP_4)
	v_add_nc_u32_e32 v45, s5, v43
	v_ashrrev_i32_e32 v42, 31, v41
	v_add_co_ci_u32_e32 v34, vcc_lo, s3, v34, vcc_lo
	v_add_co_u32 v35, vcc_lo, s2, v35
	v_lshlrev_b64 v[39:40], 3, v[39:40]
	v_ashrrev_i32_e32 v44, 31, v43
	v_add_co_ci_u32_e32 v36, vcc_lo, s3, v36, vcc_lo
	v_add_nc_u32_e32 v47, s5, v45
	v_add_co_u32 v37, vcc_lo, s2, v37
	v_lshlrev_b64 v[41:42], 3, v[41:42]
	v_ashrrev_i32_e32 v46, 31, v45
	v_add_co_ci_u32_e32 v38, vcc_lo, s3, v38, vcc_lo
	v_add_co_u32 v39, vcc_lo, s2, v39
	v_lshlrev_b64 v[43:44], 3, v[43:44]
	v_ashrrev_i32_e32 v48, 31, v47
	v_add_co_ci_u32_e32 v40, vcc_lo, s3, v40, vcc_lo
	v_add_co_u32 v41, vcc_lo, s2, v41
	v_lshlrev_b64 v[45:46], 3, v[45:46]
	v_add_co_ci_u32_e32 v42, vcc_lo, s3, v42, vcc_lo
	v_add_nc_u32_e32 v49, s5, v47
	v_add_co_u32 v43, vcc_lo, s2, v43
	v_lshlrev_b64 v[47:48], 3, v[47:48]
	v_add_co_ci_u32_e32 v44, vcc_lo, s3, v44, vcc_lo
	v_add_co_u32 v45, vcc_lo, s2, v45
	v_add_co_ci_u32_e32 v46, vcc_lo, s3, v46, vcc_lo
	s_delay_alu instid0(VALU_DEP_4) | instskip(SKIP_3) | instid1(VALU_DEP_2)
	v_add_co_u32 v47, vcc_lo, s2, v47
	v_add_co_ci_u32_e32 v48, vcc_lo, s3, v48, vcc_lo
	v_add_nc_u32_e32 v51, s5, v49
	v_ashrrev_i32_e32 v50, 31, v49
	v_add_nc_u32_e32 v53, s5, v51
	v_ashrrev_i32_e32 v52, 31, v51
	s_delay_alu instid0(VALU_DEP_3) | instskip(NEXT) | instid1(VALU_DEP_3)
	v_lshlrev_b64 v[49:50], 3, v[49:50]
	v_add_nc_u32_e32 v55, s5, v53
	v_ashrrev_i32_e32 v54, 31, v53
	s_delay_alu instid0(VALU_DEP_4) | instskip(NEXT) | instid1(VALU_DEP_4)
	v_lshlrev_b64 v[51:52], 3, v[51:52]
	v_add_co_u32 v49, vcc_lo, s2, v49
	s_delay_alu instid0(VALU_DEP_4) | instskip(SKIP_3) | instid1(VALU_DEP_4)
	v_add_nc_u32_e32 v57, s5, v55
	v_ashrrev_i32_e32 v56, 31, v55
	v_lshlrev_b64 v[53:54], 3, v[53:54]
	v_add_co_ci_u32_e32 v50, vcc_lo, s3, v50, vcc_lo
	v_add_nc_u32_e32 v59, s5, v57
	v_ashrrev_i32_e32 v58, 31, v57
	v_add_co_u32 v51, vcc_lo, s2, v51
	v_lshlrev_b64 v[55:56], 3, v[55:56]
	s_delay_alu instid0(VALU_DEP_4) | instskip(SKIP_3) | instid1(VALU_DEP_4)
	v_add_nc_u32_e32 v61, s5, v59
	v_ashrrev_i32_e32 v60, 31, v59
	v_add_co_ci_u32_e32 v52, vcc_lo, s3, v52, vcc_lo
	v_add_co_u32 v53, vcc_lo, s2, v53
	v_add_nc_u32_e32 v63, s5, v61
	v_lshlrev_b64 v[57:58], 3, v[57:58]
	v_ashrrev_i32_e32 v62, 31, v61
	v_add_co_ci_u32_e32 v54, vcc_lo, s3, v54, vcc_lo
	s_delay_alu instid0(VALU_DEP_4) | instskip(SKIP_3) | instid1(VALU_DEP_4)
	v_add_nc_u32_e32 v65, s5, v63
	v_add_co_u32 v55, vcc_lo, s2, v55
	v_lshlrev_b64 v[59:60], 3, v[59:60]
	v_ashrrev_i32_e32 v64, 31, v63
	v_add_nc_u32_e32 v67, s5, v65
	v_add_co_ci_u32_e32 v56, vcc_lo, s3, v56, vcc_lo
	v_add_co_u32 v57, vcc_lo, s2, v57
	v_lshlrev_b64 v[61:62], 3, v[61:62]
	v_ashrrev_i32_e32 v66, 31, v65
	v_add_co_ci_u32_e32 v58, vcc_lo, s3, v58, vcc_lo
	v_add_nc_u32_e32 v69, s5, v67
	v_add_co_u32 v59, vcc_lo, s2, v59
	v_lshlrev_b64 v[63:64], 3, v[63:64]
	v_ashrrev_i32_e32 v68, 31, v67
	v_add_co_ci_u32_e32 v60, vcc_lo, s3, v60, vcc_lo
	v_add_co_u32 v61, vcc_lo, s2, v61
	v_lshlrev_b64 v[65:66], 3, v[65:66]
	v_ashrrev_i32_e32 v70, 31, v69
	v_add_co_ci_u32_e32 v62, vcc_lo, s3, v62, vcc_lo
	v_add_co_u32 v63, vcc_lo, s2, v63
	v_lshlrev_b64 v[67:68], 3, v[67:68]
	v_add_co_ci_u32_e32 v64, vcc_lo, s3, v64, vcc_lo
	v_add_co_u32 v65, vcc_lo, s2, v65
	v_lshlrev_b64 v[69:70], 3, v[69:70]
	v_add_co_ci_u32_e32 v66, vcc_lo, s3, v66, vcc_lo
	v_add_co_u32 v67, vcc_lo, s2, v67
	v_add_co_ci_u32_e32 v68, vcc_lo, s3, v68, vcc_lo
	s_delay_alu instid0(VALU_DEP_4)
	v_add_co_u32 v69, vcc_lo, s2, v69
	v_add_co_ci_u32_e32 v70, vcc_lo, s3, v70, vcc_lo
	s_cselect_b32 s2, -1, 0
	s_cmpk_eq_i32 s1, 0x84
	s_waitcnt vmcnt(8)
	scratch_store_b128 off, v[1:4], off
	s_clause 0x2
	global_load_b64 v[1:2], v[25:26], off
	global_load_b64 v[3:4], v[27:28], off
	;; [unrolled: 1-line block ×3, first 2 shown]
	s_waitcnt vmcnt(9)
	scratch_store_b128 off, v[72:75], off offset:16
	s_waitcnt vmcnt(7)
	scratch_store_b128 off, v[76:79], off offset:32
	s_clause 0x4
	global_load_b64 v[90:91], v[31:32], off
	global_load_b64 v[72:73], v[33:34], off
	;; [unrolled: 1-line block ×5, first 2 shown]
	s_waitcnt vmcnt(10)
	scratch_store_b128 off, v[80:83], off offset:48
	s_waitcnt vmcnt(8)
	scratch_store_b128 off, v[84:87], off offset:64
	s_clause 0x3
	global_load_b64 v[80:81], v[41:42], off
	global_load_b64 v[82:83], v[43:44], off
	;; [unrolled: 1-line block ×4, first 2 shown]
	s_waitcnt vmcnt(10)
	scratch_store_b128 off, v[1:4], off offset:80
	s_waitcnt vmcnt(8)
	scratch_store_b128 off, v[88:91], off offset:96
	s_clause 0x2
	global_load_b64 v[1:2], v[49:50], off
	global_load_b64 v[3:4], v[51:52], off
	global_load_b64 v[88:89], v[53:54], off
	s_waitcnt vmcnt(9)
	scratch_store_b128 off, v[72:75], off offset:112
	s_waitcnt vmcnt(7)
	scratch_store_b128 off, v[76:79], off offset:128
	s_clause 0x3
	global_load_b64 v[90:91], v[55:56], off
	global_load_b64 v[72:73], v[57:58], off
	;; [unrolled: 1-line block ×4, first 2 shown]
	s_waitcnt vmcnt(9)
	scratch_store_b128 off, v[80:83], off offset:144
	s_waitcnt vmcnt(7)
	scratch_store_b128 off, v[84:87], off offset:160
	s_clause 0x3
	global_load_b64 v[78:79], v[63:64], off
	global_load_b64 v[80:81], v[65:66], off
	;; [unrolled: 1-line block ×4, first 2 shown]
	s_waitcnt vmcnt(9)
	scratch_store_b128 off, v[1:4], off offset:176
	s_waitcnt vmcnt(7)
	scratch_store_b128 off, v[88:91], off offset:192
	;; [unrolled: 2-line block ×3, first 2 shown]
	v_mov_b32_e32 v1, 0
	v_mov_b32_e32 v2, 0xbff00000
	s_waitcnt vmcnt(3)
	scratch_store_b128 off, v[76:79], off offset:224
	s_waitcnt vmcnt(1)
	scratch_store_b128 off, v[80:83], off offset:240
	s_waitcnt vmcnt(0)
	scratch_store_b64 off, v[84:85], off offset:256
	s_cbranch_scc1 .LBB32_3
; %bb.2:
	scratch_load_b64 v[1:2], v71, off
	s_waitcnt vmcnt(0)
	v_div_scale_f64 v[3:4], null, v[1:2], v[1:2], 1.0
	v_div_scale_f64 v[76:77], vcc_lo, 1.0, v[1:2], 1.0
	s_delay_alu instid0(VALU_DEP_2) | instskip(SKIP_2) | instid1(VALU_DEP_1)
	v_rcp_f64_e32 v[72:73], v[3:4]
	s_waitcnt_depctr 0xfff
	v_fma_f64 v[74:75], -v[3:4], v[72:73], 1.0
	v_fma_f64 v[72:73], v[72:73], v[74:75], v[72:73]
	s_delay_alu instid0(VALU_DEP_1) | instskip(NEXT) | instid1(VALU_DEP_1)
	v_fma_f64 v[74:75], -v[3:4], v[72:73], 1.0
	v_fma_f64 v[72:73], v[72:73], v[74:75], v[72:73]
	s_delay_alu instid0(VALU_DEP_1) | instskip(NEXT) | instid1(VALU_DEP_1)
	v_mul_f64 v[74:75], v[76:77], v[72:73]
	v_fma_f64 v[3:4], -v[3:4], v[74:75], v[76:77]
	s_delay_alu instid0(VALU_DEP_1) | instskip(NEXT) | instid1(VALU_DEP_1)
	v_div_fmas_f64 v[3:4], v[3:4], v[72:73], v[74:75]
	v_div_fixup_f64 v[1:2], v[3:4], v[1:2], 1.0
	scratch_store_b64 v71, v[1:2], off
	v_xor_b32_e32 v2, 0x80000000, v2
.LBB32_3:
	v_add_nc_u32_e32 v3, 0x110, v71
	v_add_nc_u32_e32 v4, 0, v71
	s_cmpk_eq_i32 s0, 0x79
	s_mov_b32 s0, -1
	ds_store_b64 v71, v[1:2]
	s_cbranch_scc1 .LBB32_319
; %bb.4:
	scratch_load_b64 v[1:2], off, off offset:248
	v_cmp_eq_u32_e64 s1, 32, v0
	s_movk_i32 s0, 0x50
	s_movk_i32 s3, 0x60
	;; [unrolled: 1-line block ×11, first 2 shown]
	s_waitcnt vmcnt(0)
	ds_store_b64 v3, v[1:2]
	s_waitcnt lgkmcnt(0)
	s_waitcnt_vscnt null, 0x0
	s_barrier
	buffer_gl0_inv
	s_and_saveexec_b32 s13, s1
	s_cbranch_execz .LBB32_10
; %bb.5:
	s_and_b32 vcc_lo, exec_lo, s2
	s_cbranch_vccz .LBB32_7
; %bb.6:
	scratch_load_b64 v[1:2], v4, off
	ds_load_b64 v[72:73], v3
	s_waitcnt vmcnt(0) lgkmcnt(0)
	v_mul_f64 v[1:2], v[1:2], v[72:73]
	s_cbranch_execz .LBB32_8
	s_branch .LBB32_9
.LBB32_7:
                                        ; implicit-def: $vgpr1_vgpr2
.LBB32_8:
	ds_load_b64 v[1:2], v3
.LBB32_9:
	v_mov_b32_e32 v72, 0
	ds_load_b64 v[72:73], v72 offset:248
	s_waitcnt lgkmcnt(0)
	v_mul_f64 v[1:2], v[1:2], v[72:73]
	scratch_store_b64 off, v[1:2], off offset:248
.LBB32_10:
	s_or_b32 exec_lo, exec_lo, s13
	scratch_load_b64 v[1:2], off, off offset:240
	v_add_nc_u32_e64 v72, 0, 16
	v_add_nc_u32_e64 v73, 0, 32
	;; [unrolled: 1-line block ×15, first 2 shown]
	v_cmp_lt_u32_e64 s0, 30, v0
	s_waitcnt vmcnt(0)
	ds_store_b64 v3, v[1:2]
	s_waitcnt lgkmcnt(0)
	s_waitcnt_vscnt null, 0x0
	s_barrier
	buffer_gl0_inv
	s_and_saveexec_b32 s3, s0
	s_cbranch_execz .LBB32_18
; %bb.11:
	s_and_not1_b32 vcc_lo, exec_lo, s2
	s_cbranch_vccnz .LBB32_13
; %bb.12:
	scratch_load_b64 v[1:2], v4, off
	ds_load_b64 v[87:88], v3
	s_waitcnt vmcnt(0) lgkmcnt(0)
	v_mul_f64 v[1:2], v[1:2], v[87:88]
	s_cbranch_execz .LBB32_14
	s_branch .LBB32_15
.LBB32_13:
                                        ; implicit-def: $vgpr1_vgpr2
.LBB32_14:
	ds_load_b64 v[1:2], v3
.LBB32_15:
	s_and_saveexec_b32 s4, s1
	s_cbranch_execz .LBB32_17
; %bb.16:
	scratch_load_b64 v[87:88], off, off offset:248
	v_mov_b32_e32 v89, 0
	ds_load_b64 v[89:90], v89 offset:520
	s_waitcnt vmcnt(0) lgkmcnt(0)
	v_fma_f64 v[1:2], v[87:88], v[89:90], v[1:2]
.LBB32_17:
	s_or_b32 exec_lo, exec_lo, s4
	v_mov_b32_e32 v87, 0
	ds_load_b64 v[87:88], v87 offset:240
	s_waitcnt lgkmcnt(0)
	v_mul_f64 v[1:2], v[1:2], v[87:88]
	scratch_store_b64 off, v[1:2], off offset:240
.LBB32_18:
	s_or_b32 exec_lo, exec_lo, s3
	scratch_load_b64 v[1:2], off, off offset:232
	v_cmp_lt_u32_e64 s1, 29, v0
	s_waitcnt vmcnt(0)
	ds_store_b64 v3, v[1:2]
	s_waitcnt lgkmcnt(0)
	s_waitcnt_vscnt null, 0x0
	s_barrier
	buffer_gl0_inv
	s_and_saveexec_b32 s3, s1
	s_cbranch_execz .LBB32_28
; %bb.19:
	s_and_not1_b32 vcc_lo, exec_lo, s2
	s_cbranch_vccnz .LBB32_21
; %bb.20:
	scratch_load_b64 v[1:2], v4, off
	ds_load_b64 v[87:88], v3
	s_waitcnt vmcnt(0) lgkmcnt(0)
	v_mul_f64 v[1:2], v[1:2], v[87:88]
	s_cbranch_execz .LBB32_22
	s_branch .LBB32_23
.LBB32_21:
                                        ; implicit-def: $vgpr1_vgpr2
.LBB32_22:
	ds_load_b64 v[1:2], v3
.LBB32_23:
	s_and_saveexec_b32 s4, s0
	s_cbranch_execz .LBB32_27
; %bb.24:
	v_subrev_nc_u32_e32 v87, 30, v0
	s_movk_i32 s5, 0x200
	s_mov_b32 s0, 0
.LBB32_25:                              ; =>This Inner Loop Header: Depth=1
	scratch_load_b64 v[88:89], v86, off
	v_dual_mov_b32 v90, s5 :: v_dual_add_nc_u32 v87, -1, v87
	v_add_nc_u32_e32 v86, 8, v86
	s_add_i32 s5, s5, 8
	ds_load_b64 v[90:91], v90
	v_cmp_eq_u32_e32 vcc_lo, 0, v87
	s_or_b32 s0, vcc_lo, s0
	s_waitcnt vmcnt(0) lgkmcnt(0)
	v_fma_f64 v[1:2], v[88:89], v[90:91], v[1:2]
	s_and_not1_b32 exec_lo, exec_lo, s0
	s_cbranch_execnz .LBB32_25
; %bb.26:
	s_or_b32 exec_lo, exec_lo, s0
.LBB32_27:
	s_delay_alu instid0(SALU_CYCLE_1)
	s_or_b32 exec_lo, exec_lo, s4
	v_mov_b32_e32 v86, 0
	ds_load_b64 v[86:87], v86 offset:232
	s_waitcnt lgkmcnt(0)
	v_mul_f64 v[1:2], v[1:2], v[86:87]
	scratch_store_b64 off, v[1:2], off offset:232
.LBB32_28:
	s_or_b32 exec_lo, exec_lo, s3
	scratch_load_b64 v[1:2], off, off offset:224
	v_cmp_lt_u32_e64 s0, 28, v0
	s_waitcnt vmcnt(0)
	ds_store_b64 v3, v[1:2]
	s_waitcnt lgkmcnt(0)
	s_waitcnt_vscnt null, 0x0
	s_barrier
	buffer_gl0_inv
	s_and_saveexec_b32 s3, s0
	s_cbranch_execz .LBB32_38
; %bb.29:
	s_and_not1_b32 vcc_lo, exec_lo, s2
	s_cbranch_vccnz .LBB32_31
; %bb.30:
	scratch_load_b64 v[1:2], v4, off
	ds_load_b64 v[86:87], v3
	s_waitcnt vmcnt(0) lgkmcnt(0)
	v_mul_f64 v[1:2], v[1:2], v[86:87]
	s_cbranch_execz .LBB32_32
	s_branch .LBB32_33
.LBB32_31:
                                        ; implicit-def: $vgpr1_vgpr2
.LBB32_32:
	ds_load_b64 v[1:2], v3
.LBB32_33:
	s_and_saveexec_b32 s4, s1
	s_cbranch_execz .LBB32_37
; %bb.34:
	v_mov_b32_e32 v86, 0
	v_subrev_nc_u32_e32 v87, 29, v0
	s_movk_i32 s5, 0x1f8
	s_mov_b32 s1, 0
	s_delay_alu instid0(VALU_DEP_2)
	v_add_nc_u32_e32 v86, 0xe8, v86
.LBB32_35:                              ; =>This Inner Loop Header: Depth=1
	scratch_load_b64 v[88:89], v86, off
	v_dual_mov_b32 v90, s5 :: v_dual_add_nc_u32 v87, -1, v87
	v_add_nc_u32_e32 v86, 8, v86
	s_add_i32 s5, s5, 8
	ds_load_b64 v[90:91], v90
	v_cmp_eq_u32_e32 vcc_lo, 0, v87
	s_or_b32 s1, vcc_lo, s1
	s_waitcnt vmcnt(0) lgkmcnt(0)
	v_fma_f64 v[1:2], v[88:89], v[90:91], v[1:2]
	s_and_not1_b32 exec_lo, exec_lo, s1
	s_cbranch_execnz .LBB32_35
; %bb.36:
	s_or_b32 exec_lo, exec_lo, s1
.LBB32_37:
	s_delay_alu instid0(SALU_CYCLE_1)
	s_or_b32 exec_lo, exec_lo, s4
	v_mov_b32_e32 v86, 0
	ds_load_b64 v[86:87], v86 offset:224
	s_waitcnt lgkmcnt(0)
	v_mul_f64 v[1:2], v[1:2], v[86:87]
	scratch_store_b64 off, v[1:2], off offset:224
.LBB32_38:
	s_or_b32 exec_lo, exec_lo, s3
	scratch_load_b64 v[1:2], off, off offset:216
	v_cmp_lt_u32_e64 s1, 27, v0
	s_waitcnt vmcnt(0)
	ds_store_b64 v3, v[1:2]
	s_waitcnt lgkmcnt(0)
	s_waitcnt_vscnt null, 0x0
	s_barrier
	buffer_gl0_inv
	s_and_saveexec_b32 s3, s1
	s_cbranch_execz .LBB32_48
; %bb.39:
	s_and_not1_b32 vcc_lo, exec_lo, s2
	s_cbranch_vccnz .LBB32_41
; %bb.40:
	scratch_load_b64 v[1:2], v4, off
	ds_load_b64 v[86:87], v3
	s_waitcnt vmcnt(0) lgkmcnt(0)
	v_mul_f64 v[1:2], v[1:2], v[86:87]
	s_cbranch_execz .LBB32_42
	s_branch .LBB32_43
.LBB32_41:
                                        ; implicit-def: $vgpr1_vgpr2
.LBB32_42:
	ds_load_b64 v[1:2], v3
.LBB32_43:
	s_and_saveexec_b32 s4, s0
	s_cbranch_execz .LBB32_47
; %bb.44:
	v_subrev_nc_u32_e32 v86, 28, v0
	s_movk_i32 s5, 0x1f0
	s_mov_b32 s0, 0
.LBB32_45:                              ; =>This Inner Loop Header: Depth=1
	scratch_load_b64 v[87:88], v85, off
	v_dual_mov_b32 v89, s5 :: v_dual_add_nc_u32 v86, -1, v86
	v_add_nc_u32_e32 v85, 8, v85
	s_add_i32 s5, s5, 8
	ds_load_b64 v[89:90], v89
	v_cmp_eq_u32_e32 vcc_lo, 0, v86
	s_or_b32 s0, vcc_lo, s0
	s_waitcnt vmcnt(0) lgkmcnt(0)
	v_fma_f64 v[1:2], v[87:88], v[89:90], v[1:2]
	s_and_not1_b32 exec_lo, exec_lo, s0
	s_cbranch_execnz .LBB32_45
; %bb.46:
	s_or_b32 exec_lo, exec_lo, s0
.LBB32_47:
	s_delay_alu instid0(SALU_CYCLE_1)
	s_or_b32 exec_lo, exec_lo, s4
	v_mov_b32_e32 v85, 0
	ds_load_b64 v[85:86], v85 offset:216
	s_waitcnt lgkmcnt(0)
	v_mul_f64 v[1:2], v[1:2], v[85:86]
	scratch_store_b64 off, v[1:2], off offset:216
.LBB32_48:
	s_or_b32 exec_lo, exec_lo, s3
	scratch_load_b64 v[1:2], off, off offset:208
	v_cmp_lt_u32_e64 s0, 26, v0
	s_waitcnt vmcnt(0)
	ds_store_b64 v3, v[1:2]
	s_waitcnt lgkmcnt(0)
	s_waitcnt_vscnt null, 0x0
	s_barrier
	buffer_gl0_inv
	s_and_saveexec_b32 s3, s0
	s_cbranch_execz .LBB32_58
; %bb.49:
	s_and_not1_b32 vcc_lo, exec_lo, s2
	s_cbranch_vccnz .LBB32_51
; %bb.50:
	scratch_load_b64 v[1:2], v4, off
	ds_load_b64 v[85:86], v3
	s_waitcnt vmcnt(0) lgkmcnt(0)
	v_mul_f64 v[1:2], v[1:2], v[85:86]
	s_cbranch_execz .LBB32_52
	s_branch .LBB32_53
.LBB32_51:
                                        ; implicit-def: $vgpr1_vgpr2
.LBB32_52:
	ds_load_b64 v[1:2], v3
.LBB32_53:
	s_and_saveexec_b32 s4, s1
	s_cbranch_execz .LBB32_57
; %bb.54:
	v_mov_b32_e32 v85, 0
	v_subrev_nc_u32_e32 v86, 27, v0
	s_movk_i32 s5, 0x1e8
	s_mov_b32 s1, 0
	s_delay_alu instid0(VALU_DEP_2)
	v_add_nc_u32_e32 v85, 0xd8, v85
.LBB32_55:                              ; =>This Inner Loop Header: Depth=1
	scratch_load_b64 v[87:88], v85, off
	v_dual_mov_b32 v89, s5 :: v_dual_add_nc_u32 v86, -1, v86
	v_add_nc_u32_e32 v85, 8, v85
	s_add_i32 s5, s5, 8
	ds_load_b64 v[89:90], v89
	v_cmp_eq_u32_e32 vcc_lo, 0, v86
	s_or_b32 s1, vcc_lo, s1
	s_waitcnt vmcnt(0) lgkmcnt(0)
	v_fma_f64 v[1:2], v[87:88], v[89:90], v[1:2]
	s_and_not1_b32 exec_lo, exec_lo, s1
	s_cbranch_execnz .LBB32_55
; %bb.56:
	s_or_b32 exec_lo, exec_lo, s1
.LBB32_57:
	s_delay_alu instid0(SALU_CYCLE_1)
	s_or_b32 exec_lo, exec_lo, s4
	v_mov_b32_e32 v85, 0
	ds_load_b64 v[85:86], v85 offset:208
	s_waitcnt lgkmcnt(0)
	v_mul_f64 v[1:2], v[1:2], v[85:86]
	scratch_store_b64 off, v[1:2], off offset:208
.LBB32_58:
	s_or_b32 exec_lo, exec_lo, s3
	scratch_load_b64 v[1:2], off, off offset:200
	v_cmp_lt_u32_e64 s1, 25, v0
	s_waitcnt vmcnt(0)
	ds_store_b64 v3, v[1:2]
	s_waitcnt lgkmcnt(0)
	s_waitcnt_vscnt null, 0x0
	s_barrier
	buffer_gl0_inv
	s_and_saveexec_b32 s3, s1
	s_cbranch_execz .LBB32_68
; %bb.59:
	s_and_not1_b32 vcc_lo, exec_lo, s2
	s_cbranch_vccnz .LBB32_61
; %bb.60:
	scratch_load_b64 v[1:2], v4, off
	ds_load_b64 v[85:86], v3
	s_waitcnt vmcnt(0) lgkmcnt(0)
	v_mul_f64 v[1:2], v[1:2], v[85:86]
	s_cbranch_execz .LBB32_62
	s_branch .LBB32_63
.LBB32_61:
                                        ; implicit-def: $vgpr1_vgpr2
.LBB32_62:
	ds_load_b64 v[1:2], v3
.LBB32_63:
	s_and_saveexec_b32 s4, s0
	s_cbranch_execz .LBB32_67
; %bb.64:
	v_subrev_nc_u32_e32 v85, 26, v0
	s_movk_i32 s5, 0x1e0
	s_mov_b32 s0, 0
.LBB32_65:                              ; =>This Inner Loop Header: Depth=1
	scratch_load_b64 v[86:87], v84, off
	v_dual_mov_b32 v88, s5 :: v_dual_add_nc_u32 v85, -1, v85
	v_add_nc_u32_e32 v84, 8, v84
	s_add_i32 s5, s5, 8
	ds_load_b64 v[88:89], v88
	v_cmp_eq_u32_e32 vcc_lo, 0, v85
	s_or_b32 s0, vcc_lo, s0
	s_waitcnt vmcnt(0) lgkmcnt(0)
	v_fma_f64 v[1:2], v[86:87], v[88:89], v[1:2]
	s_and_not1_b32 exec_lo, exec_lo, s0
	s_cbranch_execnz .LBB32_65
; %bb.66:
	s_or_b32 exec_lo, exec_lo, s0
.LBB32_67:
	s_delay_alu instid0(SALU_CYCLE_1)
	s_or_b32 exec_lo, exec_lo, s4
	v_mov_b32_e32 v84, 0
	ds_load_b64 v[84:85], v84 offset:200
	s_waitcnt lgkmcnt(0)
	v_mul_f64 v[1:2], v[1:2], v[84:85]
	scratch_store_b64 off, v[1:2], off offset:200
.LBB32_68:
	s_or_b32 exec_lo, exec_lo, s3
	scratch_load_b64 v[1:2], off, off offset:192
	v_cmp_lt_u32_e64 s0, 24, v0
	s_waitcnt vmcnt(0)
	ds_store_b64 v3, v[1:2]
	s_waitcnt lgkmcnt(0)
	s_waitcnt_vscnt null, 0x0
	s_barrier
	buffer_gl0_inv
	s_and_saveexec_b32 s3, s0
	s_cbranch_execz .LBB32_78
; %bb.69:
	s_and_not1_b32 vcc_lo, exec_lo, s2
	s_cbranch_vccnz .LBB32_71
; %bb.70:
	scratch_load_b64 v[1:2], v4, off
	ds_load_b64 v[84:85], v3
	s_waitcnt vmcnt(0) lgkmcnt(0)
	v_mul_f64 v[1:2], v[1:2], v[84:85]
	s_cbranch_execz .LBB32_72
	s_branch .LBB32_73
.LBB32_71:
                                        ; implicit-def: $vgpr1_vgpr2
.LBB32_72:
	ds_load_b64 v[1:2], v3
.LBB32_73:
	s_and_saveexec_b32 s4, s1
	s_cbranch_execz .LBB32_77
; %bb.74:
	v_mov_b32_e32 v84, 0
	v_subrev_nc_u32_e32 v85, 25, v0
	s_movk_i32 s5, 0x1d8
	s_mov_b32 s1, 0
	s_delay_alu instid0(VALU_DEP_2)
	v_add_nc_u32_e32 v84, 0xc8, v84
.LBB32_75:                              ; =>This Inner Loop Header: Depth=1
	scratch_load_b64 v[86:87], v84, off
	v_dual_mov_b32 v88, s5 :: v_dual_add_nc_u32 v85, -1, v85
	v_add_nc_u32_e32 v84, 8, v84
	s_add_i32 s5, s5, 8
	ds_load_b64 v[88:89], v88
	v_cmp_eq_u32_e32 vcc_lo, 0, v85
	s_or_b32 s1, vcc_lo, s1
	s_waitcnt vmcnt(0) lgkmcnt(0)
	v_fma_f64 v[1:2], v[86:87], v[88:89], v[1:2]
	s_and_not1_b32 exec_lo, exec_lo, s1
	s_cbranch_execnz .LBB32_75
; %bb.76:
	s_or_b32 exec_lo, exec_lo, s1
.LBB32_77:
	s_delay_alu instid0(SALU_CYCLE_1)
	s_or_b32 exec_lo, exec_lo, s4
	v_mov_b32_e32 v84, 0
	ds_load_b64 v[84:85], v84 offset:192
	s_waitcnt lgkmcnt(0)
	v_mul_f64 v[1:2], v[1:2], v[84:85]
	scratch_store_b64 off, v[1:2], off offset:192
.LBB32_78:
	s_or_b32 exec_lo, exec_lo, s3
	scratch_load_b64 v[1:2], off, off offset:184
	v_cmp_lt_u32_e64 s1, 23, v0
	s_waitcnt vmcnt(0)
	ds_store_b64 v3, v[1:2]
	s_waitcnt lgkmcnt(0)
	s_waitcnt_vscnt null, 0x0
	s_barrier
	buffer_gl0_inv
	s_and_saveexec_b32 s3, s1
	s_cbranch_execz .LBB32_88
; %bb.79:
	s_and_not1_b32 vcc_lo, exec_lo, s2
	s_cbranch_vccnz .LBB32_81
; %bb.80:
	scratch_load_b64 v[1:2], v4, off
	ds_load_b64 v[84:85], v3
	s_waitcnt vmcnt(0) lgkmcnt(0)
	v_mul_f64 v[1:2], v[1:2], v[84:85]
	s_cbranch_execz .LBB32_82
	s_branch .LBB32_83
.LBB32_81:
                                        ; implicit-def: $vgpr1_vgpr2
.LBB32_82:
	ds_load_b64 v[1:2], v3
.LBB32_83:
	s_and_saveexec_b32 s4, s0
	s_cbranch_execz .LBB32_87
; %bb.84:
	v_subrev_nc_u32_e32 v84, 24, v0
	s_movk_i32 s5, 0x1d0
	s_mov_b32 s0, 0
.LBB32_85:                              ; =>This Inner Loop Header: Depth=1
	scratch_load_b64 v[85:86], v83, off
	v_dual_mov_b32 v87, s5 :: v_dual_add_nc_u32 v84, -1, v84
	v_add_nc_u32_e32 v83, 8, v83
	s_add_i32 s5, s5, 8
	ds_load_b64 v[87:88], v87
	v_cmp_eq_u32_e32 vcc_lo, 0, v84
	s_or_b32 s0, vcc_lo, s0
	s_waitcnt vmcnt(0) lgkmcnt(0)
	v_fma_f64 v[1:2], v[85:86], v[87:88], v[1:2]
	s_and_not1_b32 exec_lo, exec_lo, s0
	s_cbranch_execnz .LBB32_85
; %bb.86:
	s_or_b32 exec_lo, exec_lo, s0
.LBB32_87:
	s_delay_alu instid0(SALU_CYCLE_1)
	s_or_b32 exec_lo, exec_lo, s4
	v_mov_b32_e32 v83, 0
	ds_load_b64 v[83:84], v83 offset:184
	s_waitcnt lgkmcnt(0)
	v_mul_f64 v[1:2], v[1:2], v[83:84]
	scratch_store_b64 off, v[1:2], off offset:184
.LBB32_88:
	s_or_b32 exec_lo, exec_lo, s3
	scratch_load_b64 v[1:2], off, off offset:176
	v_cmp_lt_u32_e64 s0, 22, v0
	s_waitcnt vmcnt(0)
	ds_store_b64 v3, v[1:2]
	s_waitcnt lgkmcnt(0)
	s_waitcnt_vscnt null, 0x0
	s_barrier
	buffer_gl0_inv
	s_and_saveexec_b32 s3, s0
	s_cbranch_execz .LBB32_98
; %bb.89:
	s_and_not1_b32 vcc_lo, exec_lo, s2
	s_cbranch_vccnz .LBB32_91
; %bb.90:
	scratch_load_b64 v[1:2], v4, off
	ds_load_b64 v[83:84], v3
	s_waitcnt vmcnt(0) lgkmcnt(0)
	v_mul_f64 v[1:2], v[1:2], v[83:84]
	s_cbranch_execz .LBB32_92
	s_branch .LBB32_93
.LBB32_91:
                                        ; implicit-def: $vgpr1_vgpr2
.LBB32_92:
	ds_load_b64 v[1:2], v3
.LBB32_93:
	s_and_saveexec_b32 s4, s1
	s_cbranch_execz .LBB32_97
; %bb.94:
	v_mov_b32_e32 v83, 0
	v_subrev_nc_u32_e32 v84, 23, v0
	s_movk_i32 s5, 0x1c8
	s_mov_b32 s1, 0
	s_delay_alu instid0(VALU_DEP_2)
	v_add_nc_u32_e32 v83, 0xb8, v83
.LBB32_95:                              ; =>This Inner Loop Header: Depth=1
	scratch_load_b64 v[85:86], v83, off
	v_dual_mov_b32 v87, s5 :: v_dual_add_nc_u32 v84, -1, v84
	v_add_nc_u32_e32 v83, 8, v83
	s_add_i32 s5, s5, 8
	ds_load_b64 v[87:88], v87
	v_cmp_eq_u32_e32 vcc_lo, 0, v84
	s_or_b32 s1, vcc_lo, s1
	s_waitcnt vmcnt(0) lgkmcnt(0)
	v_fma_f64 v[1:2], v[85:86], v[87:88], v[1:2]
	s_and_not1_b32 exec_lo, exec_lo, s1
	s_cbranch_execnz .LBB32_95
; %bb.96:
	s_or_b32 exec_lo, exec_lo, s1
.LBB32_97:
	s_delay_alu instid0(SALU_CYCLE_1)
	s_or_b32 exec_lo, exec_lo, s4
	v_mov_b32_e32 v83, 0
	ds_load_b64 v[83:84], v83 offset:176
	s_waitcnt lgkmcnt(0)
	v_mul_f64 v[1:2], v[1:2], v[83:84]
	scratch_store_b64 off, v[1:2], off offset:176
.LBB32_98:
	s_or_b32 exec_lo, exec_lo, s3
	scratch_load_b64 v[1:2], off, off offset:168
	v_cmp_lt_u32_e64 s1, 21, v0
	s_waitcnt vmcnt(0)
	ds_store_b64 v3, v[1:2]
	s_waitcnt lgkmcnt(0)
	s_waitcnt_vscnt null, 0x0
	s_barrier
	buffer_gl0_inv
	s_and_saveexec_b32 s3, s1
	s_cbranch_execz .LBB32_108
; %bb.99:
	s_and_not1_b32 vcc_lo, exec_lo, s2
	s_cbranch_vccnz .LBB32_101
; %bb.100:
	scratch_load_b64 v[1:2], v4, off
	ds_load_b64 v[83:84], v3
	s_waitcnt vmcnt(0) lgkmcnt(0)
	v_mul_f64 v[1:2], v[1:2], v[83:84]
	s_cbranch_execz .LBB32_102
	s_branch .LBB32_103
.LBB32_101:
                                        ; implicit-def: $vgpr1_vgpr2
.LBB32_102:
	ds_load_b64 v[1:2], v3
.LBB32_103:
	s_and_saveexec_b32 s4, s0
	s_cbranch_execz .LBB32_107
; %bb.104:
	v_subrev_nc_u32_e32 v83, 22, v0
	s_movk_i32 s5, 0x1c0
	s_mov_b32 s0, 0
.LBB32_105:                             ; =>This Inner Loop Header: Depth=1
	scratch_load_b64 v[84:85], v82, off
	v_dual_mov_b32 v86, s5 :: v_dual_add_nc_u32 v83, -1, v83
	v_add_nc_u32_e32 v82, 8, v82
	s_add_i32 s5, s5, 8
	ds_load_b64 v[86:87], v86
	v_cmp_eq_u32_e32 vcc_lo, 0, v83
	s_or_b32 s0, vcc_lo, s0
	s_waitcnt vmcnt(0) lgkmcnt(0)
	v_fma_f64 v[1:2], v[84:85], v[86:87], v[1:2]
	s_and_not1_b32 exec_lo, exec_lo, s0
	s_cbranch_execnz .LBB32_105
; %bb.106:
	s_or_b32 exec_lo, exec_lo, s0
.LBB32_107:
	s_delay_alu instid0(SALU_CYCLE_1)
	s_or_b32 exec_lo, exec_lo, s4
	v_mov_b32_e32 v82, 0
	ds_load_b64 v[82:83], v82 offset:168
	s_waitcnt lgkmcnt(0)
	v_mul_f64 v[1:2], v[1:2], v[82:83]
	scratch_store_b64 off, v[1:2], off offset:168
.LBB32_108:
	s_or_b32 exec_lo, exec_lo, s3
	scratch_load_b64 v[1:2], off, off offset:160
	v_cmp_lt_u32_e64 s0, 20, v0
	s_waitcnt vmcnt(0)
	ds_store_b64 v3, v[1:2]
	s_waitcnt lgkmcnt(0)
	s_waitcnt_vscnt null, 0x0
	s_barrier
	buffer_gl0_inv
	s_and_saveexec_b32 s3, s0
	s_cbranch_execz .LBB32_118
; %bb.109:
	s_and_not1_b32 vcc_lo, exec_lo, s2
	s_cbranch_vccnz .LBB32_111
; %bb.110:
	scratch_load_b64 v[1:2], v4, off
	ds_load_b64 v[82:83], v3
	s_waitcnt vmcnt(0) lgkmcnt(0)
	v_mul_f64 v[1:2], v[1:2], v[82:83]
	s_cbranch_execz .LBB32_112
	s_branch .LBB32_113
.LBB32_111:
                                        ; implicit-def: $vgpr1_vgpr2
.LBB32_112:
	ds_load_b64 v[1:2], v3
.LBB32_113:
	s_and_saveexec_b32 s4, s1
	s_cbranch_execz .LBB32_117
; %bb.114:
	v_mov_b32_e32 v82, 0
	v_subrev_nc_u32_e32 v83, 21, v0
	s_movk_i32 s5, 0x1b8
	s_mov_b32 s1, 0
	s_delay_alu instid0(VALU_DEP_2)
	v_add_nc_u32_e32 v82, 0xa8, v82
.LBB32_115:                             ; =>This Inner Loop Header: Depth=1
	scratch_load_b64 v[84:85], v82, off
	v_dual_mov_b32 v86, s5 :: v_dual_add_nc_u32 v83, -1, v83
	v_add_nc_u32_e32 v82, 8, v82
	s_add_i32 s5, s5, 8
	ds_load_b64 v[86:87], v86
	v_cmp_eq_u32_e32 vcc_lo, 0, v83
	s_or_b32 s1, vcc_lo, s1
	s_waitcnt vmcnt(0) lgkmcnt(0)
	v_fma_f64 v[1:2], v[84:85], v[86:87], v[1:2]
	s_and_not1_b32 exec_lo, exec_lo, s1
	s_cbranch_execnz .LBB32_115
; %bb.116:
	s_or_b32 exec_lo, exec_lo, s1
.LBB32_117:
	s_delay_alu instid0(SALU_CYCLE_1)
	s_or_b32 exec_lo, exec_lo, s4
	v_mov_b32_e32 v82, 0
	ds_load_b64 v[82:83], v82 offset:160
	s_waitcnt lgkmcnt(0)
	v_mul_f64 v[1:2], v[1:2], v[82:83]
	scratch_store_b64 off, v[1:2], off offset:160
.LBB32_118:
	s_or_b32 exec_lo, exec_lo, s3
	scratch_load_b64 v[1:2], off, off offset:152
	v_cmp_lt_u32_e64 s1, 19, v0
	s_waitcnt vmcnt(0)
	ds_store_b64 v3, v[1:2]
	s_waitcnt lgkmcnt(0)
	s_waitcnt_vscnt null, 0x0
	s_barrier
	buffer_gl0_inv
	s_and_saveexec_b32 s3, s1
	s_cbranch_execz .LBB32_128
; %bb.119:
	s_and_not1_b32 vcc_lo, exec_lo, s2
	s_cbranch_vccnz .LBB32_121
; %bb.120:
	scratch_load_b64 v[1:2], v4, off
	ds_load_b64 v[82:83], v3
	s_waitcnt vmcnt(0) lgkmcnt(0)
	v_mul_f64 v[1:2], v[1:2], v[82:83]
	s_cbranch_execz .LBB32_122
	s_branch .LBB32_123
.LBB32_121:
                                        ; implicit-def: $vgpr1_vgpr2
.LBB32_122:
	ds_load_b64 v[1:2], v3
.LBB32_123:
	s_and_saveexec_b32 s4, s0
	s_cbranch_execz .LBB32_127
; %bb.124:
	v_subrev_nc_u32_e32 v82, 20, v0
	s_movk_i32 s5, 0x1b0
	s_mov_b32 s0, 0
.LBB32_125:                             ; =>This Inner Loop Header: Depth=1
	scratch_load_b64 v[83:84], v81, off
	v_dual_mov_b32 v85, s5 :: v_dual_add_nc_u32 v82, -1, v82
	v_add_nc_u32_e32 v81, 8, v81
	s_add_i32 s5, s5, 8
	ds_load_b64 v[85:86], v85
	v_cmp_eq_u32_e32 vcc_lo, 0, v82
	s_or_b32 s0, vcc_lo, s0
	s_waitcnt vmcnt(0) lgkmcnt(0)
	v_fma_f64 v[1:2], v[83:84], v[85:86], v[1:2]
	s_and_not1_b32 exec_lo, exec_lo, s0
	s_cbranch_execnz .LBB32_125
; %bb.126:
	s_or_b32 exec_lo, exec_lo, s0
.LBB32_127:
	s_delay_alu instid0(SALU_CYCLE_1)
	s_or_b32 exec_lo, exec_lo, s4
	v_mov_b32_e32 v81, 0
	ds_load_b64 v[81:82], v81 offset:152
	s_waitcnt lgkmcnt(0)
	v_mul_f64 v[1:2], v[1:2], v[81:82]
	scratch_store_b64 off, v[1:2], off offset:152
.LBB32_128:
	s_or_b32 exec_lo, exec_lo, s3
	scratch_load_b64 v[1:2], off, off offset:144
	v_cmp_lt_u32_e64 s0, 18, v0
	s_waitcnt vmcnt(0)
	ds_store_b64 v3, v[1:2]
	s_waitcnt lgkmcnt(0)
	s_waitcnt_vscnt null, 0x0
	s_barrier
	buffer_gl0_inv
	s_and_saveexec_b32 s3, s0
	s_cbranch_execz .LBB32_138
; %bb.129:
	s_and_not1_b32 vcc_lo, exec_lo, s2
	s_cbranch_vccnz .LBB32_131
; %bb.130:
	scratch_load_b64 v[1:2], v4, off
	ds_load_b64 v[81:82], v3
	s_waitcnt vmcnt(0) lgkmcnt(0)
	v_mul_f64 v[1:2], v[1:2], v[81:82]
	s_cbranch_execz .LBB32_132
	s_branch .LBB32_133
.LBB32_131:
                                        ; implicit-def: $vgpr1_vgpr2
.LBB32_132:
	ds_load_b64 v[1:2], v3
.LBB32_133:
	s_and_saveexec_b32 s4, s1
	s_cbranch_execz .LBB32_137
; %bb.134:
	v_mov_b32_e32 v81, 0
	v_subrev_nc_u32_e32 v82, 19, v0
	s_movk_i32 s5, 0x1a8
	s_mov_b32 s1, 0
	s_delay_alu instid0(VALU_DEP_2)
	v_add_nc_u32_e32 v81, 0x98, v81
.LBB32_135:                             ; =>This Inner Loop Header: Depth=1
	scratch_load_b64 v[83:84], v81, off
	v_dual_mov_b32 v85, s5 :: v_dual_add_nc_u32 v82, -1, v82
	v_add_nc_u32_e32 v81, 8, v81
	s_add_i32 s5, s5, 8
	ds_load_b64 v[85:86], v85
	v_cmp_eq_u32_e32 vcc_lo, 0, v82
	s_or_b32 s1, vcc_lo, s1
	s_waitcnt vmcnt(0) lgkmcnt(0)
	v_fma_f64 v[1:2], v[83:84], v[85:86], v[1:2]
	s_and_not1_b32 exec_lo, exec_lo, s1
	s_cbranch_execnz .LBB32_135
; %bb.136:
	s_or_b32 exec_lo, exec_lo, s1
.LBB32_137:
	s_delay_alu instid0(SALU_CYCLE_1)
	s_or_b32 exec_lo, exec_lo, s4
	v_mov_b32_e32 v81, 0
	ds_load_b64 v[81:82], v81 offset:144
	s_waitcnt lgkmcnt(0)
	v_mul_f64 v[1:2], v[1:2], v[81:82]
	scratch_store_b64 off, v[1:2], off offset:144
.LBB32_138:
	s_or_b32 exec_lo, exec_lo, s3
	scratch_load_b64 v[1:2], off, off offset:136
	v_cmp_lt_u32_e64 s1, 17, v0
	s_waitcnt vmcnt(0)
	ds_store_b64 v3, v[1:2]
	s_waitcnt lgkmcnt(0)
	s_waitcnt_vscnt null, 0x0
	s_barrier
	buffer_gl0_inv
	s_and_saveexec_b32 s3, s1
	s_cbranch_execz .LBB32_148
; %bb.139:
	s_and_not1_b32 vcc_lo, exec_lo, s2
	s_cbranch_vccnz .LBB32_141
; %bb.140:
	scratch_load_b64 v[1:2], v4, off
	ds_load_b64 v[81:82], v3
	s_waitcnt vmcnt(0) lgkmcnt(0)
	v_mul_f64 v[1:2], v[1:2], v[81:82]
	s_cbranch_execz .LBB32_142
	s_branch .LBB32_143
.LBB32_141:
                                        ; implicit-def: $vgpr1_vgpr2
.LBB32_142:
	ds_load_b64 v[1:2], v3
.LBB32_143:
	s_and_saveexec_b32 s4, s0
	s_cbranch_execz .LBB32_147
; %bb.144:
	v_subrev_nc_u32_e32 v81, 18, v0
	s_movk_i32 s5, 0x1a0
	s_mov_b32 s0, 0
.LBB32_145:                             ; =>This Inner Loop Header: Depth=1
	scratch_load_b64 v[82:83], v80, off
	v_dual_mov_b32 v84, s5 :: v_dual_add_nc_u32 v81, -1, v81
	v_add_nc_u32_e32 v80, 8, v80
	s_add_i32 s5, s5, 8
	ds_load_b64 v[84:85], v84
	v_cmp_eq_u32_e32 vcc_lo, 0, v81
	s_or_b32 s0, vcc_lo, s0
	s_waitcnt vmcnt(0) lgkmcnt(0)
	v_fma_f64 v[1:2], v[82:83], v[84:85], v[1:2]
	s_and_not1_b32 exec_lo, exec_lo, s0
	s_cbranch_execnz .LBB32_145
; %bb.146:
	s_or_b32 exec_lo, exec_lo, s0
.LBB32_147:
	s_delay_alu instid0(SALU_CYCLE_1)
	s_or_b32 exec_lo, exec_lo, s4
	v_mov_b32_e32 v80, 0
	ds_load_b64 v[80:81], v80 offset:136
	s_waitcnt lgkmcnt(0)
	v_mul_f64 v[1:2], v[1:2], v[80:81]
	scratch_store_b64 off, v[1:2], off offset:136
.LBB32_148:
	s_or_b32 exec_lo, exec_lo, s3
	scratch_load_b64 v[1:2], off, off offset:128
	v_cmp_lt_u32_e64 s0, 16, v0
	s_waitcnt vmcnt(0)
	ds_store_b64 v3, v[1:2]
	s_waitcnt lgkmcnt(0)
	s_waitcnt_vscnt null, 0x0
	s_barrier
	buffer_gl0_inv
	s_and_saveexec_b32 s3, s0
	s_cbranch_execz .LBB32_158
; %bb.149:
	s_and_not1_b32 vcc_lo, exec_lo, s2
	s_cbranch_vccnz .LBB32_151
; %bb.150:
	scratch_load_b64 v[1:2], v4, off
	ds_load_b64 v[80:81], v3
	s_waitcnt vmcnt(0) lgkmcnt(0)
	v_mul_f64 v[1:2], v[1:2], v[80:81]
	s_cbranch_execz .LBB32_152
	s_branch .LBB32_153
.LBB32_151:
                                        ; implicit-def: $vgpr1_vgpr2
.LBB32_152:
	ds_load_b64 v[1:2], v3
.LBB32_153:
	s_and_saveexec_b32 s4, s1
	s_cbranch_execz .LBB32_157
; %bb.154:
	v_mov_b32_e32 v80, 0
	v_subrev_nc_u32_e32 v81, 17, v0
	s_movk_i32 s5, 0x198
	s_mov_b32 s1, 0
	s_delay_alu instid0(VALU_DEP_2)
	v_add_nc_u32_e32 v80, 0x88, v80
.LBB32_155:                             ; =>This Inner Loop Header: Depth=1
	scratch_load_b64 v[82:83], v80, off
	v_dual_mov_b32 v84, s5 :: v_dual_add_nc_u32 v81, -1, v81
	v_add_nc_u32_e32 v80, 8, v80
	s_add_i32 s5, s5, 8
	ds_load_b64 v[84:85], v84
	v_cmp_eq_u32_e32 vcc_lo, 0, v81
	s_or_b32 s1, vcc_lo, s1
	s_waitcnt vmcnt(0) lgkmcnt(0)
	v_fma_f64 v[1:2], v[82:83], v[84:85], v[1:2]
	s_and_not1_b32 exec_lo, exec_lo, s1
	s_cbranch_execnz .LBB32_155
; %bb.156:
	s_or_b32 exec_lo, exec_lo, s1
.LBB32_157:
	s_delay_alu instid0(SALU_CYCLE_1)
	s_or_b32 exec_lo, exec_lo, s4
	v_mov_b32_e32 v80, 0
	ds_load_b64 v[80:81], v80 offset:128
	s_waitcnt lgkmcnt(0)
	v_mul_f64 v[1:2], v[1:2], v[80:81]
	scratch_store_b64 off, v[1:2], off offset:128
.LBB32_158:
	s_or_b32 exec_lo, exec_lo, s3
	scratch_load_b64 v[1:2], off, off offset:120
	v_cmp_lt_u32_e64 s1, 15, v0
	s_waitcnt vmcnt(0)
	ds_store_b64 v3, v[1:2]
	s_waitcnt lgkmcnt(0)
	s_waitcnt_vscnt null, 0x0
	s_barrier
	buffer_gl0_inv
	s_and_saveexec_b32 s3, s1
	s_cbranch_execz .LBB32_168
; %bb.159:
	s_and_not1_b32 vcc_lo, exec_lo, s2
	s_cbranch_vccnz .LBB32_161
; %bb.160:
	scratch_load_b64 v[1:2], v4, off
	ds_load_b64 v[80:81], v3
	s_waitcnt vmcnt(0) lgkmcnt(0)
	v_mul_f64 v[1:2], v[1:2], v[80:81]
	s_cbranch_execz .LBB32_162
	s_branch .LBB32_163
.LBB32_161:
                                        ; implicit-def: $vgpr1_vgpr2
.LBB32_162:
	ds_load_b64 v[1:2], v3
.LBB32_163:
	s_and_saveexec_b32 s4, s0
	s_cbranch_execz .LBB32_167
; %bb.164:
	v_add_nc_u32_e32 v80, -16, v0
	s_movk_i32 s5, 0x190
	s_mov_b32 s0, 0
.LBB32_165:                             ; =>This Inner Loop Header: Depth=1
	scratch_load_b64 v[81:82], v79, off
	v_dual_mov_b32 v83, s5 :: v_dual_add_nc_u32 v80, -1, v80
	v_add_nc_u32_e32 v79, 8, v79
	s_add_i32 s5, s5, 8
	ds_load_b64 v[83:84], v83
	v_cmp_eq_u32_e32 vcc_lo, 0, v80
	s_or_b32 s0, vcc_lo, s0
	s_waitcnt vmcnt(0) lgkmcnt(0)
	v_fma_f64 v[1:2], v[81:82], v[83:84], v[1:2]
	s_and_not1_b32 exec_lo, exec_lo, s0
	s_cbranch_execnz .LBB32_165
; %bb.166:
	s_or_b32 exec_lo, exec_lo, s0
.LBB32_167:
	s_delay_alu instid0(SALU_CYCLE_1)
	s_or_b32 exec_lo, exec_lo, s4
	v_mov_b32_e32 v79, 0
	ds_load_b64 v[79:80], v79 offset:120
	s_waitcnt lgkmcnt(0)
	v_mul_f64 v[1:2], v[1:2], v[79:80]
	scratch_store_b64 off, v[1:2], off offset:120
.LBB32_168:
	s_or_b32 exec_lo, exec_lo, s3
	scratch_load_b64 v[1:2], off, off offset:112
	v_cmp_lt_u32_e64 s0, 14, v0
	s_waitcnt vmcnt(0)
	ds_store_b64 v3, v[1:2]
	s_waitcnt lgkmcnt(0)
	s_waitcnt_vscnt null, 0x0
	s_barrier
	buffer_gl0_inv
	s_and_saveexec_b32 s3, s0
	s_cbranch_execz .LBB32_178
; %bb.169:
	s_and_not1_b32 vcc_lo, exec_lo, s2
	s_cbranch_vccnz .LBB32_171
; %bb.170:
	scratch_load_b64 v[1:2], v4, off
	ds_load_b64 v[79:80], v3
	s_waitcnt vmcnt(0) lgkmcnt(0)
	v_mul_f64 v[1:2], v[1:2], v[79:80]
	s_cbranch_execz .LBB32_172
	s_branch .LBB32_173
.LBB32_171:
                                        ; implicit-def: $vgpr1_vgpr2
.LBB32_172:
	ds_load_b64 v[1:2], v3
.LBB32_173:
	s_and_saveexec_b32 s4, s1
	s_cbranch_execz .LBB32_177
; %bb.174:
	v_dual_mov_b32 v79, 0 :: v_dual_add_nc_u32 v80, -15, v0
	s_movk_i32 s5, 0x188
	s_mov_b32 s1, 0
	s_delay_alu instid0(VALU_DEP_1)
	v_add_nc_u32_e32 v79, 0x78, v79
.LBB32_175:                             ; =>This Inner Loop Header: Depth=1
	scratch_load_b64 v[81:82], v79, off
	v_dual_mov_b32 v83, s5 :: v_dual_add_nc_u32 v80, -1, v80
	v_add_nc_u32_e32 v79, 8, v79
	s_add_i32 s5, s5, 8
	ds_load_b64 v[83:84], v83
	v_cmp_eq_u32_e32 vcc_lo, 0, v80
	s_or_b32 s1, vcc_lo, s1
	s_waitcnt vmcnt(0) lgkmcnt(0)
	v_fma_f64 v[1:2], v[81:82], v[83:84], v[1:2]
	s_and_not1_b32 exec_lo, exec_lo, s1
	s_cbranch_execnz .LBB32_175
; %bb.176:
	s_or_b32 exec_lo, exec_lo, s1
.LBB32_177:
	s_delay_alu instid0(SALU_CYCLE_1)
	s_or_b32 exec_lo, exec_lo, s4
	v_mov_b32_e32 v79, 0
	ds_load_b64 v[79:80], v79 offset:112
	s_waitcnt lgkmcnt(0)
	v_mul_f64 v[1:2], v[1:2], v[79:80]
	scratch_store_b64 off, v[1:2], off offset:112
.LBB32_178:
	s_or_b32 exec_lo, exec_lo, s3
	scratch_load_b64 v[1:2], off, off offset:104
	v_cmp_lt_u32_e64 s1, 13, v0
	s_waitcnt vmcnt(0)
	ds_store_b64 v3, v[1:2]
	s_waitcnt lgkmcnt(0)
	s_waitcnt_vscnt null, 0x0
	s_barrier
	buffer_gl0_inv
	s_and_saveexec_b32 s3, s1
	s_cbranch_execz .LBB32_188
; %bb.179:
	s_and_not1_b32 vcc_lo, exec_lo, s2
	s_cbranch_vccnz .LBB32_181
; %bb.180:
	scratch_load_b64 v[1:2], v4, off
	ds_load_b64 v[79:80], v3
	s_waitcnt vmcnt(0) lgkmcnt(0)
	v_mul_f64 v[1:2], v[1:2], v[79:80]
	s_cbranch_execz .LBB32_182
	s_branch .LBB32_183
.LBB32_181:
                                        ; implicit-def: $vgpr1_vgpr2
.LBB32_182:
	ds_load_b64 v[1:2], v3
.LBB32_183:
	s_and_saveexec_b32 s4, s0
	s_cbranch_execz .LBB32_187
; %bb.184:
	v_add_nc_u32_e32 v79, -14, v0
	s_movk_i32 s5, 0x180
	s_mov_b32 s0, 0
.LBB32_185:                             ; =>This Inner Loop Header: Depth=1
	scratch_load_b64 v[80:81], v78, off
	v_dual_mov_b32 v82, s5 :: v_dual_add_nc_u32 v79, -1, v79
	v_add_nc_u32_e32 v78, 8, v78
	s_add_i32 s5, s5, 8
	ds_load_b64 v[82:83], v82
	v_cmp_eq_u32_e32 vcc_lo, 0, v79
	s_or_b32 s0, vcc_lo, s0
	s_waitcnt vmcnt(0) lgkmcnt(0)
	v_fma_f64 v[1:2], v[80:81], v[82:83], v[1:2]
	s_and_not1_b32 exec_lo, exec_lo, s0
	s_cbranch_execnz .LBB32_185
; %bb.186:
	s_or_b32 exec_lo, exec_lo, s0
.LBB32_187:
	s_delay_alu instid0(SALU_CYCLE_1)
	s_or_b32 exec_lo, exec_lo, s4
	v_mov_b32_e32 v78, 0
	ds_load_b64 v[78:79], v78 offset:104
	s_waitcnt lgkmcnt(0)
	v_mul_f64 v[1:2], v[1:2], v[78:79]
	scratch_store_b64 off, v[1:2], off offset:104
.LBB32_188:
	s_or_b32 exec_lo, exec_lo, s3
	scratch_load_b64 v[1:2], off, off offset:96
	v_cmp_lt_u32_e64 s0, 12, v0
	s_waitcnt vmcnt(0)
	ds_store_b64 v3, v[1:2]
	s_waitcnt lgkmcnt(0)
	s_waitcnt_vscnt null, 0x0
	s_barrier
	buffer_gl0_inv
	s_and_saveexec_b32 s3, s0
	s_cbranch_execz .LBB32_198
; %bb.189:
	s_and_not1_b32 vcc_lo, exec_lo, s2
	s_cbranch_vccnz .LBB32_191
; %bb.190:
	scratch_load_b64 v[1:2], v4, off
	ds_load_b64 v[78:79], v3
	s_waitcnt vmcnt(0) lgkmcnt(0)
	v_mul_f64 v[1:2], v[1:2], v[78:79]
	s_cbranch_execz .LBB32_192
	s_branch .LBB32_193
.LBB32_191:
                                        ; implicit-def: $vgpr1_vgpr2
.LBB32_192:
	ds_load_b64 v[1:2], v3
.LBB32_193:
	s_and_saveexec_b32 s4, s1
	s_cbranch_execz .LBB32_197
; %bb.194:
	v_dual_mov_b32 v78, 0 :: v_dual_add_nc_u32 v79, -13, v0
	s_movk_i32 s5, 0x178
	s_mov_b32 s1, 0
	s_delay_alu instid0(VALU_DEP_1)
	v_add_nc_u32_e32 v78, 0x68, v78
.LBB32_195:                             ; =>This Inner Loop Header: Depth=1
	scratch_load_b64 v[80:81], v78, off
	v_dual_mov_b32 v82, s5 :: v_dual_add_nc_u32 v79, -1, v79
	v_add_nc_u32_e32 v78, 8, v78
	s_add_i32 s5, s5, 8
	ds_load_b64 v[82:83], v82
	v_cmp_eq_u32_e32 vcc_lo, 0, v79
	s_or_b32 s1, vcc_lo, s1
	s_waitcnt vmcnt(0) lgkmcnt(0)
	v_fma_f64 v[1:2], v[80:81], v[82:83], v[1:2]
	s_and_not1_b32 exec_lo, exec_lo, s1
	s_cbranch_execnz .LBB32_195
; %bb.196:
	s_or_b32 exec_lo, exec_lo, s1
.LBB32_197:
	s_delay_alu instid0(SALU_CYCLE_1)
	s_or_b32 exec_lo, exec_lo, s4
	v_mov_b32_e32 v78, 0
	ds_load_b64 v[78:79], v78 offset:96
	s_waitcnt lgkmcnt(0)
	v_mul_f64 v[1:2], v[1:2], v[78:79]
	scratch_store_b64 off, v[1:2], off offset:96
.LBB32_198:
	s_or_b32 exec_lo, exec_lo, s3
	scratch_load_b64 v[1:2], off, off offset:88
	v_cmp_lt_u32_e64 s1, 11, v0
	s_waitcnt vmcnt(0)
	ds_store_b64 v3, v[1:2]
	s_waitcnt lgkmcnt(0)
	s_waitcnt_vscnt null, 0x0
	s_barrier
	buffer_gl0_inv
	s_and_saveexec_b32 s3, s1
	s_cbranch_execz .LBB32_208
; %bb.199:
	s_and_not1_b32 vcc_lo, exec_lo, s2
	s_cbranch_vccnz .LBB32_201
; %bb.200:
	scratch_load_b64 v[1:2], v4, off
	ds_load_b64 v[78:79], v3
	s_waitcnt vmcnt(0) lgkmcnt(0)
	v_mul_f64 v[1:2], v[1:2], v[78:79]
	s_cbranch_execz .LBB32_202
	s_branch .LBB32_203
.LBB32_201:
                                        ; implicit-def: $vgpr1_vgpr2
.LBB32_202:
	ds_load_b64 v[1:2], v3
.LBB32_203:
	s_and_saveexec_b32 s4, s0
	s_cbranch_execz .LBB32_207
; %bb.204:
	v_add_nc_u32_e32 v78, -12, v0
	s_movk_i32 s5, 0x170
	s_mov_b32 s0, 0
.LBB32_205:                             ; =>This Inner Loop Header: Depth=1
	scratch_load_b64 v[79:80], v77, off
	v_dual_mov_b32 v81, s5 :: v_dual_add_nc_u32 v78, -1, v78
	v_add_nc_u32_e32 v77, 8, v77
	s_add_i32 s5, s5, 8
	ds_load_b64 v[81:82], v81
	v_cmp_eq_u32_e32 vcc_lo, 0, v78
	s_or_b32 s0, vcc_lo, s0
	s_waitcnt vmcnt(0) lgkmcnt(0)
	v_fma_f64 v[1:2], v[79:80], v[81:82], v[1:2]
	s_and_not1_b32 exec_lo, exec_lo, s0
	s_cbranch_execnz .LBB32_205
; %bb.206:
	s_or_b32 exec_lo, exec_lo, s0
.LBB32_207:
	s_delay_alu instid0(SALU_CYCLE_1)
	s_or_b32 exec_lo, exec_lo, s4
	v_mov_b32_e32 v77, 0
	ds_load_b64 v[77:78], v77 offset:88
	s_waitcnt lgkmcnt(0)
	v_mul_f64 v[1:2], v[1:2], v[77:78]
	scratch_store_b64 off, v[1:2], off offset:88
.LBB32_208:
	s_or_b32 exec_lo, exec_lo, s3
	scratch_load_b64 v[1:2], off, off offset:80
	v_cmp_lt_u32_e64 s0, 10, v0
	s_waitcnt vmcnt(0)
	ds_store_b64 v3, v[1:2]
	s_waitcnt lgkmcnt(0)
	s_waitcnt_vscnt null, 0x0
	s_barrier
	buffer_gl0_inv
	s_and_saveexec_b32 s3, s0
	s_cbranch_execz .LBB32_218
; %bb.209:
	s_and_not1_b32 vcc_lo, exec_lo, s2
	s_cbranch_vccnz .LBB32_211
; %bb.210:
	scratch_load_b64 v[1:2], v4, off
	ds_load_b64 v[77:78], v3
	s_waitcnt vmcnt(0) lgkmcnt(0)
	v_mul_f64 v[1:2], v[1:2], v[77:78]
	s_cbranch_execz .LBB32_212
	s_branch .LBB32_213
.LBB32_211:
                                        ; implicit-def: $vgpr1_vgpr2
.LBB32_212:
	ds_load_b64 v[1:2], v3
.LBB32_213:
	s_and_saveexec_b32 s4, s1
	s_cbranch_execz .LBB32_217
; %bb.214:
	v_dual_mov_b32 v77, 0 :: v_dual_add_nc_u32 v78, -11, v0
	s_movk_i32 s5, 0x168
	s_mov_b32 s1, 0
	s_delay_alu instid0(VALU_DEP_1)
	v_add_nc_u32_e32 v77, 0x58, v77
.LBB32_215:                             ; =>This Inner Loop Header: Depth=1
	scratch_load_b64 v[79:80], v77, off
	v_dual_mov_b32 v81, s5 :: v_dual_add_nc_u32 v78, -1, v78
	v_add_nc_u32_e32 v77, 8, v77
	s_add_i32 s5, s5, 8
	ds_load_b64 v[81:82], v81
	v_cmp_eq_u32_e32 vcc_lo, 0, v78
	s_or_b32 s1, vcc_lo, s1
	s_waitcnt vmcnt(0) lgkmcnt(0)
	v_fma_f64 v[1:2], v[79:80], v[81:82], v[1:2]
	s_and_not1_b32 exec_lo, exec_lo, s1
	s_cbranch_execnz .LBB32_215
; %bb.216:
	s_or_b32 exec_lo, exec_lo, s1
.LBB32_217:
	s_delay_alu instid0(SALU_CYCLE_1)
	s_or_b32 exec_lo, exec_lo, s4
	v_mov_b32_e32 v77, 0
	ds_load_b64 v[77:78], v77 offset:80
	s_waitcnt lgkmcnt(0)
	v_mul_f64 v[1:2], v[1:2], v[77:78]
	scratch_store_b64 off, v[1:2], off offset:80
.LBB32_218:
	s_or_b32 exec_lo, exec_lo, s3
	scratch_load_b64 v[1:2], off, off offset:72
	v_cmp_lt_u32_e64 s1, 9, v0
	s_waitcnt vmcnt(0)
	ds_store_b64 v3, v[1:2]
	s_waitcnt lgkmcnt(0)
	s_waitcnt_vscnt null, 0x0
	s_barrier
	buffer_gl0_inv
	s_and_saveexec_b32 s3, s1
	s_cbranch_execz .LBB32_228
; %bb.219:
	s_and_not1_b32 vcc_lo, exec_lo, s2
	s_cbranch_vccnz .LBB32_221
; %bb.220:
	scratch_load_b64 v[1:2], v4, off
	ds_load_b64 v[77:78], v3
	s_waitcnt vmcnt(0) lgkmcnt(0)
	v_mul_f64 v[1:2], v[1:2], v[77:78]
	s_cbranch_execz .LBB32_222
	s_branch .LBB32_223
.LBB32_221:
                                        ; implicit-def: $vgpr1_vgpr2
.LBB32_222:
	ds_load_b64 v[1:2], v3
.LBB32_223:
	s_and_saveexec_b32 s4, s0
	s_cbranch_execz .LBB32_227
; %bb.224:
	v_add_nc_u32_e32 v77, -10, v0
	s_movk_i32 s5, 0x160
	s_mov_b32 s0, 0
.LBB32_225:                             ; =>This Inner Loop Header: Depth=1
	scratch_load_b64 v[78:79], v76, off
	v_dual_mov_b32 v80, s5 :: v_dual_add_nc_u32 v77, -1, v77
	v_add_nc_u32_e32 v76, 8, v76
	s_add_i32 s5, s5, 8
	ds_load_b64 v[80:81], v80
	v_cmp_eq_u32_e32 vcc_lo, 0, v77
	s_or_b32 s0, vcc_lo, s0
	s_waitcnt vmcnt(0) lgkmcnt(0)
	v_fma_f64 v[1:2], v[78:79], v[80:81], v[1:2]
	s_and_not1_b32 exec_lo, exec_lo, s0
	s_cbranch_execnz .LBB32_225
; %bb.226:
	s_or_b32 exec_lo, exec_lo, s0
.LBB32_227:
	s_delay_alu instid0(SALU_CYCLE_1)
	s_or_b32 exec_lo, exec_lo, s4
	v_mov_b32_e32 v76, 0
	ds_load_b64 v[76:77], v76 offset:72
	s_waitcnt lgkmcnt(0)
	v_mul_f64 v[1:2], v[1:2], v[76:77]
	scratch_store_b64 off, v[1:2], off offset:72
.LBB32_228:
	s_or_b32 exec_lo, exec_lo, s3
	scratch_load_b64 v[1:2], off, off offset:64
	v_cmp_lt_u32_e64 s0, 8, v0
	s_waitcnt vmcnt(0)
	ds_store_b64 v3, v[1:2]
	s_waitcnt lgkmcnt(0)
	s_waitcnt_vscnt null, 0x0
	s_barrier
	buffer_gl0_inv
	s_and_saveexec_b32 s3, s0
	s_cbranch_execz .LBB32_238
; %bb.229:
	s_and_not1_b32 vcc_lo, exec_lo, s2
	s_cbranch_vccnz .LBB32_231
; %bb.230:
	scratch_load_b64 v[1:2], v4, off
	ds_load_b64 v[76:77], v3
	s_waitcnt vmcnt(0) lgkmcnt(0)
	v_mul_f64 v[1:2], v[1:2], v[76:77]
	s_cbranch_execz .LBB32_232
	s_branch .LBB32_233
.LBB32_231:
                                        ; implicit-def: $vgpr1_vgpr2
.LBB32_232:
	ds_load_b64 v[1:2], v3
.LBB32_233:
	s_and_saveexec_b32 s4, s1
	s_cbranch_execz .LBB32_237
; %bb.234:
	v_dual_mov_b32 v76, 0 :: v_dual_add_nc_u32 v77, -9, v0
	s_movk_i32 s5, 0x158
	s_mov_b32 s1, 0
	s_delay_alu instid0(VALU_DEP_1)
	v_add_nc_u32_e32 v76, 0x48, v76
.LBB32_235:                             ; =>This Inner Loop Header: Depth=1
	scratch_load_b64 v[78:79], v76, off
	v_dual_mov_b32 v80, s5 :: v_dual_add_nc_u32 v77, -1, v77
	v_add_nc_u32_e32 v76, 8, v76
	s_add_i32 s5, s5, 8
	ds_load_b64 v[80:81], v80
	v_cmp_eq_u32_e32 vcc_lo, 0, v77
	s_or_b32 s1, vcc_lo, s1
	s_waitcnt vmcnt(0) lgkmcnt(0)
	v_fma_f64 v[1:2], v[78:79], v[80:81], v[1:2]
	s_and_not1_b32 exec_lo, exec_lo, s1
	s_cbranch_execnz .LBB32_235
; %bb.236:
	s_or_b32 exec_lo, exec_lo, s1
.LBB32_237:
	s_delay_alu instid0(SALU_CYCLE_1)
	s_or_b32 exec_lo, exec_lo, s4
	v_mov_b32_e32 v76, 0
	ds_load_b64 v[76:77], v76 offset:64
	s_waitcnt lgkmcnt(0)
	v_mul_f64 v[1:2], v[1:2], v[76:77]
	scratch_store_b64 off, v[1:2], off offset:64
.LBB32_238:
	s_or_b32 exec_lo, exec_lo, s3
	scratch_load_b64 v[1:2], off, off offset:56
	v_cmp_lt_u32_e64 s1, 7, v0
	s_waitcnt vmcnt(0)
	ds_store_b64 v3, v[1:2]
	s_waitcnt lgkmcnt(0)
	s_waitcnt_vscnt null, 0x0
	s_barrier
	buffer_gl0_inv
	s_and_saveexec_b32 s3, s1
	s_cbranch_execz .LBB32_248
; %bb.239:
	s_and_not1_b32 vcc_lo, exec_lo, s2
	s_cbranch_vccnz .LBB32_241
; %bb.240:
	scratch_load_b64 v[1:2], v4, off
	ds_load_b64 v[76:77], v3
	s_waitcnt vmcnt(0) lgkmcnt(0)
	v_mul_f64 v[1:2], v[1:2], v[76:77]
	s_cbranch_execz .LBB32_242
	s_branch .LBB32_243
.LBB32_241:
                                        ; implicit-def: $vgpr1_vgpr2
.LBB32_242:
	ds_load_b64 v[1:2], v3
.LBB32_243:
	s_and_saveexec_b32 s4, s0
	s_cbranch_execz .LBB32_247
; %bb.244:
	v_add_nc_u32_e32 v76, -8, v0
	s_movk_i32 s5, 0x150
	s_mov_b32 s0, 0
.LBB32_245:                             ; =>This Inner Loop Header: Depth=1
	scratch_load_b64 v[77:78], v75, off
	v_dual_mov_b32 v79, s5 :: v_dual_add_nc_u32 v76, -1, v76
	v_add_nc_u32_e32 v75, 8, v75
	s_add_i32 s5, s5, 8
	ds_load_b64 v[79:80], v79
	v_cmp_eq_u32_e32 vcc_lo, 0, v76
	s_or_b32 s0, vcc_lo, s0
	s_waitcnt vmcnt(0) lgkmcnt(0)
	v_fma_f64 v[1:2], v[77:78], v[79:80], v[1:2]
	s_and_not1_b32 exec_lo, exec_lo, s0
	s_cbranch_execnz .LBB32_245
; %bb.246:
	s_or_b32 exec_lo, exec_lo, s0
.LBB32_247:
	s_delay_alu instid0(SALU_CYCLE_1)
	s_or_b32 exec_lo, exec_lo, s4
	v_mov_b32_e32 v75, 0
	ds_load_b64 v[75:76], v75 offset:56
	s_waitcnt lgkmcnt(0)
	v_mul_f64 v[1:2], v[1:2], v[75:76]
	scratch_store_b64 off, v[1:2], off offset:56
.LBB32_248:
	s_or_b32 exec_lo, exec_lo, s3
	scratch_load_b64 v[1:2], off, off offset:48
	v_cmp_lt_u32_e64 s0, 6, v0
	s_waitcnt vmcnt(0)
	ds_store_b64 v3, v[1:2]
	s_waitcnt lgkmcnt(0)
	s_waitcnt_vscnt null, 0x0
	s_barrier
	buffer_gl0_inv
	s_and_saveexec_b32 s3, s0
	s_cbranch_execz .LBB32_258
; %bb.249:
	s_and_not1_b32 vcc_lo, exec_lo, s2
	s_cbranch_vccnz .LBB32_251
; %bb.250:
	scratch_load_b64 v[1:2], v4, off
	ds_load_b64 v[75:76], v3
	s_waitcnt vmcnt(0) lgkmcnt(0)
	v_mul_f64 v[1:2], v[1:2], v[75:76]
	s_cbranch_execz .LBB32_252
	s_branch .LBB32_253
.LBB32_251:
                                        ; implicit-def: $vgpr1_vgpr2
.LBB32_252:
	ds_load_b64 v[1:2], v3
.LBB32_253:
	s_and_saveexec_b32 s4, s1
	s_cbranch_execz .LBB32_257
; %bb.254:
	v_add_nc_u32_e64 v75, 0, 56
	v_add_nc_u32_e32 v76, -7, v0
	s_movk_i32 s5, 0x148
	s_mov_b32 s1, 0
.LBB32_255:                             ; =>This Inner Loop Header: Depth=1
	scratch_load_b64 v[77:78], v75, off
	v_dual_mov_b32 v79, s5 :: v_dual_add_nc_u32 v76, -1, v76
	v_add_nc_u32_e32 v75, 8, v75
	s_add_i32 s5, s5, 8
	ds_load_b64 v[79:80], v79
	v_cmp_eq_u32_e32 vcc_lo, 0, v76
	s_or_b32 s1, vcc_lo, s1
	s_waitcnt vmcnt(0) lgkmcnt(0)
	v_fma_f64 v[1:2], v[77:78], v[79:80], v[1:2]
	s_and_not1_b32 exec_lo, exec_lo, s1
	s_cbranch_execnz .LBB32_255
; %bb.256:
	s_or_b32 exec_lo, exec_lo, s1
.LBB32_257:
	s_delay_alu instid0(SALU_CYCLE_1)
	s_or_b32 exec_lo, exec_lo, s4
	v_mov_b32_e32 v75, 0
	ds_load_b64 v[75:76], v75 offset:48
	s_waitcnt lgkmcnt(0)
	v_mul_f64 v[1:2], v[1:2], v[75:76]
	scratch_store_b64 off, v[1:2], off offset:48
.LBB32_258:
	s_or_b32 exec_lo, exec_lo, s3
	scratch_load_b64 v[1:2], off, off offset:40
	v_cmp_lt_u32_e64 s1, 5, v0
	s_waitcnt vmcnt(0)
	ds_store_b64 v3, v[1:2]
	s_waitcnt lgkmcnt(0)
	s_waitcnt_vscnt null, 0x0
	s_barrier
	buffer_gl0_inv
	s_and_saveexec_b32 s3, s1
	s_cbranch_execz .LBB32_268
; %bb.259:
	s_and_not1_b32 vcc_lo, exec_lo, s2
	s_cbranch_vccnz .LBB32_261
; %bb.260:
	scratch_load_b64 v[1:2], v4, off
	ds_load_b64 v[75:76], v3
	s_waitcnt vmcnt(0) lgkmcnt(0)
	v_mul_f64 v[1:2], v[1:2], v[75:76]
	s_cbranch_execz .LBB32_262
	s_branch .LBB32_263
.LBB32_261:
                                        ; implicit-def: $vgpr1_vgpr2
.LBB32_262:
	ds_load_b64 v[1:2], v3
.LBB32_263:
	s_and_saveexec_b32 s4, s0
	s_cbranch_execz .LBB32_267
; %bb.264:
	v_add_nc_u32_e32 v75, -6, v0
	s_movk_i32 s5, 0x140
	s_mov_b32 s0, 0
.LBB32_265:                             ; =>This Inner Loop Header: Depth=1
	scratch_load_b64 v[76:77], v74, off
	v_dual_mov_b32 v78, s5 :: v_dual_add_nc_u32 v75, -1, v75
	v_add_nc_u32_e32 v74, 8, v74
	s_add_i32 s5, s5, 8
	ds_load_b64 v[78:79], v78
	v_cmp_eq_u32_e32 vcc_lo, 0, v75
	s_or_b32 s0, vcc_lo, s0
	s_waitcnt vmcnt(0) lgkmcnt(0)
	v_fma_f64 v[1:2], v[76:77], v[78:79], v[1:2]
	s_and_not1_b32 exec_lo, exec_lo, s0
	s_cbranch_execnz .LBB32_265
; %bb.266:
	s_or_b32 exec_lo, exec_lo, s0
.LBB32_267:
	s_delay_alu instid0(SALU_CYCLE_1)
	s_or_b32 exec_lo, exec_lo, s4
	v_mov_b32_e32 v74, 0
	ds_load_b64 v[74:75], v74 offset:40
	s_waitcnt lgkmcnt(0)
	v_mul_f64 v[1:2], v[1:2], v[74:75]
	scratch_store_b64 off, v[1:2], off offset:40
.LBB32_268:
	s_or_b32 exec_lo, exec_lo, s3
	scratch_load_b64 v[1:2], off, off offset:32
	v_cmp_lt_u32_e64 s0, 4, v0
	s_waitcnt vmcnt(0)
	ds_store_b64 v3, v[1:2]
	s_waitcnt lgkmcnt(0)
	s_waitcnt_vscnt null, 0x0
	s_barrier
	buffer_gl0_inv
	s_and_saveexec_b32 s3, s0
	s_cbranch_execz .LBB32_278
; %bb.269:
	s_and_not1_b32 vcc_lo, exec_lo, s2
	s_cbranch_vccnz .LBB32_271
; %bb.270:
	scratch_load_b64 v[1:2], v4, off
	ds_load_b64 v[74:75], v3
	s_waitcnt vmcnt(0) lgkmcnt(0)
	v_mul_f64 v[1:2], v[1:2], v[74:75]
	s_cbranch_execz .LBB32_272
	s_branch .LBB32_273
.LBB32_271:
                                        ; implicit-def: $vgpr1_vgpr2
.LBB32_272:
	ds_load_b64 v[1:2], v3
.LBB32_273:
	s_and_saveexec_b32 s4, s1
	s_cbranch_execz .LBB32_277
; %bb.274:
	v_add_nc_u32_e64 v74, 0, 40
	v_add_nc_u32_e32 v75, -5, v0
	s_movk_i32 s5, 0x138
	s_mov_b32 s1, 0
.LBB32_275:                             ; =>This Inner Loop Header: Depth=1
	scratch_load_b64 v[76:77], v74, off
	v_dual_mov_b32 v78, s5 :: v_dual_add_nc_u32 v75, -1, v75
	v_add_nc_u32_e32 v74, 8, v74
	s_add_i32 s5, s5, 8
	ds_load_b64 v[78:79], v78
	v_cmp_eq_u32_e32 vcc_lo, 0, v75
	s_or_b32 s1, vcc_lo, s1
	s_waitcnt vmcnt(0) lgkmcnt(0)
	v_fma_f64 v[1:2], v[76:77], v[78:79], v[1:2]
	s_and_not1_b32 exec_lo, exec_lo, s1
	s_cbranch_execnz .LBB32_275
; %bb.276:
	s_or_b32 exec_lo, exec_lo, s1
.LBB32_277:
	s_delay_alu instid0(SALU_CYCLE_1)
	s_or_b32 exec_lo, exec_lo, s4
	v_mov_b32_e32 v74, 0
	ds_load_b64 v[74:75], v74 offset:32
	s_waitcnt lgkmcnt(0)
	v_mul_f64 v[1:2], v[1:2], v[74:75]
	scratch_store_b64 off, v[1:2], off offset:32
.LBB32_278:
	s_or_b32 exec_lo, exec_lo, s3
	scratch_load_b64 v[1:2], off, off offset:24
	v_cmp_lt_u32_e64 s1, 3, v0
	s_waitcnt vmcnt(0)
	ds_store_b64 v3, v[1:2]
	s_waitcnt lgkmcnt(0)
	s_waitcnt_vscnt null, 0x0
	s_barrier
	buffer_gl0_inv
	s_and_saveexec_b32 s3, s1
	s_cbranch_execz .LBB32_288
; %bb.279:
	s_and_not1_b32 vcc_lo, exec_lo, s2
	s_cbranch_vccnz .LBB32_281
; %bb.280:
	scratch_load_b64 v[1:2], v4, off
	ds_load_b64 v[74:75], v3
	s_waitcnt vmcnt(0) lgkmcnt(0)
	v_mul_f64 v[1:2], v[1:2], v[74:75]
	s_cbranch_execz .LBB32_282
	s_branch .LBB32_283
.LBB32_281:
                                        ; implicit-def: $vgpr1_vgpr2
.LBB32_282:
	ds_load_b64 v[1:2], v3
.LBB32_283:
	s_and_saveexec_b32 s4, s0
	s_cbranch_execz .LBB32_287
; %bb.284:
	v_add_nc_u32_e32 v74, -4, v0
	s_movk_i32 s5, 0x130
	s_mov_b32 s0, 0
.LBB32_285:                             ; =>This Inner Loop Header: Depth=1
	scratch_load_b64 v[75:76], v73, off
	v_dual_mov_b32 v77, s5 :: v_dual_add_nc_u32 v74, -1, v74
	v_add_nc_u32_e32 v73, 8, v73
	s_add_i32 s5, s5, 8
	ds_load_b64 v[77:78], v77
	v_cmp_eq_u32_e32 vcc_lo, 0, v74
	s_or_b32 s0, vcc_lo, s0
	s_waitcnt vmcnt(0) lgkmcnt(0)
	v_fma_f64 v[1:2], v[75:76], v[77:78], v[1:2]
	s_and_not1_b32 exec_lo, exec_lo, s0
	s_cbranch_execnz .LBB32_285
; %bb.286:
	s_or_b32 exec_lo, exec_lo, s0
.LBB32_287:
	s_delay_alu instid0(SALU_CYCLE_1)
	s_or_b32 exec_lo, exec_lo, s4
	v_mov_b32_e32 v73, 0
	ds_load_b64 v[73:74], v73 offset:24
	s_waitcnt lgkmcnt(0)
	v_mul_f64 v[1:2], v[1:2], v[73:74]
	scratch_store_b64 off, v[1:2], off offset:24
.LBB32_288:
	s_or_b32 exec_lo, exec_lo, s3
	scratch_load_b64 v[1:2], off, off offset:16
	v_cmp_lt_u32_e64 s0, 2, v0
	s_waitcnt vmcnt(0)
	ds_store_b64 v3, v[1:2]
	s_waitcnt lgkmcnt(0)
	s_waitcnt_vscnt null, 0x0
	s_barrier
	buffer_gl0_inv
	s_and_saveexec_b32 s3, s0
	s_cbranch_execz .LBB32_298
; %bb.289:
	s_and_not1_b32 vcc_lo, exec_lo, s2
	s_cbranch_vccnz .LBB32_291
; %bb.290:
	scratch_load_b64 v[1:2], v4, off
	ds_load_b64 v[73:74], v3
	s_waitcnt vmcnt(0) lgkmcnt(0)
	v_mul_f64 v[1:2], v[1:2], v[73:74]
	s_cbranch_execz .LBB32_292
	s_branch .LBB32_293
.LBB32_291:
                                        ; implicit-def: $vgpr1_vgpr2
.LBB32_292:
	ds_load_b64 v[1:2], v3
.LBB32_293:
	s_and_saveexec_b32 s4, s1
	s_cbranch_execz .LBB32_297
; %bb.294:
	v_add_nc_u32_e64 v73, 0, 24
	v_add_nc_u32_e32 v74, -3, v0
	s_movk_i32 s5, 0x128
	s_mov_b32 s1, 0
.LBB32_295:                             ; =>This Inner Loop Header: Depth=1
	scratch_load_b64 v[75:76], v73, off
	v_dual_mov_b32 v77, s5 :: v_dual_add_nc_u32 v74, -1, v74
	v_add_nc_u32_e32 v73, 8, v73
	s_add_i32 s5, s5, 8
	ds_load_b64 v[77:78], v77
	v_cmp_eq_u32_e32 vcc_lo, 0, v74
	s_or_b32 s1, vcc_lo, s1
	s_waitcnt vmcnt(0) lgkmcnt(0)
	v_fma_f64 v[1:2], v[75:76], v[77:78], v[1:2]
	s_and_not1_b32 exec_lo, exec_lo, s1
	s_cbranch_execnz .LBB32_295
; %bb.296:
	s_or_b32 exec_lo, exec_lo, s1
.LBB32_297:
	s_delay_alu instid0(SALU_CYCLE_1)
	s_or_b32 exec_lo, exec_lo, s4
	v_mov_b32_e32 v73, 0
	ds_load_b64 v[73:74], v73 offset:16
	s_waitcnt lgkmcnt(0)
	v_mul_f64 v[1:2], v[1:2], v[73:74]
	scratch_store_b64 off, v[1:2], off offset:16
.LBB32_298:
	s_or_b32 exec_lo, exec_lo, s3
	scratch_load_b64 v[1:2], off, off offset:8
	v_cmp_lt_u32_e64 s1, 1, v0
	s_waitcnt vmcnt(0)
	ds_store_b64 v3, v[1:2]
	s_waitcnt lgkmcnt(0)
	s_waitcnt_vscnt null, 0x0
	s_barrier
	buffer_gl0_inv
	s_and_saveexec_b32 s3, s1
	s_cbranch_execz .LBB32_308
; %bb.299:
	s_and_not1_b32 vcc_lo, exec_lo, s2
	s_cbranch_vccnz .LBB32_301
; %bb.300:
	scratch_load_b64 v[1:2], v4, off
	ds_load_b64 v[73:74], v3
	s_waitcnt vmcnt(0) lgkmcnt(0)
	v_mul_f64 v[1:2], v[1:2], v[73:74]
	s_cbranch_execz .LBB32_302
	s_branch .LBB32_303
.LBB32_301:
                                        ; implicit-def: $vgpr1_vgpr2
.LBB32_302:
	ds_load_b64 v[1:2], v3
.LBB32_303:
	s_and_saveexec_b32 s4, s0
	s_cbranch_execz .LBB32_307
; %bb.304:
	v_add_nc_u32_e32 v73, -2, v0
	s_movk_i32 s5, 0x120
	s_mov_b32 s0, 0
.LBB32_305:                             ; =>This Inner Loop Header: Depth=1
	scratch_load_b64 v[74:75], v72, off
	v_dual_mov_b32 v76, s5 :: v_dual_add_nc_u32 v73, -1, v73
	v_add_nc_u32_e32 v72, 8, v72
	s_add_i32 s5, s5, 8
	ds_load_b64 v[76:77], v76
	v_cmp_eq_u32_e32 vcc_lo, 0, v73
	s_or_b32 s0, vcc_lo, s0
	s_waitcnt vmcnt(0) lgkmcnt(0)
	v_fma_f64 v[1:2], v[74:75], v[76:77], v[1:2]
	s_and_not1_b32 exec_lo, exec_lo, s0
	s_cbranch_execnz .LBB32_305
; %bb.306:
	s_or_b32 exec_lo, exec_lo, s0
.LBB32_307:
	s_delay_alu instid0(SALU_CYCLE_1)
	s_or_b32 exec_lo, exec_lo, s4
	v_mov_b32_e32 v72, 0
	ds_load_b64 v[72:73], v72 offset:8
	s_waitcnt lgkmcnt(0)
	v_mul_f64 v[1:2], v[1:2], v[72:73]
	scratch_store_b64 off, v[1:2], off offset:8
.LBB32_308:
	s_or_b32 exec_lo, exec_lo, s3
	scratch_load_b64 v[1:2], off, off
	s_mov_b32 s0, 0
	s_mov_b32 s3, exec_lo
	s_waitcnt vmcnt(0)
	ds_store_b64 v3, v[1:2]
	s_waitcnt lgkmcnt(0)
	s_waitcnt_vscnt null, 0x0
	s_barrier
	buffer_gl0_inv
	v_cmpx_ne_u32_e32 0, v0
	s_cbranch_execz .LBB32_318
; %bb.309:
	s_and_not1_b32 vcc_lo, exec_lo, s2
	s_cbranch_vccnz .LBB32_311
; %bb.310:
	scratch_load_b64 v[1:2], v4, off
	ds_load_b64 v[72:73], v3
	s_waitcnt vmcnt(0) lgkmcnt(0)
	v_mul_f64 v[1:2], v[1:2], v[72:73]
	s_cbranch_execz .LBB32_312
	s_branch .LBB32_313
.LBB32_311:
                                        ; implicit-def: $vgpr1_vgpr2
.LBB32_312:
	ds_load_b64 v[1:2], v3
.LBB32_313:
	s_and_saveexec_b32 s4, s1
	s_cbranch_execz .LBB32_317
; %bb.314:
	v_or_b32_e64 v72, 0, 8
	v_add_nc_u32_e32 v73, -1, v0
	s_movk_i32 s5, 0x118
	s_mov_b32 s1, 0
.LBB32_315:                             ; =>This Inner Loop Header: Depth=1
	scratch_load_b64 v[74:75], v72, off
	v_dual_mov_b32 v76, s5 :: v_dual_add_nc_u32 v73, -1, v73
	v_add_nc_u32_e32 v72, 8, v72
	s_add_i32 s5, s5, 8
	ds_load_b64 v[76:77], v76
	v_cmp_eq_u32_e32 vcc_lo, 0, v73
	s_or_b32 s1, vcc_lo, s1
	s_waitcnt vmcnt(0) lgkmcnt(0)
	v_fma_f64 v[1:2], v[74:75], v[76:77], v[1:2]
	s_and_not1_b32 exec_lo, exec_lo, s1
	s_cbranch_execnz .LBB32_315
; %bb.316:
	s_or_b32 exec_lo, exec_lo, s1
.LBB32_317:
	s_delay_alu instid0(SALU_CYCLE_1)
	s_or_b32 exec_lo, exec_lo, s4
	v_mov_b32_e32 v72, 0
	ds_load_b64 v[72:73], v72
	s_waitcnt lgkmcnt(0)
	v_mul_f64 v[1:2], v[1:2], v[72:73]
	scratch_store_b64 off, v[1:2], off
.LBB32_318:
	s_or_b32 exec_lo, exec_lo, s3
.LBB32_319:
	s_delay_alu instid0(SALU_CYCLE_1)
	s_and_b32 vcc_lo, exec_lo, s0
	s_cbranch_vccz .LBB32_635
; %bb.320:
	scratch_load_b64 v[1:2], off, off offset:8
	v_cmp_eq_u32_e64 s0, 0, v0
	s_waitcnt vmcnt(0)
	ds_store_b64 v3, v[1:2]
	s_waitcnt lgkmcnt(0)
	s_waitcnt_vscnt null, 0x0
	s_barrier
	buffer_gl0_inv
	s_and_saveexec_b32 s1, s0
	s_cbranch_execz .LBB32_326
; %bb.321:
	s_and_b32 vcc_lo, exec_lo, s2
	s_cbranch_vccz .LBB32_323
; %bb.322:
	scratch_load_b64 v[1:2], v4, off
	ds_load_b64 v[72:73], v3
	s_waitcnt vmcnt(0) lgkmcnt(0)
	v_mul_f64 v[1:2], v[1:2], v[72:73]
	s_cbranch_execz .LBB32_324
	s_branch .LBB32_325
.LBB32_323:
                                        ; implicit-def: $vgpr1_vgpr2
.LBB32_324:
	ds_load_b64 v[1:2], v3
.LBB32_325:
	v_mov_b32_e32 v72, 0
	ds_load_b64 v[72:73], v72 offset:8
	s_waitcnt lgkmcnt(0)
	v_mul_f64 v[1:2], v[1:2], v[72:73]
	scratch_store_b64 off, v[1:2], off offset:8
.LBB32_326:
	s_or_b32 exec_lo, exec_lo, s1
	scratch_load_b64 v[1:2], off, off offset:16
	v_cndmask_b32_e64 v72, 0, 1, s2
	s_mov_b32 s1, exec_lo
	s_waitcnt vmcnt(0)
	ds_store_b64 v3, v[1:2]
	s_waitcnt lgkmcnt(0)
	s_waitcnt_vscnt null, 0x0
	s_barrier
	buffer_gl0_inv
	v_cmpx_gt_u32_e32 2, v0
	s_cbranch_execz .LBB32_334
; %bb.327:
	s_and_not1_b32 vcc_lo, exec_lo, s2
	s_cbranch_vccnz .LBB32_329
; %bb.328:
	scratch_load_b64 v[1:2], v4, off
	ds_load_b64 v[73:74], v3
	s_waitcnt vmcnt(0) lgkmcnt(0)
	v_mul_f64 v[1:2], v[1:2], v[73:74]
	s_cbranch_execz .LBB32_330
	s_branch .LBB32_331
.LBB32_329:
                                        ; implicit-def: $vgpr1_vgpr2
.LBB32_330:
	ds_load_b64 v[1:2], v3
.LBB32_331:
	s_and_saveexec_b32 s2, s0
	s_cbranch_execz .LBB32_333
; %bb.332:
	scratch_load_b64 v[73:74], v4, off offset:8
	ds_load_b64 v[75:76], v3 offset:8
	s_waitcnt vmcnt(0) lgkmcnt(0)
	v_fma_f64 v[1:2], v[73:74], v[75:76], v[1:2]
.LBB32_333:
	s_or_b32 exec_lo, exec_lo, s2
	v_mov_b32_e32 v73, 0
	ds_load_b64 v[73:74], v73 offset:16
	s_waitcnt lgkmcnt(0)
	v_mul_f64 v[1:2], v[1:2], v[73:74]
	scratch_store_b64 off, v[1:2], off offset:16
.LBB32_334:
	s_or_b32 exec_lo, exec_lo, s1
	scratch_load_b64 v[1:2], off, off offset:24
	s_mov_b32 s1, exec_lo
	s_waitcnt vmcnt(0)
	ds_store_b64 v3, v[1:2]
	s_waitcnt lgkmcnt(0)
	s_waitcnt_vscnt null, 0x0
	s_barrier
	buffer_gl0_inv
	v_cmpx_gt_u32_e32 3, v0
	s_cbranch_execz .LBB32_344
; %bb.335:
	v_cmp_ne_u32_e32 vcc_lo, 1, v72
	s_cbranch_vccnz .LBB32_337
; %bb.336:
	scratch_load_b64 v[1:2], v4, off
	ds_load_b64 v[73:74], v3
	s_waitcnt vmcnt(0) lgkmcnt(0)
	v_mul_f64 v[1:2], v[1:2], v[73:74]
	s_cbranch_execz .LBB32_338
	s_branch .LBB32_339
.LBB32_337:
                                        ; implicit-def: $vgpr1_vgpr2
.LBB32_338:
	ds_load_b64 v[1:2], v3
.LBB32_339:
	s_mov_b32 s2, exec_lo
	v_cmpx_ne_u32_e32 2, v0
	s_cbranch_execz .LBB32_343
; %bb.340:
	scratch_load_b64 v[73:74], v4, off offset:8
	ds_load_b64 v[75:76], v3 offset:8
	s_waitcnt vmcnt(0) lgkmcnt(0)
	v_fma_f64 v[1:2], v[73:74], v[75:76], v[1:2]
	s_and_saveexec_b32 s3, s0
	s_cbranch_execz .LBB32_342
; %bb.341:
	scratch_load_b64 v[73:74], off, off offset:16
	v_mov_b32_e32 v75, 0
	ds_load_b64 v[75:76], v75 offset:288
	s_waitcnt vmcnt(0) lgkmcnt(0)
	v_fma_f64 v[1:2], v[73:74], v[75:76], v[1:2]
.LBB32_342:
	s_or_b32 exec_lo, exec_lo, s3
.LBB32_343:
	s_delay_alu instid0(SALU_CYCLE_1)
	s_or_b32 exec_lo, exec_lo, s2
	v_mov_b32_e32 v73, 0
	ds_load_b64 v[73:74], v73 offset:24
	s_waitcnt lgkmcnt(0)
	v_mul_f64 v[1:2], v[1:2], v[73:74]
	scratch_store_b64 off, v[1:2], off offset:24
.LBB32_344:
	s_or_b32 exec_lo, exec_lo, s1
	scratch_load_b64 v[1:2], off, off offset:32
	s_mov_b32 s0, exec_lo
	s_waitcnt vmcnt(0)
	ds_store_b64 v3, v[1:2]
	s_waitcnt lgkmcnt(0)
	s_waitcnt_vscnt null, 0x0
	s_barrier
	buffer_gl0_inv
	v_cmpx_gt_u32_e32 4, v0
	s_cbranch_execz .LBB32_354
; %bb.345:
	v_cmp_ne_u32_e32 vcc_lo, 1, v72
	s_cbranch_vccnz .LBB32_347
; %bb.346:
	scratch_load_b64 v[1:2], v4, off
	ds_load_b64 v[73:74], v3
	s_waitcnt vmcnt(0) lgkmcnt(0)
	v_mul_f64 v[1:2], v[1:2], v[73:74]
	s_cbranch_execz .LBB32_348
	s_branch .LBB32_349
.LBB32_347:
                                        ; implicit-def: $vgpr1_vgpr2
.LBB32_348:
	ds_load_b64 v[1:2], v3
.LBB32_349:
	s_mov_b32 s1, exec_lo
	v_cmpx_ne_u32_e32 3, v0
	s_cbranch_execz .LBB32_353
; %bb.350:
	v_add_nc_u32_e32 v73, 0x118, v71
	v_add3_u32 v74, 0, v71, 8
	v_mov_b32_e32 v75, v0
	s_mov_b32 s2, 0
.LBB32_351:                             ; =>This Inner Loop Header: Depth=1
	scratch_load_b64 v[76:77], v74, off
	ds_load_b64 v[78:79], v73
	v_add_nc_u32_e32 v75, 1, v75
	v_add_nc_u32_e32 v73, 8, v73
	v_add_nc_u32_e32 v74, 8, v74
	s_delay_alu instid0(VALU_DEP_3)
	v_cmp_lt_u32_e32 vcc_lo, 2, v75
	s_or_b32 s2, vcc_lo, s2
	s_waitcnt vmcnt(0) lgkmcnt(0)
	v_fma_f64 v[1:2], v[76:77], v[78:79], v[1:2]
	s_and_not1_b32 exec_lo, exec_lo, s2
	s_cbranch_execnz .LBB32_351
; %bb.352:
	s_or_b32 exec_lo, exec_lo, s2
.LBB32_353:
	s_delay_alu instid0(SALU_CYCLE_1)
	s_or_b32 exec_lo, exec_lo, s1
	v_mov_b32_e32 v73, 0
	ds_load_b64 v[73:74], v73 offset:32
	s_waitcnt lgkmcnt(0)
	v_mul_f64 v[1:2], v[1:2], v[73:74]
	scratch_store_b64 off, v[1:2], off offset:32
.LBB32_354:
	s_or_b32 exec_lo, exec_lo, s0
	scratch_load_b64 v[1:2], off, off offset:40
	s_mov_b32 s0, exec_lo
	s_waitcnt vmcnt(0)
	ds_store_b64 v3, v[1:2]
	s_waitcnt lgkmcnt(0)
	s_waitcnt_vscnt null, 0x0
	s_barrier
	buffer_gl0_inv
	v_cmpx_gt_u32_e32 5, v0
	s_cbranch_execz .LBB32_364
; %bb.355:
	v_cmp_ne_u32_e32 vcc_lo, 1, v72
	s_cbranch_vccnz .LBB32_357
; %bb.356:
	scratch_load_b64 v[1:2], v4, off
	ds_load_b64 v[73:74], v3
	s_waitcnt vmcnt(0) lgkmcnt(0)
	v_mul_f64 v[1:2], v[1:2], v[73:74]
	s_cbranch_execz .LBB32_358
	s_branch .LBB32_359
.LBB32_357:
                                        ; implicit-def: $vgpr1_vgpr2
.LBB32_358:
	ds_load_b64 v[1:2], v3
.LBB32_359:
	s_mov_b32 s1, exec_lo
	v_cmpx_ne_u32_e32 4, v0
	s_cbranch_execz .LBB32_363
; %bb.360:
	v_add_nc_u32_e32 v73, 0x118, v71
	v_add3_u32 v74, 0, v71, 8
	v_mov_b32_e32 v75, v0
	s_mov_b32 s2, 0
.LBB32_361:                             ; =>This Inner Loop Header: Depth=1
	scratch_load_b64 v[76:77], v74, off
	ds_load_b64 v[78:79], v73
	v_add_nc_u32_e32 v75, 1, v75
	v_add_nc_u32_e32 v73, 8, v73
	v_add_nc_u32_e32 v74, 8, v74
	s_delay_alu instid0(VALU_DEP_3)
	v_cmp_lt_u32_e32 vcc_lo, 3, v75
	s_or_b32 s2, vcc_lo, s2
	s_waitcnt vmcnt(0) lgkmcnt(0)
	v_fma_f64 v[1:2], v[76:77], v[78:79], v[1:2]
	s_and_not1_b32 exec_lo, exec_lo, s2
	s_cbranch_execnz .LBB32_361
; %bb.362:
	s_or_b32 exec_lo, exec_lo, s2
.LBB32_363:
	s_delay_alu instid0(SALU_CYCLE_1)
	s_or_b32 exec_lo, exec_lo, s1
	v_mov_b32_e32 v73, 0
	ds_load_b64 v[73:74], v73 offset:40
	s_waitcnt lgkmcnt(0)
	v_mul_f64 v[1:2], v[1:2], v[73:74]
	scratch_store_b64 off, v[1:2], off offset:40
.LBB32_364:
	;; [unrolled: 58-line block ×27, first 2 shown]
	s_or_b32 exec_lo, exec_lo, s0
	scratch_load_b64 v[1:2], off, off offset:248
	v_cmp_gt_u32_e64 s0, 31, v0
	s_waitcnt vmcnt(0)
	ds_store_b64 v3, v[1:2]
	s_waitcnt lgkmcnt(0)
	s_waitcnt_vscnt null, 0x0
	s_barrier
	buffer_gl0_inv
	s_and_saveexec_b32 s1, s0
	s_cbranch_execz .LBB32_624
; %bb.615:
	v_cmp_ne_u32_e32 vcc_lo, 1, v72
	s_cbranch_vccnz .LBB32_617
; %bb.616:
	scratch_load_b64 v[1:2], v4, off
	ds_load_b64 v[73:74], v3
	s_waitcnt vmcnt(0) lgkmcnt(0)
	v_mul_f64 v[1:2], v[1:2], v[73:74]
	s_cbranch_execz .LBB32_618
	s_branch .LBB32_619
.LBB32_617:
                                        ; implicit-def: $vgpr1_vgpr2
.LBB32_618:
	ds_load_b64 v[1:2], v3
.LBB32_619:
	s_mov_b32 s2, exec_lo
	v_cmpx_ne_u32_e32 30, v0
	s_cbranch_execz .LBB32_623
; %bb.620:
	v_add_nc_u32_e32 v73, 0x118, v71
	v_add3_u32 v74, 0, v71, 8
	v_mov_b32_e32 v75, v0
	s_mov_b32 s3, 0
.LBB32_621:                             ; =>This Inner Loop Header: Depth=1
	scratch_load_b64 v[76:77], v74, off
	ds_load_b64 v[78:79], v73
	v_add_nc_u32_e32 v75, 1, v75
	v_add_nc_u32_e32 v73, 8, v73
	;; [unrolled: 1-line block ×3, first 2 shown]
	s_delay_alu instid0(VALU_DEP_3)
	v_cmp_lt_u32_e32 vcc_lo, 29, v75
	s_or_b32 s3, vcc_lo, s3
	s_waitcnt vmcnt(0) lgkmcnt(0)
	v_fma_f64 v[1:2], v[76:77], v[78:79], v[1:2]
	s_and_not1_b32 exec_lo, exec_lo, s3
	s_cbranch_execnz .LBB32_621
; %bb.622:
	s_or_b32 exec_lo, exec_lo, s3
.LBB32_623:
	s_delay_alu instid0(SALU_CYCLE_1)
	s_or_b32 exec_lo, exec_lo, s2
	v_mov_b32_e32 v73, 0
	ds_load_b64 v[73:74], v73 offset:248
	s_waitcnt lgkmcnt(0)
	v_mul_f64 v[1:2], v[1:2], v[73:74]
	scratch_store_b64 off, v[1:2], off offset:248
.LBB32_624:
	s_or_b32 exec_lo, exec_lo, s1
	scratch_load_b64 v[1:2], off, off offset:256
	s_mov_b32 s1, exec_lo
	s_waitcnt vmcnt(0)
	ds_store_b64 v3, v[1:2]
	s_waitcnt lgkmcnt(0)
	s_waitcnt_vscnt null, 0x0
	s_barrier
	buffer_gl0_inv
	v_cmpx_ne_u32_e32 32, v0
	s_cbranch_execz .LBB32_634
; %bb.625:
	v_cmp_ne_u32_e32 vcc_lo, 1, v72
	s_cbranch_vccnz .LBB32_627
; %bb.626:
	scratch_load_b64 v[1:2], v4, off
	ds_load_b64 v[72:73], v3
	s_waitcnt vmcnt(0) lgkmcnt(0)
	v_mul_f64 v[1:2], v[1:2], v[72:73]
	s_cbranch_execz .LBB32_628
	s_branch .LBB32_629
.LBB32_627:
                                        ; implicit-def: $vgpr1_vgpr2
.LBB32_628:
	ds_load_b64 v[1:2], v3
.LBB32_629:
	s_and_saveexec_b32 s2, s0
	s_cbranch_execz .LBB32_633
; %bb.630:
	v_add_nc_u32_e32 v3, 0x118, v71
	v_add3_u32 v4, 0, v71, 8
	s_mov_b32 s0, 0
.LBB32_631:                             ; =>This Inner Loop Header: Depth=1
	scratch_load_b64 v[71:72], v4, off
	ds_load_b64 v[73:74], v3
	v_add_nc_u32_e32 v0, 1, v0
	v_add_nc_u32_e32 v3, 8, v3
	;; [unrolled: 1-line block ×3, first 2 shown]
	s_delay_alu instid0(VALU_DEP_3)
	v_cmp_lt_u32_e32 vcc_lo, 30, v0
	s_or_b32 s0, vcc_lo, s0
	s_waitcnt vmcnt(0) lgkmcnt(0)
	v_fma_f64 v[1:2], v[71:72], v[73:74], v[1:2]
	s_and_not1_b32 exec_lo, exec_lo, s0
	s_cbranch_execnz .LBB32_631
; %bb.632:
	s_or_b32 exec_lo, exec_lo, s0
.LBB32_633:
	s_delay_alu instid0(SALU_CYCLE_1)
	s_or_b32 exec_lo, exec_lo, s2
	v_mov_b32_e32 v0, 0
	ds_load_b64 v[3:4], v0 offset:256
	s_waitcnt lgkmcnt(0)
	v_mul_f64 v[0:1], v[1:2], v[3:4]
	scratch_store_b64 off, v[0:1], off offset:256
.LBB32_634:
	s_or_b32 exec_lo, exec_lo, s1
.LBB32_635:
	s_clause 0x6
	scratch_load_b128 v[0:3], off, off
	scratch_load_b128 v[71:74], off, off offset:16
	scratch_load_b128 v[75:78], off, off offset:32
	;; [unrolled: 1-line block ×6, first 2 shown]
	s_waitcnt vmcnt(6)
	s_clause 0x1
	global_store_b64 v[15:16], v[0:1], off
	global_store_b64 v[17:18], v[2:3], off
	scratch_load_b128 v[0:3], off, off offset:112
	s_waitcnt vmcnt(6)
	s_clause 0x1
	global_store_b64 v[9:10], v[71:72], off
	global_store_b64 v[5:6], v[73:74], off
	s_waitcnt vmcnt(5)
	s_clause 0x1
	global_store_b64 v[7:8], v[75:76], off
	global_store_b64 v[11:12], v[77:78], off
	;; [unrolled: 4-line block ×4, first 2 shown]
	s_clause 0x8
	scratch_load_b128 v[15:18], off, off offset:128
	scratch_load_b128 v[71:74], off, off offset:144
	;; [unrolled: 1-line block ×8, first 2 shown]
	scratch_load_b64 v[12:13], off, off offset:256
	s_waitcnt vmcnt(11)
	s_clause 0x1
	global_store_b64 v[25:26], v[87:88], off
	global_store_b64 v[27:28], v[89:90], off
	s_waitcnt vmcnt(10)
	s_clause 0x1
	global_store_b64 v[29:30], v[91:92], off
	global_store_b64 v[31:32], v[93:94], off
	s_waitcnt vmcnt(9)
	s_clause 0x1
	global_store_b64 v[33:34], v[0:1], off
	global_store_b64 v[35:36], v[2:3], off
	s_waitcnt vmcnt(8)
	s_clause 0x1
	global_store_b64 v[37:38], v[15:16], off
	global_store_b64 v[39:40], v[17:18], off
	s_waitcnt vmcnt(7)
	s_clause 0x1
	global_store_b64 v[41:42], v[71:72], off
	global_store_b64 v[43:44], v[73:74], off
	s_waitcnt vmcnt(6)
	s_clause 0x1
	global_store_b64 v[45:46], v[4:5], off
	global_store_b64 v[47:48], v[6:7], off
	s_waitcnt vmcnt(5)
	s_clause 0x1
	global_store_b64 v[49:50], v[8:9], off
	global_store_b64 v[51:52], v[10:11], off
	s_waitcnt vmcnt(4)
	s_clause 0x1
	global_store_b64 v[53:54], v[75:76], off
	global_store_b64 v[55:56], v[77:78], off
	s_waitcnt vmcnt(3)
	s_clause 0x1
	global_store_b64 v[57:58], v[21:22], off
	global_store_b64 v[59:60], v[23:24], off
	s_waitcnt vmcnt(2)
	s_clause 0x1
	global_store_b64 v[61:62], v[79:80], off
	global_store_b64 v[63:64], v[81:82], off
	s_waitcnt vmcnt(1)
	s_clause 0x1
	global_store_b64 v[65:66], v[83:84], off
	global_store_b64 v[67:68], v[85:86], off
	s_waitcnt vmcnt(0)
	global_store_b64 v[69:70], v[12:13], off
.LBB32_636:
	s_endpgm
	.section	.rodata,"a",@progbits
	.p2align	6, 0x0
	.amdhsa_kernel _ZN9rocsolver6v33100L18trti2_kernel_smallILi33EdPdEEv13rocblas_fill_17rocblas_diagonal_T1_iil
		.amdhsa_group_segment_fixed_size 536
		.amdhsa_private_segment_fixed_size 272
		.amdhsa_kernarg_size 32
		.amdhsa_user_sgpr_count 15
		.amdhsa_user_sgpr_dispatch_ptr 0
		.amdhsa_user_sgpr_queue_ptr 0
		.amdhsa_user_sgpr_kernarg_segment_ptr 1
		.amdhsa_user_sgpr_dispatch_id 0
		.amdhsa_user_sgpr_private_segment_size 0
		.amdhsa_wavefront_size32 1
		.amdhsa_uses_dynamic_stack 0
		.amdhsa_enable_private_segment 1
		.amdhsa_system_sgpr_workgroup_id_x 1
		.amdhsa_system_sgpr_workgroup_id_y 0
		.amdhsa_system_sgpr_workgroup_id_z 0
		.amdhsa_system_sgpr_workgroup_info 0
		.amdhsa_system_vgpr_workitem_id 0
		.amdhsa_next_free_vgpr 95
		.amdhsa_next_free_sgpr 16
		.amdhsa_reserve_vcc 1
		.amdhsa_float_round_mode_32 0
		.amdhsa_float_round_mode_16_64 0
		.amdhsa_float_denorm_mode_32 3
		.amdhsa_float_denorm_mode_16_64 3
		.amdhsa_dx10_clamp 1
		.amdhsa_ieee_mode 1
		.amdhsa_fp16_overflow 0
		.amdhsa_workgroup_processor_mode 1
		.amdhsa_memory_ordered 1
		.amdhsa_forward_progress 0
		.amdhsa_shared_vgpr_count 0
		.amdhsa_exception_fp_ieee_invalid_op 0
		.amdhsa_exception_fp_denorm_src 0
		.amdhsa_exception_fp_ieee_div_zero 0
		.amdhsa_exception_fp_ieee_overflow 0
		.amdhsa_exception_fp_ieee_underflow 0
		.amdhsa_exception_fp_ieee_inexact 0
		.amdhsa_exception_int_div_zero 0
	.end_amdhsa_kernel
	.section	.text._ZN9rocsolver6v33100L18trti2_kernel_smallILi33EdPdEEv13rocblas_fill_17rocblas_diagonal_T1_iil,"axG",@progbits,_ZN9rocsolver6v33100L18trti2_kernel_smallILi33EdPdEEv13rocblas_fill_17rocblas_diagonal_T1_iil,comdat
.Lfunc_end32:
	.size	_ZN9rocsolver6v33100L18trti2_kernel_smallILi33EdPdEEv13rocblas_fill_17rocblas_diagonal_T1_iil, .Lfunc_end32-_ZN9rocsolver6v33100L18trti2_kernel_smallILi33EdPdEEv13rocblas_fill_17rocblas_diagonal_T1_iil
                                        ; -- End function
	.section	.AMDGPU.csdata,"",@progbits
; Kernel info:
; codeLenInByte = 17844
; NumSgprs: 18
; NumVgprs: 95
; ScratchSize: 272
; MemoryBound: 0
; FloatMode: 240
; IeeeMode: 1
; LDSByteSize: 536 bytes/workgroup (compile time only)
; SGPRBlocks: 2
; VGPRBlocks: 11
; NumSGPRsForWavesPerEU: 18
; NumVGPRsForWavesPerEU: 95
; Occupancy: 16
; WaveLimiterHint : 0
; COMPUTE_PGM_RSRC2:SCRATCH_EN: 1
; COMPUTE_PGM_RSRC2:USER_SGPR: 15
; COMPUTE_PGM_RSRC2:TRAP_HANDLER: 0
; COMPUTE_PGM_RSRC2:TGID_X_EN: 1
; COMPUTE_PGM_RSRC2:TGID_Y_EN: 0
; COMPUTE_PGM_RSRC2:TGID_Z_EN: 0
; COMPUTE_PGM_RSRC2:TIDIG_COMP_CNT: 0
	.section	.text._ZN9rocsolver6v33100L18trti2_kernel_smallILi34EdPdEEv13rocblas_fill_17rocblas_diagonal_T1_iil,"axG",@progbits,_ZN9rocsolver6v33100L18trti2_kernel_smallILi34EdPdEEv13rocblas_fill_17rocblas_diagonal_T1_iil,comdat
	.globl	_ZN9rocsolver6v33100L18trti2_kernel_smallILi34EdPdEEv13rocblas_fill_17rocblas_diagonal_T1_iil ; -- Begin function _ZN9rocsolver6v33100L18trti2_kernel_smallILi34EdPdEEv13rocblas_fill_17rocblas_diagonal_T1_iil
	.p2align	8
	.type	_ZN9rocsolver6v33100L18trti2_kernel_smallILi34EdPdEEv13rocblas_fill_17rocblas_diagonal_T1_iil,@function
_ZN9rocsolver6v33100L18trti2_kernel_smallILi34EdPdEEv13rocblas_fill_17rocblas_diagonal_T1_iil: ; @_ZN9rocsolver6v33100L18trti2_kernel_smallILi34EdPdEEv13rocblas_fill_17rocblas_diagonal_T1_iil
; %bb.0:
	s_mov_b32 s2, exec_lo
	v_cmpx_gt_u32_e32 34, v0
	s_cbranch_execz .LBB33_656
; %bb.1:
	s_load_b256 s[0:7], s[0:1], 0x0
	s_ashr_i32 s10, s15, 31
	v_lshlrev_b32_e32 v71, 3, v0
	s_waitcnt lgkmcnt(0)
	s_ashr_i32 s9, s4, 31
	s_mov_b32 s8, s4
	s_mul_i32 s4, s15, s7
	s_mul_hi_u32 s7, s15, s6
	s_mul_i32 s11, s10, s6
	s_add_i32 s4, s7, s4
	s_mul_i32 s6, s15, s6
	s_add_i32 s7, s4, s11
	v_add3_u32 v1, s5, s5, v0
	s_lshl_b64 s[6:7], s[6:7], 3
	s_mov_b32 s10, s5
	s_add_u32 s4, s2, s6
	s_addc_u32 s6, s3, s7
	s_lshl_b64 s[2:3], s[8:9], 3
	v_add_nc_u32_e32 v3, s5, v1
	s_add_u32 s2, s4, s2
	s_addc_u32 s3, s6, s3
	v_add_co_u32 v11, s4, s2, v71
	v_ashrrev_i32_e32 v2, 31, v1
	s_ashr_i32 s11, s5, 31
	v_add_nc_u32_e32 v5, s5, v3
	v_add_co_ci_u32_e64 v12, null, s3, 0, s4
	s_lshl_b64 s[6:7], s[10:11], 3
	v_ashrrev_i32_e32 v4, 31, v3
	v_add_co_u32 v15, vcc_lo, v11, s6
	v_lshlrev_b64 v[1:2], 3, v[1:2]
	v_add_co_ci_u32_e32 v16, vcc_lo, s7, v12, vcc_lo
	v_add_nc_u32_e32 v7, s5, v5
	v_lshlrev_b64 v[3:4], 3, v[3:4]
	v_ashrrev_i32_e32 v6, 31, v5
	s_clause 0x1
	global_load_b64 v[19:20], v71, s[2:3]
	global_load_b64 v[21:22], v[15:16], off
	v_add_co_u32 v9, vcc_lo, s2, v1
	v_ashrrev_i32_e32 v8, 31, v7
	v_add_co_ci_u32_e32 v10, vcc_lo, s3, v2, vcc_lo
	v_lshlrev_b64 v[1:2], 3, v[5:6]
	v_add_nc_u32_e32 v5, s5, v7
	v_add_co_u32 v13, vcc_lo, s2, v3
	v_add_co_ci_u32_e32 v14, vcc_lo, s3, v4, vcc_lo
	v_lshlrev_b64 v[3:4], 3, v[7:8]
	s_delay_alu instid0(VALU_DEP_4)
	v_add_nc_u32_e32 v17, s5, v5
	v_add_co_u32 v1, vcc_lo, s2, v1
	v_ashrrev_i32_e32 v6, 31, v5
	v_add_co_ci_u32_e32 v2, vcc_lo, s3, v2, vcc_lo
	v_add_co_u32 v3, vcc_lo, s2, v3
	v_ashrrev_i32_e32 v18, 31, v17
	v_add_co_ci_u32_e32 v4, vcc_lo, s3, v4, vcc_lo
	v_lshlrev_b64 v[5:6], 3, v[5:6]
	s_clause 0x3
	global_load_b64 v[27:28], v[9:10], off
	global_load_b64 v[29:30], v[13:14], off
	;; [unrolled: 1-line block ×4, first 2 shown]
	v_lshlrev_b64 v[7:8], 3, v[17:18]
	v_add_nc_u32_e32 v17, s5, v17
	s_cmpk_lg_i32 s1, 0x84
	v_add_co_u32 v5, vcc_lo, s2, v5
	v_add_co_ci_u32_e32 v6, vcc_lo, s3, v6, vcc_lo
	s_delay_alu instid0(VALU_DEP_4)
	v_add_co_u32 v7, vcc_lo, s2, v7
	v_add_co_ci_u32_e32 v8, vcc_lo, s3, v8, vcc_lo
	s_clause 0x1
	global_load_b64 v[39:40], v[5:6], off
	global_load_b64 v[41:42], v[7:8], off
	v_add_nc_u32_e32 v23, s5, v17
	v_ashrrev_i32_e32 v18, 31, v17
	s_delay_alu instid0(VALU_DEP_2) | instskip(NEXT) | instid1(VALU_DEP_2)
	v_add_nc_u32_e32 v25, s5, v23
	v_lshlrev_b64 v[17:18], 3, v[17:18]
	v_ashrrev_i32_e32 v24, 31, v23
	s_delay_alu instid0(VALU_DEP_3) | instskip(SKIP_1) | instid1(VALU_DEP_3)
	v_add_nc_u32_e32 v45, s5, v25
	v_ashrrev_i32_e32 v26, 31, v25
	v_lshlrev_b64 v[23:24], 3, v[23:24]
	s_delay_alu instid0(VALU_DEP_3) | instskip(SKIP_1) | instid1(VALU_DEP_4)
	v_add_nc_u32_e32 v47, s5, v45
	v_ashrrev_i32_e32 v46, 31, v45
	v_lshlrev_b64 v[25:26], 3, v[25:26]
	s_delay_alu instid0(VALU_DEP_3) | instskip(SKIP_1) | instid1(VALU_DEP_2)
	v_add_nc_u32_e32 v49, s5, v47
	v_ashrrev_i32_e32 v48, 31, v47
	v_add_nc_u32_e32 v55, s5, v49
	v_ashrrev_i32_e32 v50, 31, v49
	s_delay_alu instid0(VALU_DEP_2) | instskip(SKIP_1) | instid1(VALU_DEP_2)
	v_add_nc_u32_e32 v57, s5, v55
	v_ashrrev_i32_e32 v56, 31, v55
	v_add_nc_u32_e32 v59, s5, v57
	v_ashrrev_i32_e32 v58, 31, v57
	s_delay_alu instid0(VALU_DEP_2) | instskip(SKIP_1) | instid1(VALU_DEP_2)
	;; [unrolled: 5-line block ×10, first 2 shown]
	v_add_nc_u32_e32 v31, s5, v96
	v_ashrrev_i32_e32 v97, 31, v96
	v_ashrrev_i32_e32 v32, 31, v31
	s_delay_alu instid0(VALU_DEP_1) | instskip(SKIP_2) | instid1(VALU_DEP_3)
	v_lshlrev_b64 v[33:34], 3, v[31:32]
	v_add_co_u32 v31, vcc_lo, s2, v17
	v_add_co_ci_u32_e32 v32, vcc_lo, s3, v18, vcc_lo
	v_add_co_u32 v17, vcc_lo, s2, v33
	s_delay_alu instid0(VALU_DEP_4)
	v_add_co_ci_u32_e32 v18, vcc_lo, s3, v34, vcc_lo
	v_add_co_u32 v33, vcc_lo, s2, v23
	v_add_co_ci_u32_e32 v34, vcc_lo, s3, v24, vcc_lo
	v_add_co_u32 v23, vcc_lo, s2, v25
	s_clause 0x1
	global_load_b64 v[74:75], v[17:18], off
	global_load_b64 v[43:44], v[31:32], off
	v_add_co_ci_u32_e32 v24, vcc_lo, s3, v26, vcc_lo
	s_waitcnt vmcnt(8)
	scratch_store_b128 off, v[19:22], off
	v_lshlrev_b64 v[19:20], 3, v[45:46]
	global_load_b64 v[45:46], v[33:34], off
	v_lshlrev_b64 v[21:22], 3, v[47:48]
	v_lshlrev_b64 v[47:48], 3, v[49:50]
	s_waitcnt vmcnt(7)
	scratch_store_b128 off, v[27:30], off offset:16
	s_waitcnt vmcnt(5)
	scratch_store_b128 off, v[35:38], off offset:32
	v_add_co_u32 v25, vcc_lo, s2, v19
	v_add_co_ci_u32_e32 v26, vcc_lo, s3, v20, vcc_lo
	v_add_co_u32 v19, vcc_lo, s2, v21
	v_add_co_ci_u32_e32 v20, vcc_lo, s3, v22, vcc_lo
	;; [unrolled: 2-line block ×3, first 2 shown]
	v_lshlrev_b64 v[27:28], 3, v[55:56]
	s_clause 0x3
	global_load_b64 v[47:48], v[23:24], off
	global_load_b64 v[49:50], v[25:26], off
	;; [unrolled: 1-line block ×4, first 2 shown]
	v_lshlrev_b64 v[29:30], 3, v[57:58]
	s_waitcnt vmcnt(7)
	scratch_store_b128 off, v[39:42], off offset:48
	v_lshlrev_b64 v[35:36], 3, v[59:60]
	v_lshlrev_b64 v[37:38], 3, v[61:62]
	v_add_co_u32 v27, vcc_lo, s2, v27
	v_add_co_ci_u32_e32 v28, vcc_lo, s3, v28, vcc_lo
	v_add_co_u32 v29, vcc_lo, s2, v29
	v_add_co_ci_u32_e32 v30, vcc_lo, s3, v30, vcc_lo
	s_clause 0x1
	global_load_b64 v[55:56], v[27:28], off
	global_load_b64 v[57:58], v[29:30], off
	v_add_co_u32 v35, vcc_lo, s2, v35
	v_lshlrev_b64 v[39:40], 3, v[63:64]
	v_add_co_ci_u32_e32 v36, vcc_lo, s3, v36, vcc_lo
	v_add_co_u32 v37, vcc_lo, s2, v37
	v_lshlrev_b64 v[41:42], 3, v[65:66]
	v_add_co_ci_u32_e32 v38, vcc_lo, s3, v38, vcc_lo
	v_add_co_u32 v39, vcc_lo, s2, v39
	v_add_co_ci_u32_e32 v40, vcc_lo, s3, v40, vcc_lo
	s_delay_alu instid0(VALU_DEP_4)
	v_add_co_u32 v41, vcc_lo, s2, v41
	v_add_co_ci_u32_e32 v42, vcc_lo, s3, v42, vcc_lo
	s_waitcnt vmcnt(6)
	scratch_store_b128 off, v[43:46], off offset:64
	v_lshlrev_b64 v[43:44], 3, v[67:68]
	v_lshlrev_b64 v[45:46], 3, v[69:70]
	s_clause 0x1
	global_load_b64 v[59:60], v[35:36], off
	global_load_b64 v[61:62], v[37:38], off
	s_waitcnt vmcnt(6)
	scratch_store_b128 off, v[47:50], off offset:80
	s_waitcnt vmcnt(4)
	scratch_store_b128 off, v[51:54], off offset:96
	v_add_co_u32 v43, vcc_lo, s2, v43
	v_add_co_ci_u32_e32 v44, vcc_lo, s3, v44, vcc_lo
	v_add_co_u32 v45, vcc_lo, s2, v45
	v_add_co_ci_u32_e32 v46, vcc_lo, s3, v46, vcc_lo
	v_lshlrev_b64 v[47:48], 3, v[72:73]
	s_clause 0x3
	global_load_b64 v[63:64], v[39:40], off
	global_load_b64 v[65:66], v[41:42], off
	;; [unrolled: 1-line block ×4, first 2 shown]
	v_lshlrev_b64 v[49:50], 3, v[76:77]
	v_lshlrev_b64 v[51:52], 3, v[80:81]
	;; [unrolled: 1-line block ×4, first 2 shown]
	v_add_co_u32 v47, vcc_lo, s2, v47
	v_add_co_ci_u32_e32 v48, vcc_lo, s3, v48, vcc_lo
	v_add_co_u32 v49, vcc_lo, s2, v49
	v_add_co_ci_u32_e32 v50, vcc_lo, s3, v50, vcc_lo
	s_waitcnt vmcnt(6)
	scratch_store_b128 off, v[55:58], off offset:112
	s_clause 0x1
	global_load_b64 v[76:77], v[47:48], off
	global_load_b64 v[78:79], v[49:50], off
	v_add_co_u32 v51, vcc_lo, s2, v51
	v_lshlrev_b64 v[55:56], 3, v[84:85]
	v_add_co_ci_u32_e32 v52, vcc_lo, s3, v52, vcc_lo
	v_add_co_u32 v53, vcc_lo, s2, v53
	v_lshlrev_b64 v[57:58], 3, v[86:87]
	v_add_co_ci_u32_e32 v54, vcc_lo, s3, v54, vcc_lo
	v_add_co_u32 v55, vcc_lo, s2, v55
	v_add_co_ci_u32_e32 v56, vcc_lo, s3, v56, vcc_lo
	s_delay_alu instid0(VALU_DEP_4)
	v_add_co_u32 v57, vcc_lo, s2, v57
	v_add_co_ci_u32_e32 v58, vcc_lo, s3, v58, vcc_lo
	global_load_b64 v[80:81], v[51:52], off
	s_waitcnt vmcnt(7)
	scratch_store_b128 off, v[59:62], off offset:128
	v_lshlrev_b64 v[59:60], 3, v[88:89]
	v_lshlrev_b64 v[61:62], 3, v[90:91]
	s_waitcnt vmcnt(5)
	scratch_store_b128 off, v[63:66], off offset:144
	s_waitcnt vmcnt(3)
	scratch_store_b128 off, v[67:70], off offset:160
	v_add_co_u32 v59, vcc_lo, s2, v59
	v_add_co_ci_u32_e32 v60, vcc_lo, s3, v60, vcc_lo
	v_add_co_u32 v63, vcc_lo, s2, v61
	v_add_co_ci_u32_e32 v64, vcc_lo, s3, v62, vcc_lo
	v_lshlrev_b64 v[61:62], 3, v[94:95]
	v_add_co_u32 v65, vcc_lo, s2, v72
	v_lshlrev_b64 v[69:70], 3, v[96:97]
	v_add_co_ci_u32_e32 v66, vcc_lo, s3, v73, vcc_lo
	s_delay_alu instid0(VALU_DEP_4) | instskip(SKIP_1) | instid1(VALU_DEP_4)
	v_add_co_u32 v67, vcc_lo, s2, v61
	v_add_co_ci_u32_e32 v68, vcc_lo, s3, v62, vcc_lo
	v_add_co_u32 v61, vcc_lo, s2, v69
	v_add_co_ci_u32_e32 v62, vcc_lo, s3, v70, vcc_lo
	s_clause 0x3
	global_load_b64 v[82:83], v[53:54], off
	global_load_b64 v[84:85], v[55:56], off
	global_load_b64 v[86:87], v[57:58], off
	global_load_b64 v[88:89], v[59:60], off
	s_waitcnt vmcnt(5)
	scratch_store_b128 off, v[76:79], off offset:176
	s_clause 0x3
	global_load_b64 v[90:91], v[63:64], off
	global_load_b64 v[76:77], v[65:66], off
	;; [unrolled: 1-line block ×4, first 2 shown]
	v_mov_b32_e32 v69, 0
	v_mov_b32_e32 v70, 0xbff00000
	s_cselect_b32 s2, -1, 0
	s_cmpk_eq_i32 s1, 0x84
	s_waitcnt vmcnt(7)
	scratch_store_b128 off, v[80:83], off offset:192
	s_waitcnt vmcnt(5)
	scratch_store_b128 off, v[84:87], off offset:208
	;; [unrolled: 2-line block ×5, first 2 shown]
	s_cbranch_scc1 .LBB33_3
; %bb.2:
	scratch_load_b64 v[69:70], v71, off
	s_waitcnt vmcnt(0)
	v_div_scale_f64 v[72:73], null, v[69:70], v[69:70], 1.0
	v_div_scale_f64 v[78:79], vcc_lo, 1.0, v[69:70], 1.0
	s_delay_alu instid0(VALU_DEP_2) | instskip(SKIP_2) | instid1(VALU_DEP_1)
	v_rcp_f64_e32 v[74:75], v[72:73]
	s_waitcnt_depctr 0xfff
	v_fma_f64 v[76:77], -v[72:73], v[74:75], 1.0
	v_fma_f64 v[74:75], v[74:75], v[76:77], v[74:75]
	s_delay_alu instid0(VALU_DEP_1) | instskip(NEXT) | instid1(VALU_DEP_1)
	v_fma_f64 v[76:77], -v[72:73], v[74:75], 1.0
	v_fma_f64 v[74:75], v[74:75], v[76:77], v[74:75]
	s_delay_alu instid0(VALU_DEP_1) | instskip(NEXT) | instid1(VALU_DEP_1)
	v_mul_f64 v[76:77], v[78:79], v[74:75]
	v_fma_f64 v[72:73], -v[72:73], v[76:77], v[78:79]
	s_delay_alu instid0(VALU_DEP_1) | instskip(NEXT) | instid1(VALU_DEP_1)
	v_div_fmas_f64 v[72:73], v[72:73], v[74:75], v[76:77]
	v_div_fixup_f64 v[69:70], v[72:73], v[69:70], 1.0
	scratch_store_b64 v71, v[69:70], off
	v_xor_b32_e32 v70, 0x80000000, v70
.LBB33_3:
	v_add_nc_u32_e32 v72, 0x110, v71
	v_add_nc_u32_e32 v73, 0, v71
	s_cmpk_eq_i32 s0, 0x79
	s_mov_b32 s0, -1
	ds_store_b64 v71, v[69:70]
	s_cbranch_scc1 .LBB33_329
; %bb.4:
	scratch_load_b64 v[69:70], off, off offset:256
	v_cmp_eq_u32_e64 s0, 33, v0
	s_movk_i32 s1, 0x50
	s_movk_i32 s3, 0x60
	s_movk_i32 s4, 0x70
	s_movk_i32 s5, 0x80
	s_movk_i32 s6, 0x90
	s_movk_i32 s7, 0xa0
	s_movk_i32 s8, 0xb0
	s_movk_i32 s9, 0xc0
	s_movk_i32 s10, 0xd0
	s_movk_i32 s11, 0xe0
	s_movk_i32 s12, 0xf0
	s_waitcnt vmcnt(0)
	ds_store_b64 v72, v[69:70]
	s_waitcnt lgkmcnt(0)
	s_waitcnt_vscnt null, 0x0
	s_barrier
	buffer_gl0_inv
	s_and_saveexec_b32 s13, s0
	s_cbranch_execz .LBB33_10
; %bb.5:
	s_and_b32 vcc_lo, exec_lo, s2
	s_cbranch_vccz .LBB33_7
; %bb.6:
	scratch_load_b64 v[69:70], v73, off
	ds_load_b64 v[74:75], v72
	s_waitcnt vmcnt(0) lgkmcnt(0)
	v_mul_f64 v[69:70], v[69:70], v[74:75]
	s_cbranch_execz .LBB33_8
	s_branch .LBB33_9
.LBB33_7:
                                        ; implicit-def: $vgpr69_vgpr70
.LBB33_8:
	ds_load_b64 v[69:70], v72
.LBB33_9:
	v_mov_b32_e32 v74, 0
	ds_load_b64 v[74:75], v74 offset:256
	s_waitcnt lgkmcnt(0)
	v_mul_f64 v[69:70], v[69:70], v[74:75]
	scratch_store_b64 off, v[69:70], off offset:256
.LBB33_10:
	s_or_b32 exec_lo, exec_lo, s13
	scratch_load_b64 v[69:70], off, off offset:248
	v_add_nc_u32_e64 v74, 0, 16
	v_add_nc_u32_e64 v75, 0, 32
	;; [unrolled: 1-line block ×15, first 2 shown]
	v_cmp_lt_u32_e64 s1, 31, v0
	s_waitcnt vmcnt(0)
	ds_store_b64 v72, v[69:70]
	s_waitcnt lgkmcnt(0)
	s_waitcnt_vscnt null, 0x0
	s_barrier
	buffer_gl0_inv
	s_and_saveexec_b32 s3, s1
	s_cbranch_execz .LBB33_18
; %bb.11:
	s_and_not1_b32 vcc_lo, exec_lo, s2
	s_cbranch_vccnz .LBB33_13
; %bb.12:
	scratch_load_b64 v[69:70], v73, off
	ds_load_b64 v[89:90], v72
	s_waitcnt vmcnt(0) lgkmcnt(0)
	v_mul_f64 v[69:70], v[69:70], v[89:90]
	s_cbranch_execz .LBB33_14
	s_branch .LBB33_15
.LBB33_13:
                                        ; implicit-def: $vgpr69_vgpr70
.LBB33_14:
	ds_load_b64 v[69:70], v72
.LBB33_15:
	s_and_saveexec_b32 s4, s0
	s_cbranch_execz .LBB33_17
; %bb.16:
	scratch_load_b64 v[89:90], off, off offset:256
	v_mov_b32_e32 v91, 0
	ds_load_b64 v[91:92], v91 offset:528
	s_waitcnt vmcnt(0) lgkmcnt(0)
	v_fma_f64 v[69:70], v[89:90], v[91:92], v[69:70]
.LBB33_17:
	s_or_b32 exec_lo, exec_lo, s4
	v_mov_b32_e32 v89, 0
	ds_load_b64 v[89:90], v89 offset:248
	s_waitcnt lgkmcnt(0)
	v_mul_f64 v[69:70], v[69:70], v[89:90]
	scratch_store_b64 off, v[69:70], off offset:248
.LBB33_18:
	s_or_b32 exec_lo, exec_lo, s3
	scratch_load_b64 v[69:70], off, off offset:240
	v_cmp_lt_u32_e64 s0, 30, v0
	s_waitcnt vmcnt(0)
	ds_store_b64 v72, v[69:70]
	s_waitcnt lgkmcnt(0)
	s_waitcnt_vscnt null, 0x0
	s_barrier
	buffer_gl0_inv
	s_and_saveexec_b32 s3, s0
	s_cbranch_execz .LBB33_28
; %bb.19:
	s_and_not1_b32 vcc_lo, exec_lo, s2
	s_cbranch_vccnz .LBB33_21
; %bb.20:
	scratch_load_b64 v[69:70], v73, off
	ds_load_b64 v[89:90], v72
	s_waitcnt vmcnt(0) lgkmcnt(0)
	v_mul_f64 v[69:70], v[69:70], v[89:90]
	s_cbranch_execz .LBB33_22
	s_branch .LBB33_23
.LBB33_21:
                                        ; implicit-def: $vgpr69_vgpr70
.LBB33_22:
	ds_load_b64 v[69:70], v72
.LBB33_23:
	s_and_saveexec_b32 s4, s1
	s_cbranch_execz .LBB33_27
; %bb.24:
	v_mov_b32_e32 v89, 0
	v_subrev_nc_u32_e32 v90, 31, v0
	s_movk_i32 s5, 0x208
	s_mov_b32 s1, 0
	s_delay_alu instid0(VALU_DEP_2)
	v_add_nc_u32_e32 v89, 0xf8, v89
.LBB33_25:                              ; =>This Inner Loop Header: Depth=1
	scratch_load_b64 v[91:92], v89, off
	v_dual_mov_b32 v93, s5 :: v_dual_add_nc_u32 v90, -1, v90
	v_add_nc_u32_e32 v89, 8, v89
	s_add_i32 s5, s5, 8
	ds_load_b64 v[93:94], v93
	v_cmp_eq_u32_e32 vcc_lo, 0, v90
	s_or_b32 s1, vcc_lo, s1
	s_waitcnt vmcnt(0) lgkmcnt(0)
	v_fma_f64 v[69:70], v[91:92], v[93:94], v[69:70]
	s_and_not1_b32 exec_lo, exec_lo, s1
	s_cbranch_execnz .LBB33_25
; %bb.26:
	s_or_b32 exec_lo, exec_lo, s1
.LBB33_27:
	s_delay_alu instid0(SALU_CYCLE_1)
	s_or_b32 exec_lo, exec_lo, s4
	v_mov_b32_e32 v89, 0
	ds_load_b64 v[89:90], v89 offset:240
	s_waitcnt lgkmcnt(0)
	v_mul_f64 v[69:70], v[69:70], v[89:90]
	scratch_store_b64 off, v[69:70], off offset:240
.LBB33_28:
	s_or_b32 exec_lo, exec_lo, s3
	scratch_load_b64 v[69:70], off, off offset:232
	v_cmp_lt_u32_e64 s1, 29, v0
	s_waitcnt vmcnt(0)
	ds_store_b64 v72, v[69:70]
	s_waitcnt lgkmcnt(0)
	s_waitcnt_vscnt null, 0x0
	s_barrier
	buffer_gl0_inv
	s_and_saveexec_b32 s3, s1
	s_cbranch_execz .LBB33_38
; %bb.29:
	s_and_not1_b32 vcc_lo, exec_lo, s2
	s_cbranch_vccnz .LBB33_31
; %bb.30:
	scratch_load_b64 v[69:70], v73, off
	ds_load_b64 v[89:90], v72
	s_waitcnt vmcnt(0) lgkmcnt(0)
	v_mul_f64 v[69:70], v[69:70], v[89:90]
	s_cbranch_execz .LBB33_32
	s_branch .LBB33_33
.LBB33_31:
                                        ; implicit-def: $vgpr69_vgpr70
.LBB33_32:
	ds_load_b64 v[69:70], v72
.LBB33_33:
	s_and_saveexec_b32 s4, s0
	s_cbranch_execz .LBB33_37
; %bb.34:
	v_subrev_nc_u32_e32 v89, 30, v0
	s_movk_i32 s5, 0x200
	s_mov_b32 s0, 0
.LBB33_35:                              ; =>This Inner Loop Header: Depth=1
	scratch_load_b64 v[90:91], v88, off
	v_dual_mov_b32 v92, s5 :: v_dual_add_nc_u32 v89, -1, v89
	v_add_nc_u32_e32 v88, 8, v88
	s_add_i32 s5, s5, 8
	ds_load_b64 v[92:93], v92
	v_cmp_eq_u32_e32 vcc_lo, 0, v89
	s_or_b32 s0, vcc_lo, s0
	s_waitcnt vmcnt(0) lgkmcnt(0)
	v_fma_f64 v[69:70], v[90:91], v[92:93], v[69:70]
	s_and_not1_b32 exec_lo, exec_lo, s0
	s_cbranch_execnz .LBB33_35
; %bb.36:
	s_or_b32 exec_lo, exec_lo, s0
.LBB33_37:
	s_delay_alu instid0(SALU_CYCLE_1)
	s_or_b32 exec_lo, exec_lo, s4
	v_mov_b32_e32 v88, 0
	ds_load_b64 v[88:89], v88 offset:232
	s_waitcnt lgkmcnt(0)
	v_mul_f64 v[69:70], v[69:70], v[88:89]
	scratch_store_b64 off, v[69:70], off offset:232
.LBB33_38:
	s_or_b32 exec_lo, exec_lo, s3
	scratch_load_b64 v[69:70], off, off offset:224
	v_cmp_lt_u32_e64 s0, 28, v0
	s_waitcnt vmcnt(0)
	ds_store_b64 v72, v[69:70]
	s_waitcnt lgkmcnt(0)
	s_waitcnt_vscnt null, 0x0
	s_barrier
	buffer_gl0_inv
	s_and_saveexec_b32 s3, s0
	s_cbranch_execz .LBB33_48
; %bb.39:
	s_and_not1_b32 vcc_lo, exec_lo, s2
	s_cbranch_vccnz .LBB33_41
; %bb.40:
	scratch_load_b64 v[69:70], v73, off
	ds_load_b64 v[88:89], v72
	s_waitcnt vmcnt(0) lgkmcnt(0)
	v_mul_f64 v[69:70], v[69:70], v[88:89]
	s_cbranch_execz .LBB33_42
	s_branch .LBB33_43
.LBB33_41:
                                        ; implicit-def: $vgpr69_vgpr70
.LBB33_42:
	ds_load_b64 v[69:70], v72
.LBB33_43:
	s_and_saveexec_b32 s4, s1
	s_cbranch_execz .LBB33_47
; %bb.44:
	v_mov_b32_e32 v88, 0
	v_subrev_nc_u32_e32 v89, 29, v0
	s_movk_i32 s5, 0x1f8
	s_mov_b32 s1, 0
	s_delay_alu instid0(VALU_DEP_2)
	v_add_nc_u32_e32 v88, 0xe8, v88
.LBB33_45:                              ; =>This Inner Loop Header: Depth=1
	scratch_load_b64 v[90:91], v88, off
	v_dual_mov_b32 v92, s5 :: v_dual_add_nc_u32 v89, -1, v89
	v_add_nc_u32_e32 v88, 8, v88
	s_add_i32 s5, s5, 8
	ds_load_b64 v[92:93], v92
	v_cmp_eq_u32_e32 vcc_lo, 0, v89
	s_or_b32 s1, vcc_lo, s1
	s_waitcnt vmcnt(0) lgkmcnt(0)
	v_fma_f64 v[69:70], v[90:91], v[92:93], v[69:70]
	s_and_not1_b32 exec_lo, exec_lo, s1
	s_cbranch_execnz .LBB33_45
; %bb.46:
	s_or_b32 exec_lo, exec_lo, s1
.LBB33_47:
	s_delay_alu instid0(SALU_CYCLE_1)
	s_or_b32 exec_lo, exec_lo, s4
	v_mov_b32_e32 v88, 0
	ds_load_b64 v[88:89], v88 offset:224
	s_waitcnt lgkmcnt(0)
	v_mul_f64 v[69:70], v[69:70], v[88:89]
	scratch_store_b64 off, v[69:70], off offset:224
.LBB33_48:
	s_or_b32 exec_lo, exec_lo, s3
	scratch_load_b64 v[69:70], off, off offset:216
	v_cmp_lt_u32_e64 s1, 27, v0
	s_waitcnt vmcnt(0)
	ds_store_b64 v72, v[69:70]
	s_waitcnt lgkmcnt(0)
	s_waitcnt_vscnt null, 0x0
	s_barrier
	buffer_gl0_inv
	s_and_saveexec_b32 s3, s1
	s_cbranch_execz .LBB33_58
; %bb.49:
	s_and_not1_b32 vcc_lo, exec_lo, s2
	s_cbranch_vccnz .LBB33_51
; %bb.50:
	scratch_load_b64 v[69:70], v73, off
	ds_load_b64 v[88:89], v72
	s_waitcnt vmcnt(0) lgkmcnt(0)
	v_mul_f64 v[69:70], v[69:70], v[88:89]
	s_cbranch_execz .LBB33_52
	s_branch .LBB33_53
.LBB33_51:
                                        ; implicit-def: $vgpr69_vgpr70
.LBB33_52:
	ds_load_b64 v[69:70], v72
.LBB33_53:
	s_and_saveexec_b32 s4, s0
	s_cbranch_execz .LBB33_57
; %bb.54:
	v_subrev_nc_u32_e32 v88, 28, v0
	s_movk_i32 s5, 0x1f0
	s_mov_b32 s0, 0
.LBB33_55:                              ; =>This Inner Loop Header: Depth=1
	scratch_load_b64 v[89:90], v87, off
	v_dual_mov_b32 v91, s5 :: v_dual_add_nc_u32 v88, -1, v88
	v_add_nc_u32_e32 v87, 8, v87
	s_add_i32 s5, s5, 8
	ds_load_b64 v[91:92], v91
	v_cmp_eq_u32_e32 vcc_lo, 0, v88
	s_or_b32 s0, vcc_lo, s0
	s_waitcnt vmcnt(0) lgkmcnt(0)
	v_fma_f64 v[69:70], v[89:90], v[91:92], v[69:70]
	s_and_not1_b32 exec_lo, exec_lo, s0
	s_cbranch_execnz .LBB33_55
; %bb.56:
	s_or_b32 exec_lo, exec_lo, s0
.LBB33_57:
	s_delay_alu instid0(SALU_CYCLE_1)
	s_or_b32 exec_lo, exec_lo, s4
	v_mov_b32_e32 v87, 0
	ds_load_b64 v[87:88], v87 offset:216
	s_waitcnt lgkmcnt(0)
	v_mul_f64 v[69:70], v[69:70], v[87:88]
	scratch_store_b64 off, v[69:70], off offset:216
.LBB33_58:
	s_or_b32 exec_lo, exec_lo, s3
	scratch_load_b64 v[69:70], off, off offset:208
	v_cmp_lt_u32_e64 s0, 26, v0
	s_waitcnt vmcnt(0)
	ds_store_b64 v72, v[69:70]
	s_waitcnt lgkmcnt(0)
	s_waitcnt_vscnt null, 0x0
	s_barrier
	buffer_gl0_inv
	s_and_saveexec_b32 s3, s0
	s_cbranch_execz .LBB33_68
; %bb.59:
	s_and_not1_b32 vcc_lo, exec_lo, s2
	s_cbranch_vccnz .LBB33_61
; %bb.60:
	scratch_load_b64 v[69:70], v73, off
	ds_load_b64 v[87:88], v72
	s_waitcnt vmcnt(0) lgkmcnt(0)
	v_mul_f64 v[69:70], v[69:70], v[87:88]
	s_cbranch_execz .LBB33_62
	s_branch .LBB33_63
.LBB33_61:
                                        ; implicit-def: $vgpr69_vgpr70
.LBB33_62:
	ds_load_b64 v[69:70], v72
.LBB33_63:
	s_and_saveexec_b32 s4, s1
	s_cbranch_execz .LBB33_67
; %bb.64:
	v_mov_b32_e32 v87, 0
	v_subrev_nc_u32_e32 v88, 27, v0
	s_movk_i32 s5, 0x1e8
	s_mov_b32 s1, 0
	s_delay_alu instid0(VALU_DEP_2)
	v_add_nc_u32_e32 v87, 0xd8, v87
.LBB33_65:                              ; =>This Inner Loop Header: Depth=1
	scratch_load_b64 v[89:90], v87, off
	v_dual_mov_b32 v91, s5 :: v_dual_add_nc_u32 v88, -1, v88
	v_add_nc_u32_e32 v87, 8, v87
	s_add_i32 s5, s5, 8
	ds_load_b64 v[91:92], v91
	v_cmp_eq_u32_e32 vcc_lo, 0, v88
	s_or_b32 s1, vcc_lo, s1
	s_waitcnt vmcnt(0) lgkmcnt(0)
	v_fma_f64 v[69:70], v[89:90], v[91:92], v[69:70]
	s_and_not1_b32 exec_lo, exec_lo, s1
	s_cbranch_execnz .LBB33_65
; %bb.66:
	s_or_b32 exec_lo, exec_lo, s1
.LBB33_67:
	s_delay_alu instid0(SALU_CYCLE_1)
	s_or_b32 exec_lo, exec_lo, s4
	v_mov_b32_e32 v87, 0
	ds_load_b64 v[87:88], v87 offset:208
	s_waitcnt lgkmcnt(0)
	v_mul_f64 v[69:70], v[69:70], v[87:88]
	scratch_store_b64 off, v[69:70], off offset:208
.LBB33_68:
	s_or_b32 exec_lo, exec_lo, s3
	scratch_load_b64 v[69:70], off, off offset:200
	v_cmp_lt_u32_e64 s1, 25, v0
	s_waitcnt vmcnt(0)
	ds_store_b64 v72, v[69:70]
	s_waitcnt lgkmcnt(0)
	s_waitcnt_vscnt null, 0x0
	s_barrier
	buffer_gl0_inv
	s_and_saveexec_b32 s3, s1
	s_cbranch_execz .LBB33_78
; %bb.69:
	s_and_not1_b32 vcc_lo, exec_lo, s2
	s_cbranch_vccnz .LBB33_71
; %bb.70:
	scratch_load_b64 v[69:70], v73, off
	ds_load_b64 v[87:88], v72
	s_waitcnt vmcnt(0) lgkmcnt(0)
	v_mul_f64 v[69:70], v[69:70], v[87:88]
	s_cbranch_execz .LBB33_72
	s_branch .LBB33_73
.LBB33_71:
                                        ; implicit-def: $vgpr69_vgpr70
.LBB33_72:
	ds_load_b64 v[69:70], v72
.LBB33_73:
	s_and_saveexec_b32 s4, s0
	s_cbranch_execz .LBB33_77
; %bb.74:
	v_subrev_nc_u32_e32 v87, 26, v0
	s_movk_i32 s5, 0x1e0
	s_mov_b32 s0, 0
.LBB33_75:                              ; =>This Inner Loop Header: Depth=1
	scratch_load_b64 v[88:89], v86, off
	v_dual_mov_b32 v90, s5 :: v_dual_add_nc_u32 v87, -1, v87
	v_add_nc_u32_e32 v86, 8, v86
	s_add_i32 s5, s5, 8
	ds_load_b64 v[90:91], v90
	v_cmp_eq_u32_e32 vcc_lo, 0, v87
	s_or_b32 s0, vcc_lo, s0
	s_waitcnt vmcnt(0) lgkmcnt(0)
	v_fma_f64 v[69:70], v[88:89], v[90:91], v[69:70]
	s_and_not1_b32 exec_lo, exec_lo, s0
	s_cbranch_execnz .LBB33_75
; %bb.76:
	s_or_b32 exec_lo, exec_lo, s0
.LBB33_77:
	s_delay_alu instid0(SALU_CYCLE_1)
	s_or_b32 exec_lo, exec_lo, s4
	v_mov_b32_e32 v86, 0
	ds_load_b64 v[86:87], v86 offset:200
	s_waitcnt lgkmcnt(0)
	v_mul_f64 v[69:70], v[69:70], v[86:87]
	scratch_store_b64 off, v[69:70], off offset:200
.LBB33_78:
	s_or_b32 exec_lo, exec_lo, s3
	scratch_load_b64 v[69:70], off, off offset:192
	v_cmp_lt_u32_e64 s0, 24, v0
	s_waitcnt vmcnt(0)
	ds_store_b64 v72, v[69:70]
	s_waitcnt lgkmcnt(0)
	s_waitcnt_vscnt null, 0x0
	s_barrier
	buffer_gl0_inv
	s_and_saveexec_b32 s3, s0
	s_cbranch_execz .LBB33_88
; %bb.79:
	s_and_not1_b32 vcc_lo, exec_lo, s2
	s_cbranch_vccnz .LBB33_81
; %bb.80:
	scratch_load_b64 v[69:70], v73, off
	ds_load_b64 v[86:87], v72
	s_waitcnt vmcnt(0) lgkmcnt(0)
	v_mul_f64 v[69:70], v[69:70], v[86:87]
	s_cbranch_execz .LBB33_82
	s_branch .LBB33_83
.LBB33_81:
                                        ; implicit-def: $vgpr69_vgpr70
.LBB33_82:
	ds_load_b64 v[69:70], v72
.LBB33_83:
	s_and_saveexec_b32 s4, s1
	s_cbranch_execz .LBB33_87
; %bb.84:
	v_mov_b32_e32 v86, 0
	v_subrev_nc_u32_e32 v87, 25, v0
	s_movk_i32 s5, 0x1d8
	s_mov_b32 s1, 0
	s_delay_alu instid0(VALU_DEP_2)
	v_add_nc_u32_e32 v86, 0xc8, v86
.LBB33_85:                              ; =>This Inner Loop Header: Depth=1
	scratch_load_b64 v[88:89], v86, off
	v_dual_mov_b32 v90, s5 :: v_dual_add_nc_u32 v87, -1, v87
	v_add_nc_u32_e32 v86, 8, v86
	s_add_i32 s5, s5, 8
	ds_load_b64 v[90:91], v90
	v_cmp_eq_u32_e32 vcc_lo, 0, v87
	s_or_b32 s1, vcc_lo, s1
	s_waitcnt vmcnt(0) lgkmcnt(0)
	v_fma_f64 v[69:70], v[88:89], v[90:91], v[69:70]
	s_and_not1_b32 exec_lo, exec_lo, s1
	s_cbranch_execnz .LBB33_85
; %bb.86:
	s_or_b32 exec_lo, exec_lo, s1
.LBB33_87:
	s_delay_alu instid0(SALU_CYCLE_1)
	s_or_b32 exec_lo, exec_lo, s4
	v_mov_b32_e32 v86, 0
	ds_load_b64 v[86:87], v86 offset:192
	s_waitcnt lgkmcnt(0)
	v_mul_f64 v[69:70], v[69:70], v[86:87]
	scratch_store_b64 off, v[69:70], off offset:192
.LBB33_88:
	s_or_b32 exec_lo, exec_lo, s3
	scratch_load_b64 v[69:70], off, off offset:184
	v_cmp_lt_u32_e64 s1, 23, v0
	s_waitcnt vmcnt(0)
	ds_store_b64 v72, v[69:70]
	s_waitcnt lgkmcnt(0)
	s_waitcnt_vscnt null, 0x0
	s_barrier
	buffer_gl0_inv
	s_and_saveexec_b32 s3, s1
	s_cbranch_execz .LBB33_98
; %bb.89:
	s_and_not1_b32 vcc_lo, exec_lo, s2
	s_cbranch_vccnz .LBB33_91
; %bb.90:
	scratch_load_b64 v[69:70], v73, off
	ds_load_b64 v[86:87], v72
	s_waitcnt vmcnt(0) lgkmcnt(0)
	v_mul_f64 v[69:70], v[69:70], v[86:87]
	s_cbranch_execz .LBB33_92
	s_branch .LBB33_93
.LBB33_91:
                                        ; implicit-def: $vgpr69_vgpr70
.LBB33_92:
	ds_load_b64 v[69:70], v72
.LBB33_93:
	s_and_saveexec_b32 s4, s0
	s_cbranch_execz .LBB33_97
; %bb.94:
	v_subrev_nc_u32_e32 v86, 24, v0
	s_movk_i32 s5, 0x1d0
	s_mov_b32 s0, 0
.LBB33_95:                              ; =>This Inner Loop Header: Depth=1
	scratch_load_b64 v[87:88], v85, off
	v_dual_mov_b32 v89, s5 :: v_dual_add_nc_u32 v86, -1, v86
	v_add_nc_u32_e32 v85, 8, v85
	s_add_i32 s5, s5, 8
	ds_load_b64 v[89:90], v89
	v_cmp_eq_u32_e32 vcc_lo, 0, v86
	s_or_b32 s0, vcc_lo, s0
	s_waitcnt vmcnt(0) lgkmcnt(0)
	v_fma_f64 v[69:70], v[87:88], v[89:90], v[69:70]
	s_and_not1_b32 exec_lo, exec_lo, s0
	s_cbranch_execnz .LBB33_95
; %bb.96:
	s_or_b32 exec_lo, exec_lo, s0
.LBB33_97:
	s_delay_alu instid0(SALU_CYCLE_1)
	s_or_b32 exec_lo, exec_lo, s4
	v_mov_b32_e32 v85, 0
	ds_load_b64 v[85:86], v85 offset:184
	s_waitcnt lgkmcnt(0)
	v_mul_f64 v[69:70], v[69:70], v[85:86]
	scratch_store_b64 off, v[69:70], off offset:184
.LBB33_98:
	s_or_b32 exec_lo, exec_lo, s3
	scratch_load_b64 v[69:70], off, off offset:176
	v_cmp_lt_u32_e64 s0, 22, v0
	s_waitcnt vmcnt(0)
	ds_store_b64 v72, v[69:70]
	s_waitcnt lgkmcnt(0)
	s_waitcnt_vscnt null, 0x0
	s_barrier
	buffer_gl0_inv
	s_and_saveexec_b32 s3, s0
	s_cbranch_execz .LBB33_108
; %bb.99:
	s_and_not1_b32 vcc_lo, exec_lo, s2
	s_cbranch_vccnz .LBB33_101
; %bb.100:
	scratch_load_b64 v[69:70], v73, off
	ds_load_b64 v[85:86], v72
	s_waitcnt vmcnt(0) lgkmcnt(0)
	v_mul_f64 v[69:70], v[69:70], v[85:86]
	s_cbranch_execz .LBB33_102
	s_branch .LBB33_103
.LBB33_101:
                                        ; implicit-def: $vgpr69_vgpr70
.LBB33_102:
	ds_load_b64 v[69:70], v72
.LBB33_103:
	s_and_saveexec_b32 s4, s1
	s_cbranch_execz .LBB33_107
; %bb.104:
	v_mov_b32_e32 v85, 0
	v_subrev_nc_u32_e32 v86, 23, v0
	s_movk_i32 s5, 0x1c8
	s_mov_b32 s1, 0
	s_delay_alu instid0(VALU_DEP_2)
	v_add_nc_u32_e32 v85, 0xb8, v85
.LBB33_105:                             ; =>This Inner Loop Header: Depth=1
	scratch_load_b64 v[87:88], v85, off
	v_dual_mov_b32 v89, s5 :: v_dual_add_nc_u32 v86, -1, v86
	v_add_nc_u32_e32 v85, 8, v85
	s_add_i32 s5, s5, 8
	ds_load_b64 v[89:90], v89
	v_cmp_eq_u32_e32 vcc_lo, 0, v86
	s_or_b32 s1, vcc_lo, s1
	s_waitcnt vmcnt(0) lgkmcnt(0)
	v_fma_f64 v[69:70], v[87:88], v[89:90], v[69:70]
	s_and_not1_b32 exec_lo, exec_lo, s1
	s_cbranch_execnz .LBB33_105
; %bb.106:
	s_or_b32 exec_lo, exec_lo, s1
.LBB33_107:
	s_delay_alu instid0(SALU_CYCLE_1)
	s_or_b32 exec_lo, exec_lo, s4
	v_mov_b32_e32 v85, 0
	ds_load_b64 v[85:86], v85 offset:176
	s_waitcnt lgkmcnt(0)
	v_mul_f64 v[69:70], v[69:70], v[85:86]
	scratch_store_b64 off, v[69:70], off offset:176
.LBB33_108:
	s_or_b32 exec_lo, exec_lo, s3
	scratch_load_b64 v[69:70], off, off offset:168
	v_cmp_lt_u32_e64 s1, 21, v0
	s_waitcnt vmcnt(0)
	ds_store_b64 v72, v[69:70]
	s_waitcnt lgkmcnt(0)
	s_waitcnt_vscnt null, 0x0
	s_barrier
	buffer_gl0_inv
	s_and_saveexec_b32 s3, s1
	s_cbranch_execz .LBB33_118
; %bb.109:
	s_and_not1_b32 vcc_lo, exec_lo, s2
	s_cbranch_vccnz .LBB33_111
; %bb.110:
	scratch_load_b64 v[69:70], v73, off
	ds_load_b64 v[85:86], v72
	s_waitcnt vmcnt(0) lgkmcnt(0)
	v_mul_f64 v[69:70], v[69:70], v[85:86]
	s_cbranch_execz .LBB33_112
	s_branch .LBB33_113
.LBB33_111:
                                        ; implicit-def: $vgpr69_vgpr70
.LBB33_112:
	ds_load_b64 v[69:70], v72
.LBB33_113:
	s_and_saveexec_b32 s4, s0
	s_cbranch_execz .LBB33_117
; %bb.114:
	v_subrev_nc_u32_e32 v85, 22, v0
	s_movk_i32 s5, 0x1c0
	s_mov_b32 s0, 0
.LBB33_115:                             ; =>This Inner Loop Header: Depth=1
	scratch_load_b64 v[86:87], v84, off
	v_dual_mov_b32 v88, s5 :: v_dual_add_nc_u32 v85, -1, v85
	v_add_nc_u32_e32 v84, 8, v84
	s_add_i32 s5, s5, 8
	ds_load_b64 v[88:89], v88
	v_cmp_eq_u32_e32 vcc_lo, 0, v85
	s_or_b32 s0, vcc_lo, s0
	s_waitcnt vmcnt(0) lgkmcnt(0)
	v_fma_f64 v[69:70], v[86:87], v[88:89], v[69:70]
	s_and_not1_b32 exec_lo, exec_lo, s0
	s_cbranch_execnz .LBB33_115
; %bb.116:
	s_or_b32 exec_lo, exec_lo, s0
.LBB33_117:
	s_delay_alu instid0(SALU_CYCLE_1)
	s_or_b32 exec_lo, exec_lo, s4
	v_mov_b32_e32 v84, 0
	ds_load_b64 v[84:85], v84 offset:168
	s_waitcnt lgkmcnt(0)
	v_mul_f64 v[69:70], v[69:70], v[84:85]
	scratch_store_b64 off, v[69:70], off offset:168
.LBB33_118:
	s_or_b32 exec_lo, exec_lo, s3
	scratch_load_b64 v[69:70], off, off offset:160
	v_cmp_lt_u32_e64 s0, 20, v0
	s_waitcnt vmcnt(0)
	ds_store_b64 v72, v[69:70]
	s_waitcnt lgkmcnt(0)
	s_waitcnt_vscnt null, 0x0
	s_barrier
	buffer_gl0_inv
	s_and_saveexec_b32 s3, s0
	s_cbranch_execz .LBB33_128
; %bb.119:
	s_and_not1_b32 vcc_lo, exec_lo, s2
	s_cbranch_vccnz .LBB33_121
; %bb.120:
	scratch_load_b64 v[69:70], v73, off
	ds_load_b64 v[84:85], v72
	s_waitcnt vmcnt(0) lgkmcnt(0)
	v_mul_f64 v[69:70], v[69:70], v[84:85]
	s_cbranch_execz .LBB33_122
	s_branch .LBB33_123
.LBB33_121:
                                        ; implicit-def: $vgpr69_vgpr70
.LBB33_122:
	ds_load_b64 v[69:70], v72
.LBB33_123:
	s_and_saveexec_b32 s4, s1
	s_cbranch_execz .LBB33_127
; %bb.124:
	v_mov_b32_e32 v84, 0
	v_subrev_nc_u32_e32 v85, 21, v0
	s_movk_i32 s5, 0x1b8
	s_mov_b32 s1, 0
	s_delay_alu instid0(VALU_DEP_2)
	v_add_nc_u32_e32 v84, 0xa8, v84
.LBB33_125:                             ; =>This Inner Loop Header: Depth=1
	scratch_load_b64 v[86:87], v84, off
	v_dual_mov_b32 v88, s5 :: v_dual_add_nc_u32 v85, -1, v85
	v_add_nc_u32_e32 v84, 8, v84
	s_add_i32 s5, s5, 8
	ds_load_b64 v[88:89], v88
	v_cmp_eq_u32_e32 vcc_lo, 0, v85
	s_or_b32 s1, vcc_lo, s1
	s_waitcnt vmcnt(0) lgkmcnt(0)
	v_fma_f64 v[69:70], v[86:87], v[88:89], v[69:70]
	s_and_not1_b32 exec_lo, exec_lo, s1
	s_cbranch_execnz .LBB33_125
; %bb.126:
	s_or_b32 exec_lo, exec_lo, s1
.LBB33_127:
	s_delay_alu instid0(SALU_CYCLE_1)
	s_or_b32 exec_lo, exec_lo, s4
	v_mov_b32_e32 v84, 0
	ds_load_b64 v[84:85], v84 offset:160
	s_waitcnt lgkmcnt(0)
	v_mul_f64 v[69:70], v[69:70], v[84:85]
	scratch_store_b64 off, v[69:70], off offset:160
.LBB33_128:
	s_or_b32 exec_lo, exec_lo, s3
	scratch_load_b64 v[69:70], off, off offset:152
	v_cmp_lt_u32_e64 s1, 19, v0
	s_waitcnt vmcnt(0)
	ds_store_b64 v72, v[69:70]
	s_waitcnt lgkmcnt(0)
	s_waitcnt_vscnt null, 0x0
	s_barrier
	buffer_gl0_inv
	s_and_saveexec_b32 s3, s1
	s_cbranch_execz .LBB33_138
; %bb.129:
	s_and_not1_b32 vcc_lo, exec_lo, s2
	s_cbranch_vccnz .LBB33_131
; %bb.130:
	scratch_load_b64 v[69:70], v73, off
	ds_load_b64 v[84:85], v72
	s_waitcnt vmcnt(0) lgkmcnt(0)
	v_mul_f64 v[69:70], v[69:70], v[84:85]
	s_cbranch_execz .LBB33_132
	s_branch .LBB33_133
.LBB33_131:
                                        ; implicit-def: $vgpr69_vgpr70
.LBB33_132:
	ds_load_b64 v[69:70], v72
.LBB33_133:
	s_and_saveexec_b32 s4, s0
	s_cbranch_execz .LBB33_137
; %bb.134:
	v_subrev_nc_u32_e32 v84, 20, v0
	s_movk_i32 s5, 0x1b0
	s_mov_b32 s0, 0
.LBB33_135:                             ; =>This Inner Loop Header: Depth=1
	scratch_load_b64 v[85:86], v83, off
	v_dual_mov_b32 v87, s5 :: v_dual_add_nc_u32 v84, -1, v84
	v_add_nc_u32_e32 v83, 8, v83
	s_add_i32 s5, s5, 8
	ds_load_b64 v[87:88], v87
	v_cmp_eq_u32_e32 vcc_lo, 0, v84
	s_or_b32 s0, vcc_lo, s0
	s_waitcnt vmcnt(0) lgkmcnt(0)
	v_fma_f64 v[69:70], v[85:86], v[87:88], v[69:70]
	s_and_not1_b32 exec_lo, exec_lo, s0
	s_cbranch_execnz .LBB33_135
; %bb.136:
	s_or_b32 exec_lo, exec_lo, s0
.LBB33_137:
	s_delay_alu instid0(SALU_CYCLE_1)
	s_or_b32 exec_lo, exec_lo, s4
	v_mov_b32_e32 v83, 0
	ds_load_b64 v[83:84], v83 offset:152
	s_waitcnt lgkmcnt(0)
	v_mul_f64 v[69:70], v[69:70], v[83:84]
	scratch_store_b64 off, v[69:70], off offset:152
.LBB33_138:
	s_or_b32 exec_lo, exec_lo, s3
	scratch_load_b64 v[69:70], off, off offset:144
	v_cmp_lt_u32_e64 s0, 18, v0
	s_waitcnt vmcnt(0)
	ds_store_b64 v72, v[69:70]
	s_waitcnt lgkmcnt(0)
	s_waitcnt_vscnt null, 0x0
	s_barrier
	buffer_gl0_inv
	s_and_saveexec_b32 s3, s0
	s_cbranch_execz .LBB33_148
; %bb.139:
	s_and_not1_b32 vcc_lo, exec_lo, s2
	s_cbranch_vccnz .LBB33_141
; %bb.140:
	scratch_load_b64 v[69:70], v73, off
	ds_load_b64 v[83:84], v72
	s_waitcnt vmcnt(0) lgkmcnt(0)
	v_mul_f64 v[69:70], v[69:70], v[83:84]
	s_cbranch_execz .LBB33_142
	s_branch .LBB33_143
.LBB33_141:
                                        ; implicit-def: $vgpr69_vgpr70
.LBB33_142:
	ds_load_b64 v[69:70], v72
.LBB33_143:
	s_and_saveexec_b32 s4, s1
	s_cbranch_execz .LBB33_147
; %bb.144:
	v_mov_b32_e32 v83, 0
	v_subrev_nc_u32_e32 v84, 19, v0
	s_movk_i32 s5, 0x1a8
	s_mov_b32 s1, 0
	s_delay_alu instid0(VALU_DEP_2)
	v_add_nc_u32_e32 v83, 0x98, v83
.LBB33_145:                             ; =>This Inner Loop Header: Depth=1
	scratch_load_b64 v[85:86], v83, off
	v_dual_mov_b32 v87, s5 :: v_dual_add_nc_u32 v84, -1, v84
	v_add_nc_u32_e32 v83, 8, v83
	s_add_i32 s5, s5, 8
	ds_load_b64 v[87:88], v87
	v_cmp_eq_u32_e32 vcc_lo, 0, v84
	s_or_b32 s1, vcc_lo, s1
	s_waitcnt vmcnt(0) lgkmcnt(0)
	v_fma_f64 v[69:70], v[85:86], v[87:88], v[69:70]
	s_and_not1_b32 exec_lo, exec_lo, s1
	s_cbranch_execnz .LBB33_145
; %bb.146:
	s_or_b32 exec_lo, exec_lo, s1
.LBB33_147:
	s_delay_alu instid0(SALU_CYCLE_1)
	s_or_b32 exec_lo, exec_lo, s4
	v_mov_b32_e32 v83, 0
	ds_load_b64 v[83:84], v83 offset:144
	s_waitcnt lgkmcnt(0)
	v_mul_f64 v[69:70], v[69:70], v[83:84]
	scratch_store_b64 off, v[69:70], off offset:144
.LBB33_148:
	s_or_b32 exec_lo, exec_lo, s3
	scratch_load_b64 v[69:70], off, off offset:136
	v_cmp_lt_u32_e64 s1, 17, v0
	s_waitcnt vmcnt(0)
	ds_store_b64 v72, v[69:70]
	s_waitcnt lgkmcnt(0)
	s_waitcnt_vscnt null, 0x0
	s_barrier
	buffer_gl0_inv
	s_and_saveexec_b32 s3, s1
	s_cbranch_execz .LBB33_158
; %bb.149:
	s_and_not1_b32 vcc_lo, exec_lo, s2
	s_cbranch_vccnz .LBB33_151
; %bb.150:
	scratch_load_b64 v[69:70], v73, off
	ds_load_b64 v[83:84], v72
	s_waitcnt vmcnt(0) lgkmcnt(0)
	v_mul_f64 v[69:70], v[69:70], v[83:84]
	s_cbranch_execz .LBB33_152
	s_branch .LBB33_153
.LBB33_151:
                                        ; implicit-def: $vgpr69_vgpr70
.LBB33_152:
	ds_load_b64 v[69:70], v72
.LBB33_153:
	s_and_saveexec_b32 s4, s0
	s_cbranch_execz .LBB33_157
; %bb.154:
	v_subrev_nc_u32_e32 v83, 18, v0
	s_movk_i32 s5, 0x1a0
	s_mov_b32 s0, 0
.LBB33_155:                             ; =>This Inner Loop Header: Depth=1
	scratch_load_b64 v[84:85], v82, off
	v_dual_mov_b32 v86, s5 :: v_dual_add_nc_u32 v83, -1, v83
	v_add_nc_u32_e32 v82, 8, v82
	s_add_i32 s5, s5, 8
	ds_load_b64 v[86:87], v86
	v_cmp_eq_u32_e32 vcc_lo, 0, v83
	s_or_b32 s0, vcc_lo, s0
	s_waitcnt vmcnt(0) lgkmcnt(0)
	v_fma_f64 v[69:70], v[84:85], v[86:87], v[69:70]
	s_and_not1_b32 exec_lo, exec_lo, s0
	s_cbranch_execnz .LBB33_155
; %bb.156:
	s_or_b32 exec_lo, exec_lo, s0
.LBB33_157:
	s_delay_alu instid0(SALU_CYCLE_1)
	s_or_b32 exec_lo, exec_lo, s4
	v_mov_b32_e32 v82, 0
	ds_load_b64 v[82:83], v82 offset:136
	s_waitcnt lgkmcnt(0)
	v_mul_f64 v[69:70], v[69:70], v[82:83]
	scratch_store_b64 off, v[69:70], off offset:136
.LBB33_158:
	s_or_b32 exec_lo, exec_lo, s3
	scratch_load_b64 v[69:70], off, off offset:128
	v_cmp_lt_u32_e64 s0, 16, v0
	s_waitcnt vmcnt(0)
	ds_store_b64 v72, v[69:70]
	s_waitcnt lgkmcnt(0)
	s_waitcnt_vscnt null, 0x0
	s_barrier
	buffer_gl0_inv
	s_and_saveexec_b32 s3, s0
	s_cbranch_execz .LBB33_168
; %bb.159:
	s_and_not1_b32 vcc_lo, exec_lo, s2
	s_cbranch_vccnz .LBB33_161
; %bb.160:
	scratch_load_b64 v[69:70], v73, off
	ds_load_b64 v[82:83], v72
	s_waitcnt vmcnt(0) lgkmcnt(0)
	v_mul_f64 v[69:70], v[69:70], v[82:83]
	s_cbranch_execz .LBB33_162
	s_branch .LBB33_163
.LBB33_161:
                                        ; implicit-def: $vgpr69_vgpr70
.LBB33_162:
	ds_load_b64 v[69:70], v72
.LBB33_163:
	s_and_saveexec_b32 s4, s1
	s_cbranch_execz .LBB33_167
; %bb.164:
	v_mov_b32_e32 v82, 0
	v_subrev_nc_u32_e32 v83, 17, v0
	s_movk_i32 s5, 0x198
	s_mov_b32 s1, 0
	s_delay_alu instid0(VALU_DEP_2)
	v_add_nc_u32_e32 v82, 0x88, v82
.LBB33_165:                             ; =>This Inner Loop Header: Depth=1
	scratch_load_b64 v[84:85], v82, off
	v_dual_mov_b32 v86, s5 :: v_dual_add_nc_u32 v83, -1, v83
	v_add_nc_u32_e32 v82, 8, v82
	s_add_i32 s5, s5, 8
	ds_load_b64 v[86:87], v86
	v_cmp_eq_u32_e32 vcc_lo, 0, v83
	s_or_b32 s1, vcc_lo, s1
	s_waitcnt vmcnt(0) lgkmcnt(0)
	v_fma_f64 v[69:70], v[84:85], v[86:87], v[69:70]
	s_and_not1_b32 exec_lo, exec_lo, s1
	s_cbranch_execnz .LBB33_165
; %bb.166:
	s_or_b32 exec_lo, exec_lo, s1
.LBB33_167:
	s_delay_alu instid0(SALU_CYCLE_1)
	s_or_b32 exec_lo, exec_lo, s4
	v_mov_b32_e32 v82, 0
	ds_load_b64 v[82:83], v82 offset:128
	s_waitcnt lgkmcnt(0)
	v_mul_f64 v[69:70], v[69:70], v[82:83]
	scratch_store_b64 off, v[69:70], off offset:128
.LBB33_168:
	s_or_b32 exec_lo, exec_lo, s3
	scratch_load_b64 v[69:70], off, off offset:120
	v_cmp_lt_u32_e64 s1, 15, v0
	s_waitcnt vmcnt(0)
	ds_store_b64 v72, v[69:70]
	s_waitcnt lgkmcnt(0)
	s_waitcnt_vscnt null, 0x0
	s_barrier
	buffer_gl0_inv
	s_and_saveexec_b32 s3, s1
	s_cbranch_execz .LBB33_178
; %bb.169:
	s_and_not1_b32 vcc_lo, exec_lo, s2
	s_cbranch_vccnz .LBB33_171
; %bb.170:
	scratch_load_b64 v[69:70], v73, off
	ds_load_b64 v[82:83], v72
	s_waitcnt vmcnt(0) lgkmcnt(0)
	v_mul_f64 v[69:70], v[69:70], v[82:83]
	s_cbranch_execz .LBB33_172
	s_branch .LBB33_173
.LBB33_171:
                                        ; implicit-def: $vgpr69_vgpr70
.LBB33_172:
	ds_load_b64 v[69:70], v72
.LBB33_173:
	s_and_saveexec_b32 s4, s0
	s_cbranch_execz .LBB33_177
; %bb.174:
	v_add_nc_u32_e32 v82, -16, v0
	s_movk_i32 s5, 0x190
	s_mov_b32 s0, 0
.LBB33_175:                             ; =>This Inner Loop Header: Depth=1
	scratch_load_b64 v[83:84], v81, off
	v_dual_mov_b32 v85, s5 :: v_dual_add_nc_u32 v82, -1, v82
	v_add_nc_u32_e32 v81, 8, v81
	s_add_i32 s5, s5, 8
	ds_load_b64 v[85:86], v85
	v_cmp_eq_u32_e32 vcc_lo, 0, v82
	s_or_b32 s0, vcc_lo, s0
	s_waitcnt vmcnt(0) lgkmcnt(0)
	v_fma_f64 v[69:70], v[83:84], v[85:86], v[69:70]
	s_and_not1_b32 exec_lo, exec_lo, s0
	s_cbranch_execnz .LBB33_175
; %bb.176:
	s_or_b32 exec_lo, exec_lo, s0
.LBB33_177:
	s_delay_alu instid0(SALU_CYCLE_1)
	s_or_b32 exec_lo, exec_lo, s4
	v_mov_b32_e32 v81, 0
	ds_load_b64 v[81:82], v81 offset:120
	s_waitcnt lgkmcnt(0)
	v_mul_f64 v[69:70], v[69:70], v[81:82]
	scratch_store_b64 off, v[69:70], off offset:120
.LBB33_178:
	s_or_b32 exec_lo, exec_lo, s3
	scratch_load_b64 v[69:70], off, off offset:112
	v_cmp_lt_u32_e64 s0, 14, v0
	s_waitcnt vmcnt(0)
	ds_store_b64 v72, v[69:70]
	s_waitcnt lgkmcnt(0)
	s_waitcnt_vscnt null, 0x0
	s_barrier
	buffer_gl0_inv
	s_and_saveexec_b32 s3, s0
	s_cbranch_execz .LBB33_188
; %bb.179:
	s_and_not1_b32 vcc_lo, exec_lo, s2
	s_cbranch_vccnz .LBB33_181
; %bb.180:
	scratch_load_b64 v[69:70], v73, off
	ds_load_b64 v[81:82], v72
	s_waitcnt vmcnt(0) lgkmcnt(0)
	v_mul_f64 v[69:70], v[69:70], v[81:82]
	s_cbranch_execz .LBB33_182
	s_branch .LBB33_183
.LBB33_181:
                                        ; implicit-def: $vgpr69_vgpr70
.LBB33_182:
	ds_load_b64 v[69:70], v72
.LBB33_183:
	s_and_saveexec_b32 s4, s1
	s_cbranch_execz .LBB33_187
; %bb.184:
	v_dual_mov_b32 v81, 0 :: v_dual_add_nc_u32 v82, -15, v0
	s_movk_i32 s5, 0x188
	s_mov_b32 s1, 0
	s_delay_alu instid0(VALU_DEP_1)
	v_add_nc_u32_e32 v81, 0x78, v81
.LBB33_185:                             ; =>This Inner Loop Header: Depth=1
	scratch_load_b64 v[83:84], v81, off
	v_dual_mov_b32 v85, s5 :: v_dual_add_nc_u32 v82, -1, v82
	v_add_nc_u32_e32 v81, 8, v81
	s_add_i32 s5, s5, 8
	ds_load_b64 v[85:86], v85
	v_cmp_eq_u32_e32 vcc_lo, 0, v82
	s_or_b32 s1, vcc_lo, s1
	s_waitcnt vmcnt(0) lgkmcnt(0)
	v_fma_f64 v[69:70], v[83:84], v[85:86], v[69:70]
	s_and_not1_b32 exec_lo, exec_lo, s1
	s_cbranch_execnz .LBB33_185
; %bb.186:
	s_or_b32 exec_lo, exec_lo, s1
.LBB33_187:
	s_delay_alu instid0(SALU_CYCLE_1)
	s_or_b32 exec_lo, exec_lo, s4
	v_mov_b32_e32 v81, 0
	ds_load_b64 v[81:82], v81 offset:112
	s_waitcnt lgkmcnt(0)
	v_mul_f64 v[69:70], v[69:70], v[81:82]
	scratch_store_b64 off, v[69:70], off offset:112
.LBB33_188:
	s_or_b32 exec_lo, exec_lo, s3
	scratch_load_b64 v[69:70], off, off offset:104
	v_cmp_lt_u32_e64 s1, 13, v0
	s_waitcnt vmcnt(0)
	ds_store_b64 v72, v[69:70]
	s_waitcnt lgkmcnt(0)
	s_waitcnt_vscnt null, 0x0
	s_barrier
	buffer_gl0_inv
	s_and_saveexec_b32 s3, s1
	s_cbranch_execz .LBB33_198
; %bb.189:
	s_and_not1_b32 vcc_lo, exec_lo, s2
	s_cbranch_vccnz .LBB33_191
; %bb.190:
	scratch_load_b64 v[69:70], v73, off
	ds_load_b64 v[81:82], v72
	s_waitcnt vmcnt(0) lgkmcnt(0)
	v_mul_f64 v[69:70], v[69:70], v[81:82]
	s_cbranch_execz .LBB33_192
	s_branch .LBB33_193
.LBB33_191:
                                        ; implicit-def: $vgpr69_vgpr70
.LBB33_192:
	ds_load_b64 v[69:70], v72
.LBB33_193:
	s_and_saveexec_b32 s4, s0
	s_cbranch_execz .LBB33_197
; %bb.194:
	v_add_nc_u32_e32 v81, -14, v0
	s_movk_i32 s5, 0x180
	s_mov_b32 s0, 0
.LBB33_195:                             ; =>This Inner Loop Header: Depth=1
	scratch_load_b64 v[82:83], v80, off
	v_dual_mov_b32 v84, s5 :: v_dual_add_nc_u32 v81, -1, v81
	v_add_nc_u32_e32 v80, 8, v80
	s_add_i32 s5, s5, 8
	ds_load_b64 v[84:85], v84
	v_cmp_eq_u32_e32 vcc_lo, 0, v81
	s_or_b32 s0, vcc_lo, s0
	s_waitcnt vmcnt(0) lgkmcnt(0)
	v_fma_f64 v[69:70], v[82:83], v[84:85], v[69:70]
	s_and_not1_b32 exec_lo, exec_lo, s0
	s_cbranch_execnz .LBB33_195
; %bb.196:
	s_or_b32 exec_lo, exec_lo, s0
.LBB33_197:
	s_delay_alu instid0(SALU_CYCLE_1)
	s_or_b32 exec_lo, exec_lo, s4
	v_mov_b32_e32 v80, 0
	ds_load_b64 v[80:81], v80 offset:104
	s_waitcnt lgkmcnt(0)
	v_mul_f64 v[69:70], v[69:70], v[80:81]
	scratch_store_b64 off, v[69:70], off offset:104
.LBB33_198:
	s_or_b32 exec_lo, exec_lo, s3
	scratch_load_b64 v[69:70], off, off offset:96
	v_cmp_lt_u32_e64 s0, 12, v0
	s_waitcnt vmcnt(0)
	ds_store_b64 v72, v[69:70]
	s_waitcnt lgkmcnt(0)
	s_waitcnt_vscnt null, 0x0
	s_barrier
	buffer_gl0_inv
	s_and_saveexec_b32 s3, s0
	s_cbranch_execz .LBB33_208
; %bb.199:
	s_and_not1_b32 vcc_lo, exec_lo, s2
	s_cbranch_vccnz .LBB33_201
; %bb.200:
	scratch_load_b64 v[69:70], v73, off
	ds_load_b64 v[80:81], v72
	s_waitcnt vmcnt(0) lgkmcnt(0)
	v_mul_f64 v[69:70], v[69:70], v[80:81]
	s_cbranch_execz .LBB33_202
	s_branch .LBB33_203
.LBB33_201:
                                        ; implicit-def: $vgpr69_vgpr70
.LBB33_202:
	ds_load_b64 v[69:70], v72
.LBB33_203:
	s_and_saveexec_b32 s4, s1
	s_cbranch_execz .LBB33_207
; %bb.204:
	v_dual_mov_b32 v80, 0 :: v_dual_add_nc_u32 v81, -13, v0
	s_movk_i32 s5, 0x178
	s_mov_b32 s1, 0
	s_delay_alu instid0(VALU_DEP_1)
	v_add_nc_u32_e32 v80, 0x68, v80
.LBB33_205:                             ; =>This Inner Loop Header: Depth=1
	scratch_load_b64 v[82:83], v80, off
	v_dual_mov_b32 v84, s5 :: v_dual_add_nc_u32 v81, -1, v81
	v_add_nc_u32_e32 v80, 8, v80
	s_add_i32 s5, s5, 8
	ds_load_b64 v[84:85], v84
	v_cmp_eq_u32_e32 vcc_lo, 0, v81
	s_or_b32 s1, vcc_lo, s1
	s_waitcnt vmcnt(0) lgkmcnt(0)
	v_fma_f64 v[69:70], v[82:83], v[84:85], v[69:70]
	s_and_not1_b32 exec_lo, exec_lo, s1
	s_cbranch_execnz .LBB33_205
; %bb.206:
	s_or_b32 exec_lo, exec_lo, s1
.LBB33_207:
	s_delay_alu instid0(SALU_CYCLE_1)
	s_or_b32 exec_lo, exec_lo, s4
	v_mov_b32_e32 v80, 0
	ds_load_b64 v[80:81], v80 offset:96
	s_waitcnt lgkmcnt(0)
	v_mul_f64 v[69:70], v[69:70], v[80:81]
	scratch_store_b64 off, v[69:70], off offset:96
.LBB33_208:
	s_or_b32 exec_lo, exec_lo, s3
	scratch_load_b64 v[69:70], off, off offset:88
	v_cmp_lt_u32_e64 s1, 11, v0
	s_waitcnt vmcnt(0)
	ds_store_b64 v72, v[69:70]
	s_waitcnt lgkmcnt(0)
	s_waitcnt_vscnt null, 0x0
	s_barrier
	buffer_gl0_inv
	s_and_saveexec_b32 s3, s1
	s_cbranch_execz .LBB33_218
; %bb.209:
	s_and_not1_b32 vcc_lo, exec_lo, s2
	s_cbranch_vccnz .LBB33_211
; %bb.210:
	scratch_load_b64 v[69:70], v73, off
	ds_load_b64 v[80:81], v72
	s_waitcnt vmcnt(0) lgkmcnt(0)
	v_mul_f64 v[69:70], v[69:70], v[80:81]
	s_cbranch_execz .LBB33_212
	s_branch .LBB33_213
.LBB33_211:
                                        ; implicit-def: $vgpr69_vgpr70
.LBB33_212:
	ds_load_b64 v[69:70], v72
.LBB33_213:
	s_and_saveexec_b32 s4, s0
	s_cbranch_execz .LBB33_217
; %bb.214:
	v_add_nc_u32_e32 v80, -12, v0
	s_movk_i32 s5, 0x170
	s_mov_b32 s0, 0
.LBB33_215:                             ; =>This Inner Loop Header: Depth=1
	scratch_load_b64 v[81:82], v79, off
	v_dual_mov_b32 v83, s5 :: v_dual_add_nc_u32 v80, -1, v80
	v_add_nc_u32_e32 v79, 8, v79
	s_add_i32 s5, s5, 8
	ds_load_b64 v[83:84], v83
	v_cmp_eq_u32_e32 vcc_lo, 0, v80
	s_or_b32 s0, vcc_lo, s0
	s_waitcnt vmcnt(0) lgkmcnt(0)
	v_fma_f64 v[69:70], v[81:82], v[83:84], v[69:70]
	s_and_not1_b32 exec_lo, exec_lo, s0
	s_cbranch_execnz .LBB33_215
; %bb.216:
	s_or_b32 exec_lo, exec_lo, s0
.LBB33_217:
	s_delay_alu instid0(SALU_CYCLE_1)
	s_or_b32 exec_lo, exec_lo, s4
	v_mov_b32_e32 v79, 0
	ds_load_b64 v[79:80], v79 offset:88
	s_waitcnt lgkmcnt(0)
	v_mul_f64 v[69:70], v[69:70], v[79:80]
	scratch_store_b64 off, v[69:70], off offset:88
.LBB33_218:
	s_or_b32 exec_lo, exec_lo, s3
	scratch_load_b64 v[69:70], off, off offset:80
	v_cmp_lt_u32_e64 s0, 10, v0
	s_waitcnt vmcnt(0)
	ds_store_b64 v72, v[69:70]
	s_waitcnt lgkmcnt(0)
	s_waitcnt_vscnt null, 0x0
	s_barrier
	buffer_gl0_inv
	s_and_saveexec_b32 s3, s0
	s_cbranch_execz .LBB33_228
; %bb.219:
	s_and_not1_b32 vcc_lo, exec_lo, s2
	s_cbranch_vccnz .LBB33_221
; %bb.220:
	scratch_load_b64 v[69:70], v73, off
	ds_load_b64 v[79:80], v72
	s_waitcnt vmcnt(0) lgkmcnt(0)
	v_mul_f64 v[69:70], v[69:70], v[79:80]
	s_cbranch_execz .LBB33_222
	s_branch .LBB33_223
.LBB33_221:
                                        ; implicit-def: $vgpr69_vgpr70
.LBB33_222:
	ds_load_b64 v[69:70], v72
.LBB33_223:
	s_and_saveexec_b32 s4, s1
	s_cbranch_execz .LBB33_227
; %bb.224:
	v_dual_mov_b32 v79, 0 :: v_dual_add_nc_u32 v80, -11, v0
	s_movk_i32 s5, 0x168
	s_mov_b32 s1, 0
	s_delay_alu instid0(VALU_DEP_1)
	v_add_nc_u32_e32 v79, 0x58, v79
.LBB33_225:                             ; =>This Inner Loop Header: Depth=1
	scratch_load_b64 v[81:82], v79, off
	v_dual_mov_b32 v83, s5 :: v_dual_add_nc_u32 v80, -1, v80
	v_add_nc_u32_e32 v79, 8, v79
	s_add_i32 s5, s5, 8
	ds_load_b64 v[83:84], v83
	v_cmp_eq_u32_e32 vcc_lo, 0, v80
	s_or_b32 s1, vcc_lo, s1
	s_waitcnt vmcnt(0) lgkmcnt(0)
	v_fma_f64 v[69:70], v[81:82], v[83:84], v[69:70]
	s_and_not1_b32 exec_lo, exec_lo, s1
	s_cbranch_execnz .LBB33_225
; %bb.226:
	s_or_b32 exec_lo, exec_lo, s1
.LBB33_227:
	s_delay_alu instid0(SALU_CYCLE_1)
	s_or_b32 exec_lo, exec_lo, s4
	v_mov_b32_e32 v79, 0
	ds_load_b64 v[79:80], v79 offset:80
	s_waitcnt lgkmcnt(0)
	v_mul_f64 v[69:70], v[69:70], v[79:80]
	scratch_store_b64 off, v[69:70], off offset:80
.LBB33_228:
	s_or_b32 exec_lo, exec_lo, s3
	scratch_load_b64 v[69:70], off, off offset:72
	v_cmp_lt_u32_e64 s1, 9, v0
	s_waitcnt vmcnt(0)
	ds_store_b64 v72, v[69:70]
	s_waitcnt lgkmcnt(0)
	s_waitcnt_vscnt null, 0x0
	s_barrier
	buffer_gl0_inv
	s_and_saveexec_b32 s3, s1
	s_cbranch_execz .LBB33_238
; %bb.229:
	s_and_not1_b32 vcc_lo, exec_lo, s2
	s_cbranch_vccnz .LBB33_231
; %bb.230:
	scratch_load_b64 v[69:70], v73, off
	ds_load_b64 v[79:80], v72
	s_waitcnt vmcnt(0) lgkmcnt(0)
	v_mul_f64 v[69:70], v[69:70], v[79:80]
	s_cbranch_execz .LBB33_232
	s_branch .LBB33_233
.LBB33_231:
                                        ; implicit-def: $vgpr69_vgpr70
.LBB33_232:
	ds_load_b64 v[69:70], v72
.LBB33_233:
	s_and_saveexec_b32 s4, s0
	s_cbranch_execz .LBB33_237
; %bb.234:
	v_add_nc_u32_e32 v79, -10, v0
	s_movk_i32 s5, 0x160
	s_mov_b32 s0, 0
.LBB33_235:                             ; =>This Inner Loop Header: Depth=1
	scratch_load_b64 v[80:81], v78, off
	v_dual_mov_b32 v82, s5 :: v_dual_add_nc_u32 v79, -1, v79
	v_add_nc_u32_e32 v78, 8, v78
	s_add_i32 s5, s5, 8
	ds_load_b64 v[82:83], v82
	v_cmp_eq_u32_e32 vcc_lo, 0, v79
	s_or_b32 s0, vcc_lo, s0
	s_waitcnt vmcnt(0) lgkmcnt(0)
	v_fma_f64 v[69:70], v[80:81], v[82:83], v[69:70]
	s_and_not1_b32 exec_lo, exec_lo, s0
	s_cbranch_execnz .LBB33_235
; %bb.236:
	s_or_b32 exec_lo, exec_lo, s0
.LBB33_237:
	s_delay_alu instid0(SALU_CYCLE_1)
	s_or_b32 exec_lo, exec_lo, s4
	v_mov_b32_e32 v78, 0
	ds_load_b64 v[78:79], v78 offset:72
	s_waitcnt lgkmcnt(0)
	v_mul_f64 v[69:70], v[69:70], v[78:79]
	scratch_store_b64 off, v[69:70], off offset:72
.LBB33_238:
	s_or_b32 exec_lo, exec_lo, s3
	scratch_load_b64 v[69:70], off, off offset:64
	v_cmp_lt_u32_e64 s0, 8, v0
	s_waitcnt vmcnt(0)
	ds_store_b64 v72, v[69:70]
	s_waitcnt lgkmcnt(0)
	s_waitcnt_vscnt null, 0x0
	s_barrier
	buffer_gl0_inv
	s_and_saveexec_b32 s3, s0
	s_cbranch_execz .LBB33_248
; %bb.239:
	s_and_not1_b32 vcc_lo, exec_lo, s2
	s_cbranch_vccnz .LBB33_241
; %bb.240:
	scratch_load_b64 v[69:70], v73, off
	ds_load_b64 v[78:79], v72
	s_waitcnt vmcnt(0) lgkmcnt(0)
	v_mul_f64 v[69:70], v[69:70], v[78:79]
	s_cbranch_execz .LBB33_242
	s_branch .LBB33_243
.LBB33_241:
                                        ; implicit-def: $vgpr69_vgpr70
.LBB33_242:
	ds_load_b64 v[69:70], v72
.LBB33_243:
	s_and_saveexec_b32 s4, s1
	s_cbranch_execz .LBB33_247
; %bb.244:
	v_dual_mov_b32 v78, 0 :: v_dual_add_nc_u32 v79, -9, v0
	s_movk_i32 s5, 0x158
	s_mov_b32 s1, 0
	s_delay_alu instid0(VALU_DEP_1)
	v_add_nc_u32_e32 v78, 0x48, v78
.LBB33_245:                             ; =>This Inner Loop Header: Depth=1
	scratch_load_b64 v[80:81], v78, off
	v_dual_mov_b32 v82, s5 :: v_dual_add_nc_u32 v79, -1, v79
	v_add_nc_u32_e32 v78, 8, v78
	s_add_i32 s5, s5, 8
	ds_load_b64 v[82:83], v82
	v_cmp_eq_u32_e32 vcc_lo, 0, v79
	s_or_b32 s1, vcc_lo, s1
	s_waitcnt vmcnt(0) lgkmcnt(0)
	v_fma_f64 v[69:70], v[80:81], v[82:83], v[69:70]
	s_and_not1_b32 exec_lo, exec_lo, s1
	s_cbranch_execnz .LBB33_245
; %bb.246:
	s_or_b32 exec_lo, exec_lo, s1
.LBB33_247:
	s_delay_alu instid0(SALU_CYCLE_1)
	s_or_b32 exec_lo, exec_lo, s4
	v_mov_b32_e32 v78, 0
	ds_load_b64 v[78:79], v78 offset:64
	s_waitcnt lgkmcnt(0)
	v_mul_f64 v[69:70], v[69:70], v[78:79]
	scratch_store_b64 off, v[69:70], off offset:64
.LBB33_248:
	s_or_b32 exec_lo, exec_lo, s3
	scratch_load_b64 v[69:70], off, off offset:56
	v_cmp_lt_u32_e64 s1, 7, v0
	s_waitcnt vmcnt(0)
	ds_store_b64 v72, v[69:70]
	s_waitcnt lgkmcnt(0)
	s_waitcnt_vscnt null, 0x0
	s_barrier
	buffer_gl0_inv
	s_and_saveexec_b32 s3, s1
	s_cbranch_execz .LBB33_258
; %bb.249:
	s_and_not1_b32 vcc_lo, exec_lo, s2
	s_cbranch_vccnz .LBB33_251
; %bb.250:
	scratch_load_b64 v[69:70], v73, off
	ds_load_b64 v[78:79], v72
	s_waitcnt vmcnt(0) lgkmcnt(0)
	v_mul_f64 v[69:70], v[69:70], v[78:79]
	s_cbranch_execz .LBB33_252
	s_branch .LBB33_253
.LBB33_251:
                                        ; implicit-def: $vgpr69_vgpr70
.LBB33_252:
	ds_load_b64 v[69:70], v72
.LBB33_253:
	s_and_saveexec_b32 s4, s0
	s_cbranch_execz .LBB33_257
; %bb.254:
	v_add_nc_u32_e32 v78, -8, v0
	s_movk_i32 s5, 0x150
	s_mov_b32 s0, 0
.LBB33_255:                             ; =>This Inner Loop Header: Depth=1
	scratch_load_b64 v[79:80], v77, off
	v_dual_mov_b32 v81, s5 :: v_dual_add_nc_u32 v78, -1, v78
	v_add_nc_u32_e32 v77, 8, v77
	s_add_i32 s5, s5, 8
	ds_load_b64 v[81:82], v81
	v_cmp_eq_u32_e32 vcc_lo, 0, v78
	s_or_b32 s0, vcc_lo, s0
	s_waitcnt vmcnt(0) lgkmcnt(0)
	v_fma_f64 v[69:70], v[79:80], v[81:82], v[69:70]
	s_and_not1_b32 exec_lo, exec_lo, s0
	s_cbranch_execnz .LBB33_255
; %bb.256:
	s_or_b32 exec_lo, exec_lo, s0
.LBB33_257:
	s_delay_alu instid0(SALU_CYCLE_1)
	s_or_b32 exec_lo, exec_lo, s4
	v_mov_b32_e32 v77, 0
	ds_load_b64 v[77:78], v77 offset:56
	s_waitcnt lgkmcnt(0)
	v_mul_f64 v[69:70], v[69:70], v[77:78]
	scratch_store_b64 off, v[69:70], off offset:56
.LBB33_258:
	s_or_b32 exec_lo, exec_lo, s3
	scratch_load_b64 v[69:70], off, off offset:48
	v_cmp_lt_u32_e64 s0, 6, v0
	s_waitcnt vmcnt(0)
	ds_store_b64 v72, v[69:70]
	s_waitcnt lgkmcnt(0)
	s_waitcnt_vscnt null, 0x0
	s_barrier
	buffer_gl0_inv
	s_and_saveexec_b32 s3, s0
	s_cbranch_execz .LBB33_268
; %bb.259:
	s_and_not1_b32 vcc_lo, exec_lo, s2
	s_cbranch_vccnz .LBB33_261
; %bb.260:
	scratch_load_b64 v[69:70], v73, off
	ds_load_b64 v[77:78], v72
	s_waitcnt vmcnt(0) lgkmcnt(0)
	v_mul_f64 v[69:70], v[69:70], v[77:78]
	s_cbranch_execz .LBB33_262
	s_branch .LBB33_263
.LBB33_261:
                                        ; implicit-def: $vgpr69_vgpr70
.LBB33_262:
	ds_load_b64 v[69:70], v72
.LBB33_263:
	s_and_saveexec_b32 s4, s1
	s_cbranch_execz .LBB33_267
; %bb.264:
	v_add_nc_u32_e64 v77, 0, 56
	v_add_nc_u32_e32 v78, -7, v0
	s_movk_i32 s5, 0x148
	s_mov_b32 s1, 0
.LBB33_265:                             ; =>This Inner Loop Header: Depth=1
	scratch_load_b64 v[79:80], v77, off
	v_dual_mov_b32 v81, s5 :: v_dual_add_nc_u32 v78, -1, v78
	v_add_nc_u32_e32 v77, 8, v77
	s_add_i32 s5, s5, 8
	ds_load_b64 v[81:82], v81
	v_cmp_eq_u32_e32 vcc_lo, 0, v78
	s_or_b32 s1, vcc_lo, s1
	s_waitcnt vmcnt(0) lgkmcnt(0)
	v_fma_f64 v[69:70], v[79:80], v[81:82], v[69:70]
	s_and_not1_b32 exec_lo, exec_lo, s1
	s_cbranch_execnz .LBB33_265
; %bb.266:
	s_or_b32 exec_lo, exec_lo, s1
.LBB33_267:
	s_delay_alu instid0(SALU_CYCLE_1)
	s_or_b32 exec_lo, exec_lo, s4
	v_mov_b32_e32 v77, 0
	ds_load_b64 v[77:78], v77 offset:48
	s_waitcnt lgkmcnt(0)
	v_mul_f64 v[69:70], v[69:70], v[77:78]
	scratch_store_b64 off, v[69:70], off offset:48
.LBB33_268:
	s_or_b32 exec_lo, exec_lo, s3
	scratch_load_b64 v[69:70], off, off offset:40
	v_cmp_lt_u32_e64 s1, 5, v0
	s_waitcnt vmcnt(0)
	ds_store_b64 v72, v[69:70]
	s_waitcnt lgkmcnt(0)
	s_waitcnt_vscnt null, 0x0
	s_barrier
	buffer_gl0_inv
	s_and_saveexec_b32 s3, s1
	s_cbranch_execz .LBB33_278
; %bb.269:
	s_and_not1_b32 vcc_lo, exec_lo, s2
	s_cbranch_vccnz .LBB33_271
; %bb.270:
	scratch_load_b64 v[69:70], v73, off
	ds_load_b64 v[77:78], v72
	s_waitcnt vmcnt(0) lgkmcnt(0)
	v_mul_f64 v[69:70], v[69:70], v[77:78]
	s_cbranch_execz .LBB33_272
	s_branch .LBB33_273
.LBB33_271:
                                        ; implicit-def: $vgpr69_vgpr70
.LBB33_272:
	ds_load_b64 v[69:70], v72
.LBB33_273:
	s_and_saveexec_b32 s4, s0
	s_cbranch_execz .LBB33_277
; %bb.274:
	v_add_nc_u32_e32 v77, -6, v0
	s_movk_i32 s5, 0x140
	s_mov_b32 s0, 0
.LBB33_275:                             ; =>This Inner Loop Header: Depth=1
	scratch_load_b64 v[78:79], v76, off
	v_dual_mov_b32 v80, s5 :: v_dual_add_nc_u32 v77, -1, v77
	v_add_nc_u32_e32 v76, 8, v76
	s_add_i32 s5, s5, 8
	ds_load_b64 v[80:81], v80
	v_cmp_eq_u32_e32 vcc_lo, 0, v77
	s_or_b32 s0, vcc_lo, s0
	s_waitcnt vmcnt(0) lgkmcnt(0)
	v_fma_f64 v[69:70], v[78:79], v[80:81], v[69:70]
	s_and_not1_b32 exec_lo, exec_lo, s0
	s_cbranch_execnz .LBB33_275
; %bb.276:
	s_or_b32 exec_lo, exec_lo, s0
.LBB33_277:
	s_delay_alu instid0(SALU_CYCLE_1)
	s_or_b32 exec_lo, exec_lo, s4
	v_mov_b32_e32 v76, 0
	ds_load_b64 v[76:77], v76 offset:40
	s_waitcnt lgkmcnt(0)
	v_mul_f64 v[69:70], v[69:70], v[76:77]
	scratch_store_b64 off, v[69:70], off offset:40
.LBB33_278:
	s_or_b32 exec_lo, exec_lo, s3
	scratch_load_b64 v[69:70], off, off offset:32
	v_cmp_lt_u32_e64 s0, 4, v0
	s_waitcnt vmcnt(0)
	ds_store_b64 v72, v[69:70]
	s_waitcnt lgkmcnt(0)
	s_waitcnt_vscnt null, 0x0
	s_barrier
	buffer_gl0_inv
	s_and_saveexec_b32 s3, s0
	s_cbranch_execz .LBB33_288
; %bb.279:
	s_and_not1_b32 vcc_lo, exec_lo, s2
	s_cbranch_vccnz .LBB33_281
; %bb.280:
	scratch_load_b64 v[69:70], v73, off
	ds_load_b64 v[76:77], v72
	s_waitcnt vmcnt(0) lgkmcnt(0)
	v_mul_f64 v[69:70], v[69:70], v[76:77]
	s_cbranch_execz .LBB33_282
	s_branch .LBB33_283
.LBB33_281:
                                        ; implicit-def: $vgpr69_vgpr70
.LBB33_282:
	ds_load_b64 v[69:70], v72
.LBB33_283:
	s_and_saveexec_b32 s4, s1
	s_cbranch_execz .LBB33_287
; %bb.284:
	v_add_nc_u32_e64 v76, 0, 40
	v_add_nc_u32_e32 v77, -5, v0
	s_movk_i32 s5, 0x138
	s_mov_b32 s1, 0
.LBB33_285:                             ; =>This Inner Loop Header: Depth=1
	scratch_load_b64 v[78:79], v76, off
	v_dual_mov_b32 v80, s5 :: v_dual_add_nc_u32 v77, -1, v77
	v_add_nc_u32_e32 v76, 8, v76
	s_add_i32 s5, s5, 8
	ds_load_b64 v[80:81], v80
	v_cmp_eq_u32_e32 vcc_lo, 0, v77
	s_or_b32 s1, vcc_lo, s1
	s_waitcnt vmcnt(0) lgkmcnt(0)
	v_fma_f64 v[69:70], v[78:79], v[80:81], v[69:70]
	s_and_not1_b32 exec_lo, exec_lo, s1
	s_cbranch_execnz .LBB33_285
; %bb.286:
	s_or_b32 exec_lo, exec_lo, s1
.LBB33_287:
	s_delay_alu instid0(SALU_CYCLE_1)
	s_or_b32 exec_lo, exec_lo, s4
	v_mov_b32_e32 v76, 0
	ds_load_b64 v[76:77], v76 offset:32
	s_waitcnt lgkmcnt(0)
	v_mul_f64 v[69:70], v[69:70], v[76:77]
	scratch_store_b64 off, v[69:70], off offset:32
.LBB33_288:
	s_or_b32 exec_lo, exec_lo, s3
	scratch_load_b64 v[69:70], off, off offset:24
	v_cmp_lt_u32_e64 s1, 3, v0
	s_waitcnt vmcnt(0)
	ds_store_b64 v72, v[69:70]
	s_waitcnt lgkmcnt(0)
	s_waitcnt_vscnt null, 0x0
	s_barrier
	buffer_gl0_inv
	s_and_saveexec_b32 s3, s1
	s_cbranch_execz .LBB33_298
; %bb.289:
	s_and_not1_b32 vcc_lo, exec_lo, s2
	s_cbranch_vccnz .LBB33_291
; %bb.290:
	scratch_load_b64 v[69:70], v73, off
	ds_load_b64 v[76:77], v72
	s_waitcnt vmcnt(0) lgkmcnt(0)
	v_mul_f64 v[69:70], v[69:70], v[76:77]
	s_cbranch_execz .LBB33_292
	s_branch .LBB33_293
.LBB33_291:
                                        ; implicit-def: $vgpr69_vgpr70
.LBB33_292:
	ds_load_b64 v[69:70], v72
.LBB33_293:
	s_and_saveexec_b32 s4, s0
	s_cbranch_execz .LBB33_297
; %bb.294:
	v_add_nc_u32_e32 v76, -4, v0
	s_movk_i32 s5, 0x130
	s_mov_b32 s0, 0
.LBB33_295:                             ; =>This Inner Loop Header: Depth=1
	scratch_load_b64 v[77:78], v75, off
	v_dual_mov_b32 v79, s5 :: v_dual_add_nc_u32 v76, -1, v76
	v_add_nc_u32_e32 v75, 8, v75
	s_add_i32 s5, s5, 8
	ds_load_b64 v[79:80], v79
	v_cmp_eq_u32_e32 vcc_lo, 0, v76
	s_or_b32 s0, vcc_lo, s0
	s_waitcnt vmcnt(0) lgkmcnt(0)
	v_fma_f64 v[69:70], v[77:78], v[79:80], v[69:70]
	s_and_not1_b32 exec_lo, exec_lo, s0
	s_cbranch_execnz .LBB33_295
; %bb.296:
	s_or_b32 exec_lo, exec_lo, s0
.LBB33_297:
	s_delay_alu instid0(SALU_CYCLE_1)
	s_or_b32 exec_lo, exec_lo, s4
	v_mov_b32_e32 v75, 0
	ds_load_b64 v[75:76], v75 offset:24
	s_waitcnt lgkmcnt(0)
	v_mul_f64 v[69:70], v[69:70], v[75:76]
	scratch_store_b64 off, v[69:70], off offset:24
.LBB33_298:
	s_or_b32 exec_lo, exec_lo, s3
	scratch_load_b64 v[69:70], off, off offset:16
	v_cmp_lt_u32_e64 s0, 2, v0
	s_waitcnt vmcnt(0)
	ds_store_b64 v72, v[69:70]
	s_waitcnt lgkmcnt(0)
	s_waitcnt_vscnt null, 0x0
	s_barrier
	buffer_gl0_inv
	s_and_saveexec_b32 s3, s0
	s_cbranch_execz .LBB33_308
; %bb.299:
	s_and_not1_b32 vcc_lo, exec_lo, s2
	s_cbranch_vccnz .LBB33_301
; %bb.300:
	scratch_load_b64 v[69:70], v73, off
	ds_load_b64 v[75:76], v72
	s_waitcnt vmcnt(0) lgkmcnt(0)
	v_mul_f64 v[69:70], v[69:70], v[75:76]
	s_cbranch_execz .LBB33_302
	s_branch .LBB33_303
.LBB33_301:
                                        ; implicit-def: $vgpr69_vgpr70
.LBB33_302:
	ds_load_b64 v[69:70], v72
.LBB33_303:
	s_and_saveexec_b32 s4, s1
	s_cbranch_execz .LBB33_307
; %bb.304:
	v_add_nc_u32_e64 v75, 0, 24
	v_add_nc_u32_e32 v76, -3, v0
	s_movk_i32 s5, 0x128
	s_mov_b32 s1, 0
.LBB33_305:                             ; =>This Inner Loop Header: Depth=1
	scratch_load_b64 v[77:78], v75, off
	v_dual_mov_b32 v79, s5 :: v_dual_add_nc_u32 v76, -1, v76
	v_add_nc_u32_e32 v75, 8, v75
	s_add_i32 s5, s5, 8
	ds_load_b64 v[79:80], v79
	v_cmp_eq_u32_e32 vcc_lo, 0, v76
	s_or_b32 s1, vcc_lo, s1
	s_waitcnt vmcnt(0) lgkmcnt(0)
	v_fma_f64 v[69:70], v[77:78], v[79:80], v[69:70]
	s_and_not1_b32 exec_lo, exec_lo, s1
	s_cbranch_execnz .LBB33_305
; %bb.306:
	s_or_b32 exec_lo, exec_lo, s1
.LBB33_307:
	s_delay_alu instid0(SALU_CYCLE_1)
	s_or_b32 exec_lo, exec_lo, s4
	v_mov_b32_e32 v75, 0
	ds_load_b64 v[75:76], v75 offset:16
	s_waitcnt lgkmcnt(0)
	v_mul_f64 v[69:70], v[69:70], v[75:76]
	scratch_store_b64 off, v[69:70], off offset:16
.LBB33_308:
	s_or_b32 exec_lo, exec_lo, s3
	scratch_load_b64 v[69:70], off, off offset:8
	v_cmp_lt_u32_e64 s1, 1, v0
	s_waitcnt vmcnt(0)
	ds_store_b64 v72, v[69:70]
	s_waitcnt lgkmcnt(0)
	s_waitcnt_vscnt null, 0x0
	s_barrier
	buffer_gl0_inv
	s_and_saveexec_b32 s3, s1
	s_cbranch_execz .LBB33_318
; %bb.309:
	s_and_not1_b32 vcc_lo, exec_lo, s2
	s_cbranch_vccnz .LBB33_311
; %bb.310:
	scratch_load_b64 v[69:70], v73, off
	ds_load_b64 v[75:76], v72
	s_waitcnt vmcnt(0) lgkmcnt(0)
	v_mul_f64 v[69:70], v[69:70], v[75:76]
	s_cbranch_execz .LBB33_312
	s_branch .LBB33_313
.LBB33_311:
                                        ; implicit-def: $vgpr69_vgpr70
.LBB33_312:
	ds_load_b64 v[69:70], v72
.LBB33_313:
	s_and_saveexec_b32 s4, s0
	s_cbranch_execz .LBB33_317
; %bb.314:
	v_add_nc_u32_e32 v75, -2, v0
	s_movk_i32 s5, 0x120
	s_mov_b32 s0, 0
.LBB33_315:                             ; =>This Inner Loop Header: Depth=1
	scratch_load_b64 v[76:77], v74, off
	v_dual_mov_b32 v78, s5 :: v_dual_add_nc_u32 v75, -1, v75
	v_add_nc_u32_e32 v74, 8, v74
	s_add_i32 s5, s5, 8
	ds_load_b64 v[78:79], v78
	v_cmp_eq_u32_e32 vcc_lo, 0, v75
	s_or_b32 s0, vcc_lo, s0
	s_waitcnt vmcnt(0) lgkmcnt(0)
	v_fma_f64 v[69:70], v[76:77], v[78:79], v[69:70]
	s_and_not1_b32 exec_lo, exec_lo, s0
	s_cbranch_execnz .LBB33_315
; %bb.316:
	s_or_b32 exec_lo, exec_lo, s0
.LBB33_317:
	s_delay_alu instid0(SALU_CYCLE_1)
	s_or_b32 exec_lo, exec_lo, s4
	v_mov_b32_e32 v74, 0
	ds_load_b64 v[74:75], v74 offset:8
	s_waitcnt lgkmcnt(0)
	v_mul_f64 v[69:70], v[69:70], v[74:75]
	scratch_store_b64 off, v[69:70], off offset:8
.LBB33_318:
	s_or_b32 exec_lo, exec_lo, s3
	scratch_load_b64 v[69:70], off, off
	s_mov_b32 s0, 0
	s_mov_b32 s3, exec_lo
	s_waitcnt vmcnt(0)
	ds_store_b64 v72, v[69:70]
	s_waitcnt lgkmcnt(0)
	s_waitcnt_vscnt null, 0x0
	s_barrier
	buffer_gl0_inv
	v_cmpx_ne_u32_e32 0, v0
	s_cbranch_execz .LBB33_328
; %bb.319:
	s_and_not1_b32 vcc_lo, exec_lo, s2
	s_cbranch_vccnz .LBB33_321
; %bb.320:
	scratch_load_b64 v[69:70], v73, off
	ds_load_b64 v[74:75], v72
	s_waitcnt vmcnt(0) lgkmcnt(0)
	v_mul_f64 v[69:70], v[69:70], v[74:75]
	s_cbranch_execz .LBB33_322
	s_branch .LBB33_323
.LBB33_321:
                                        ; implicit-def: $vgpr69_vgpr70
.LBB33_322:
	ds_load_b64 v[69:70], v72
.LBB33_323:
	s_and_saveexec_b32 s4, s1
	s_cbranch_execz .LBB33_327
; %bb.324:
	v_or_b32_e64 v74, 0, 8
	v_add_nc_u32_e32 v75, -1, v0
	s_movk_i32 s5, 0x118
	s_mov_b32 s1, 0
.LBB33_325:                             ; =>This Inner Loop Header: Depth=1
	scratch_load_b64 v[76:77], v74, off
	v_dual_mov_b32 v78, s5 :: v_dual_add_nc_u32 v75, -1, v75
	v_add_nc_u32_e32 v74, 8, v74
	s_add_i32 s5, s5, 8
	ds_load_b64 v[78:79], v78
	v_cmp_eq_u32_e32 vcc_lo, 0, v75
	s_or_b32 s1, vcc_lo, s1
	s_waitcnt vmcnt(0) lgkmcnt(0)
	v_fma_f64 v[69:70], v[76:77], v[78:79], v[69:70]
	s_and_not1_b32 exec_lo, exec_lo, s1
	s_cbranch_execnz .LBB33_325
; %bb.326:
	s_or_b32 exec_lo, exec_lo, s1
.LBB33_327:
	s_delay_alu instid0(SALU_CYCLE_1)
	s_or_b32 exec_lo, exec_lo, s4
	v_mov_b32_e32 v74, 0
	ds_load_b64 v[74:75], v74
	s_waitcnt lgkmcnt(0)
	v_mul_f64 v[69:70], v[69:70], v[74:75]
	scratch_store_b64 off, v[69:70], off
.LBB33_328:
	s_or_b32 exec_lo, exec_lo, s3
.LBB33_329:
	s_delay_alu instid0(SALU_CYCLE_1)
	s_and_b32 vcc_lo, exec_lo, s0
	s_cbranch_vccz .LBB33_655
; %bb.330:
	scratch_load_b64 v[69:70], off, off offset:8
	v_cmp_eq_u32_e64 s0, 0, v0
	s_waitcnt vmcnt(0)
	ds_store_b64 v72, v[69:70]
	s_waitcnt lgkmcnt(0)
	s_waitcnt_vscnt null, 0x0
	s_barrier
	buffer_gl0_inv
	s_and_saveexec_b32 s1, s0
	s_cbranch_execz .LBB33_336
; %bb.331:
	s_and_b32 vcc_lo, exec_lo, s2
	s_cbranch_vccz .LBB33_333
; %bb.332:
	scratch_load_b64 v[69:70], v73, off
	ds_load_b64 v[74:75], v72
	s_waitcnt vmcnt(0) lgkmcnt(0)
	v_mul_f64 v[69:70], v[69:70], v[74:75]
	s_cbranch_execz .LBB33_334
	s_branch .LBB33_335
.LBB33_333:
                                        ; implicit-def: $vgpr69_vgpr70
.LBB33_334:
	ds_load_b64 v[69:70], v72
.LBB33_335:
	v_mov_b32_e32 v74, 0
	ds_load_b64 v[74:75], v74 offset:8
	s_waitcnt lgkmcnt(0)
	v_mul_f64 v[69:70], v[69:70], v[74:75]
	scratch_store_b64 off, v[69:70], off offset:8
.LBB33_336:
	s_or_b32 exec_lo, exec_lo, s1
	scratch_load_b64 v[69:70], off, off offset:16
	v_cndmask_b32_e64 v74, 0, 1, s2
	s_mov_b32 s1, exec_lo
	s_waitcnt vmcnt(0)
	ds_store_b64 v72, v[69:70]
	s_waitcnt lgkmcnt(0)
	s_waitcnt_vscnt null, 0x0
	s_barrier
	buffer_gl0_inv
	v_cmpx_gt_u32_e32 2, v0
	s_cbranch_execz .LBB33_344
; %bb.337:
	s_and_not1_b32 vcc_lo, exec_lo, s2
	s_cbranch_vccnz .LBB33_339
; %bb.338:
	scratch_load_b64 v[69:70], v73, off
	ds_load_b64 v[75:76], v72
	s_waitcnt vmcnt(0) lgkmcnt(0)
	v_mul_f64 v[69:70], v[69:70], v[75:76]
	s_cbranch_execz .LBB33_340
	s_branch .LBB33_341
.LBB33_339:
                                        ; implicit-def: $vgpr69_vgpr70
.LBB33_340:
	ds_load_b64 v[69:70], v72
.LBB33_341:
	s_and_saveexec_b32 s2, s0
	s_cbranch_execz .LBB33_343
; %bb.342:
	scratch_load_b64 v[75:76], v73, off offset:8
	ds_load_b64 v[77:78], v72 offset:8
	s_waitcnt vmcnt(0) lgkmcnt(0)
	v_fma_f64 v[69:70], v[75:76], v[77:78], v[69:70]
.LBB33_343:
	s_or_b32 exec_lo, exec_lo, s2
	v_mov_b32_e32 v75, 0
	ds_load_b64 v[75:76], v75 offset:16
	s_waitcnt lgkmcnt(0)
	v_mul_f64 v[69:70], v[69:70], v[75:76]
	scratch_store_b64 off, v[69:70], off offset:16
.LBB33_344:
	s_or_b32 exec_lo, exec_lo, s1
	scratch_load_b64 v[69:70], off, off offset:24
	s_mov_b32 s1, exec_lo
	s_waitcnt vmcnt(0)
	ds_store_b64 v72, v[69:70]
	s_waitcnt lgkmcnt(0)
	s_waitcnt_vscnt null, 0x0
	s_barrier
	buffer_gl0_inv
	v_cmpx_gt_u32_e32 3, v0
	s_cbranch_execz .LBB33_354
; %bb.345:
	v_cmp_ne_u32_e32 vcc_lo, 1, v74
	s_cbranch_vccnz .LBB33_347
; %bb.346:
	scratch_load_b64 v[69:70], v73, off
	ds_load_b64 v[75:76], v72
	s_waitcnt vmcnt(0) lgkmcnt(0)
	v_mul_f64 v[69:70], v[69:70], v[75:76]
	s_cbranch_execz .LBB33_348
	s_branch .LBB33_349
.LBB33_347:
                                        ; implicit-def: $vgpr69_vgpr70
.LBB33_348:
	ds_load_b64 v[69:70], v72
.LBB33_349:
	s_mov_b32 s2, exec_lo
	v_cmpx_ne_u32_e32 2, v0
	s_cbranch_execz .LBB33_353
; %bb.350:
	scratch_load_b64 v[75:76], v73, off offset:8
	ds_load_b64 v[77:78], v72 offset:8
	s_waitcnt vmcnt(0) lgkmcnt(0)
	v_fma_f64 v[69:70], v[75:76], v[77:78], v[69:70]
	s_and_saveexec_b32 s3, s0
	s_cbranch_execz .LBB33_352
; %bb.351:
	scratch_load_b64 v[75:76], off, off offset:16
	v_mov_b32_e32 v77, 0
	ds_load_b64 v[77:78], v77 offset:288
	s_waitcnt vmcnt(0) lgkmcnt(0)
	v_fma_f64 v[69:70], v[75:76], v[77:78], v[69:70]
.LBB33_352:
	s_or_b32 exec_lo, exec_lo, s3
.LBB33_353:
	s_delay_alu instid0(SALU_CYCLE_1)
	s_or_b32 exec_lo, exec_lo, s2
	v_mov_b32_e32 v75, 0
	ds_load_b64 v[75:76], v75 offset:24
	s_waitcnt lgkmcnt(0)
	v_mul_f64 v[69:70], v[69:70], v[75:76]
	scratch_store_b64 off, v[69:70], off offset:24
.LBB33_354:
	s_or_b32 exec_lo, exec_lo, s1
	scratch_load_b64 v[69:70], off, off offset:32
	s_mov_b32 s0, exec_lo
	s_waitcnt vmcnt(0)
	ds_store_b64 v72, v[69:70]
	s_waitcnt lgkmcnt(0)
	s_waitcnt_vscnt null, 0x0
	s_barrier
	buffer_gl0_inv
	v_cmpx_gt_u32_e32 4, v0
	s_cbranch_execz .LBB33_364
; %bb.355:
	v_cmp_ne_u32_e32 vcc_lo, 1, v74
	s_cbranch_vccnz .LBB33_357
; %bb.356:
	scratch_load_b64 v[69:70], v73, off
	ds_load_b64 v[75:76], v72
	s_waitcnt vmcnt(0) lgkmcnt(0)
	v_mul_f64 v[69:70], v[69:70], v[75:76]
	s_cbranch_execz .LBB33_358
	s_branch .LBB33_359
.LBB33_357:
                                        ; implicit-def: $vgpr69_vgpr70
.LBB33_358:
	ds_load_b64 v[69:70], v72
.LBB33_359:
	s_mov_b32 s1, exec_lo
	v_cmpx_ne_u32_e32 3, v0
	s_cbranch_execz .LBB33_363
; %bb.360:
	v_add_nc_u32_e32 v75, 0x118, v71
	v_add3_u32 v76, 0, v71, 8
	v_mov_b32_e32 v77, v0
	s_mov_b32 s2, 0
.LBB33_361:                             ; =>This Inner Loop Header: Depth=1
	scratch_load_b64 v[78:79], v76, off
	ds_load_b64 v[80:81], v75
	v_add_nc_u32_e32 v77, 1, v77
	v_add_nc_u32_e32 v75, 8, v75
	v_add_nc_u32_e32 v76, 8, v76
	s_delay_alu instid0(VALU_DEP_3)
	v_cmp_lt_u32_e32 vcc_lo, 2, v77
	s_or_b32 s2, vcc_lo, s2
	s_waitcnt vmcnt(0) lgkmcnt(0)
	v_fma_f64 v[69:70], v[78:79], v[80:81], v[69:70]
	s_and_not1_b32 exec_lo, exec_lo, s2
	s_cbranch_execnz .LBB33_361
; %bb.362:
	s_or_b32 exec_lo, exec_lo, s2
.LBB33_363:
	s_delay_alu instid0(SALU_CYCLE_1)
	s_or_b32 exec_lo, exec_lo, s1
	v_mov_b32_e32 v75, 0
	ds_load_b64 v[75:76], v75 offset:32
	s_waitcnt lgkmcnt(0)
	v_mul_f64 v[69:70], v[69:70], v[75:76]
	scratch_store_b64 off, v[69:70], off offset:32
.LBB33_364:
	s_or_b32 exec_lo, exec_lo, s0
	scratch_load_b64 v[69:70], off, off offset:40
	s_mov_b32 s0, exec_lo
	s_waitcnt vmcnt(0)
	ds_store_b64 v72, v[69:70]
	s_waitcnt lgkmcnt(0)
	s_waitcnt_vscnt null, 0x0
	s_barrier
	buffer_gl0_inv
	v_cmpx_gt_u32_e32 5, v0
	s_cbranch_execz .LBB33_374
; %bb.365:
	v_cmp_ne_u32_e32 vcc_lo, 1, v74
	s_cbranch_vccnz .LBB33_367
; %bb.366:
	scratch_load_b64 v[69:70], v73, off
	ds_load_b64 v[75:76], v72
	s_waitcnt vmcnt(0) lgkmcnt(0)
	v_mul_f64 v[69:70], v[69:70], v[75:76]
	s_cbranch_execz .LBB33_368
	s_branch .LBB33_369
.LBB33_367:
                                        ; implicit-def: $vgpr69_vgpr70
.LBB33_368:
	ds_load_b64 v[69:70], v72
.LBB33_369:
	s_mov_b32 s1, exec_lo
	v_cmpx_ne_u32_e32 4, v0
	s_cbranch_execz .LBB33_373
; %bb.370:
	v_add_nc_u32_e32 v75, 0x118, v71
	v_add3_u32 v76, 0, v71, 8
	v_mov_b32_e32 v77, v0
	s_mov_b32 s2, 0
.LBB33_371:                             ; =>This Inner Loop Header: Depth=1
	scratch_load_b64 v[78:79], v76, off
	ds_load_b64 v[80:81], v75
	v_add_nc_u32_e32 v77, 1, v77
	v_add_nc_u32_e32 v75, 8, v75
	v_add_nc_u32_e32 v76, 8, v76
	s_delay_alu instid0(VALU_DEP_3)
	v_cmp_lt_u32_e32 vcc_lo, 3, v77
	s_or_b32 s2, vcc_lo, s2
	s_waitcnt vmcnt(0) lgkmcnt(0)
	v_fma_f64 v[69:70], v[78:79], v[80:81], v[69:70]
	s_and_not1_b32 exec_lo, exec_lo, s2
	s_cbranch_execnz .LBB33_371
; %bb.372:
	s_or_b32 exec_lo, exec_lo, s2
.LBB33_373:
	s_delay_alu instid0(SALU_CYCLE_1)
	s_or_b32 exec_lo, exec_lo, s1
	v_mov_b32_e32 v75, 0
	ds_load_b64 v[75:76], v75 offset:40
	s_waitcnt lgkmcnt(0)
	v_mul_f64 v[69:70], v[69:70], v[75:76]
	scratch_store_b64 off, v[69:70], off offset:40
.LBB33_374:
	;; [unrolled: 58-line block ×28, first 2 shown]
	s_or_b32 exec_lo, exec_lo, s0
	scratch_load_b64 v[69:70], off, off offset:256
	v_cmp_gt_u32_e64 s0, 32, v0
	s_waitcnt vmcnt(0)
	ds_store_b64 v72, v[69:70]
	s_waitcnt lgkmcnt(0)
	s_waitcnt_vscnt null, 0x0
	s_barrier
	buffer_gl0_inv
	s_and_saveexec_b32 s1, s0
	s_cbranch_execz .LBB33_644
; %bb.635:
	v_cmp_ne_u32_e32 vcc_lo, 1, v74
	s_cbranch_vccnz .LBB33_637
; %bb.636:
	scratch_load_b64 v[69:70], v73, off
	ds_load_b64 v[75:76], v72
	s_waitcnt vmcnt(0) lgkmcnt(0)
	v_mul_f64 v[69:70], v[69:70], v[75:76]
	s_cbranch_execz .LBB33_638
	s_branch .LBB33_639
.LBB33_637:
                                        ; implicit-def: $vgpr69_vgpr70
.LBB33_638:
	ds_load_b64 v[69:70], v72
.LBB33_639:
	s_mov_b32 s2, exec_lo
	v_cmpx_ne_u32_e32 31, v0
	s_cbranch_execz .LBB33_643
; %bb.640:
	v_add_nc_u32_e32 v75, 0x118, v71
	v_add3_u32 v76, 0, v71, 8
	v_mov_b32_e32 v77, v0
	s_mov_b32 s3, 0
.LBB33_641:                             ; =>This Inner Loop Header: Depth=1
	scratch_load_b64 v[78:79], v76, off
	ds_load_b64 v[80:81], v75
	v_add_nc_u32_e32 v77, 1, v77
	v_add_nc_u32_e32 v75, 8, v75
	;; [unrolled: 1-line block ×3, first 2 shown]
	s_delay_alu instid0(VALU_DEP_3)
	v_cmp_lt_u32_e32 vcc_lo, 30, v77
	s_or_b32 s3, vcc_lo, s3
	s_waitcnt vmcnt(0) lgkmcnt(0)
	v_fma_f64 v[69:70], v[78:79], v[80:81], v[69:70]
	s_and_not1_b32 exec_lo, exec_lo, s3
	s_cbranch_execnz .LBB33_641
; %bb.642:
	s_or_b32 exec_lo, exec_lo, s3
.LBB33_643:
	s_delay_alu instid0(SALU_CYCLE_1)
	s_or_b32 exec_lo, exec_lo, s2
	v_mov_b32_e32 v75, 0
	ds_load_b64 v[75:76], v75 offset:256
	s_waitcnt lgkmcnt(0)
	v_mul_f64 v[69:70], v[69:70], v[75:76]
	scratch_store_b64 off, v[69:70], off offset:256
.LBB33_644:
	s_or_b32 exec_lo, exec_lo, s1
	scratch_load_b64 v[69:70], off, off offset:264
	s_mov_b32 s1, exec_lo
	s_waitcnt vmcnt(0)
	ds_store_b64 v72, v[69:70]
	s_waitcnt lgkmcnt(0)
	s_waitcnt_vscnt null, 0x0
	s_barrier
	buffer_gl0_inv
	v_cmpx_ne_u32_e32 33, v0
	s_cbranch_execz .LBB33_654
; %bb.645:
	v_cmp_ne_u32_e32 vcc_lo, 1, v74
	s_cbranch_vccnz .LBB33_647
; %bb.646:
	scratch_load_b64 v[69:70], v73, off
	ds_load_b64 v[73:74], v72
	s_waitcnt vmcnt(0) lgkmcnt(0)
	v_mul_f64 v[69:70], v[69:70], v[73:74]
	s_cbranch_execz .LBB33_648
	s_branch .LBB33_649
.LBB33_647:
                                        ; implicit-def: $vgpr69_vgpr70
.LBB33_648:
	ds_load_b64 v[69:70], v72
.LBB33_649:
	s_and_saveexec_b32 s2, s0
	s_cbranch_execz .LBB33_653
; %bb.650:
	v_add_nc_u32_e32 v72, 0x118, v71
	v_add3_u32 v71, 0, v71, 8
	s_mov_b32 s0, 0
.LBB33_651:                             ; =>This Inner Loop Header: Depth=1
	scratch_load_b64 v[73:74], v71, off
	ds_load_b64 v[75:76], v72
	v_add_nc_u32_e32 v0, 1, v0
	v_add_nc_u32_e32 v72, 8, v72
	;; [unrolled: 1-line block ×3, first 2 shown]
	s_delay_alu instid0(VALU_DEP_3)
	v_cmp_lt_u32_e32 vcc_lo, 31, v0
	s_or_b32 s0, vcc_lo, s0
	s_waitcnt vmcnt(0) lgkmcnt(0)
	v_fma_f64 v[69:70], v[73:74], v[75:76], v[69:70]
	s_and_not1_b32 exec_lo, exec_lo, s0
	s_cbranch_execnz .LBB33_651
; %bb.652:
	s_or_b32 exec_lo, exec_lo, s0
.LBB33_653:
	s_delay_alu instid0(SALU_CYCLE_1)
	s_or_b32 exec_lo, exec_lo, s2
	v_mov_b32_e32 v0, 0
	ds_load_b64 v[71:72], v0 offset:264
	s_waitcnt lgkmcnt(0)
	v_mul_f64 v[69:70], v[69:70], v[71:72]
	scratch_store_b64 off, v[69:70], off offset:264
.LBB33_654:
	s_or_b32 exec_lo, exec_lo, s1
.LBB33_655:
	s_clause 0x5
	scratch_load_b128 v[69:72], off, off
	scratch_load_b128 v[73:76], off, off offset:16
	scratch_load_b128 v[77:80], off, off offset:32
	;; [unrolled: 1-line block ×5, first 2 shown]
	s_waitcnt vmcnt(5)
	s_clause 0x1
	global_store_b64 v[11:12], v[69:70], off
	global_store_b64 v[15:16], v[71:72], off
	s_clause 0x1
	scratch_load_b128 v[69:72], off, off offset:96
	scratch_load_b128 v[93:96], off, off offset:112
	s_waitcnt vmcnt(6)
	s_clause 0x1
	global_store_b64 v[9:10], v[73:74], off
	global_store_b64 v[13:14], v[75:76], off
	s_clause 0x1
	scratch_load_b128 v[9:12], off, off offset:128
	scratch_load_b128 v[13:16], off, off offset:144
	s_waitcnt vmcnt(7)
	s_clause 0x1
	global_store_b64 v[1:2], v[77:78], off
	global_store_b64 v[3:4], v[79:80], off
	s_clause 0x1
	scratch_load_b128 v[0:3], off, off offset:160
	scratch_load_b128 v[73:76], off, off offset:176
	s_waitcnt vmcnt(8)
	s_clause 0x1
	global_store_b64 v[5:6], v[81:82], off
	global_store_b64 v[7:8], v[83:84], off
	s_clause 0x1
	scratch_load_b128 v[4:7], off, off offset:192
	scratch_load_b128 v[77:80], off, off offset:208
	s_waitcnt vmcnt(9)
	s_clause 0x1
	global_store_b64 v[31:32], v[85:86], off
	global_store_b64 v[33:34], v[87:88], off
	s_clause 0x1
	scratch_load_b128 v[31:34], off, off offset:224
	scratch_load_b128 v[81:84], off, off offset:240
	s_waitcnt vmcnt(10)
	s_clause 0x1
	global_store_b64 v[23:24], v[89:90], off
	global_store_b64 v[25:26], v[91:92], off
	scratch_load_b128 v[23:26], off, off offset:256
	s_waitcnt vmcnt(10)
	s_clause 0x1
	global_store_b64 v[19:20], v[69:70], off
	global_store_b64 v[21:22], v[71:72], off
	s_waitcnt vmcnt(9)
	s_clause 0x1
	global_store_b64 v[27:28], v[93:94], off
	global_store_b64 v[29:30], v[95:96], off
	;; [unrolled: 4-line block ×11, first 2 shown]
.LBB33_656:
	s_endpgm
	.section	.rodata,"a",@progbits
	.p2align	6, 0x0
	.amdhsa_kernel _ZN9rocsolver6v33100L18trti2_kernel_smallILi34EdPdEEv13rocblas_fill_17rocblas_diagonal_T1_iil
		.amdhsa_group_segment_fixed_size 544
		.amdhsa_private_segment_fixed_size 288
		.amdhsa_kernarg_size 32
		.amdhsa_user_sgpr_count 15
		.amdhsa_user_sgpr_dispatch_ptr 0
		.amdhsa_user_sgpr_queue_ptr 0
		.amdhsa_user_sgpr_kernarg_segment_ptr 1
		.amdhsa_user_sgpr_dispatch_id 0
		.amdhsa_user_sgpr_private_segment_size 0
		.amdhsa_wavefront_size32 1
		.amdhsa_uses_dynamic_stack 0
		.amdhsa_enable_private_segment 1
		.amdhsa_system_sgpr_workgroup_id_x 1
		.amdhsa_system_sgpr_workgroup_id_y 0
		.amdhsa_system_sgpr_workgroup_id_z 0
		.amdhsa_system_sgpr_workgroup_info 0
		.amdhsa_system_vgpr_workitem_id 0
		.amdhsa_next_free_vgpr 98
		.amdhsa_next_free_sgpr 16
		.amdhsa_reserve_vcc 1
		.amdhsa_float_round_mode_32 0
		.amdhsa_float_round_mode_16_64 0
		.amdhsa_float_denorm_mode_32 3
		.amdhsa_float_denorm_mode_16_64 3
		.amdhsa_dx10_clamp 1
		.amdhsa_ieee_mode 1
		.amdhsa_fp16_overflow 0
		.amdhsa_workgroup_processor_mode 1
		.amdhsa_memory_ordered 1
		.amdhsa_forward_progress 0
		.amdhsa_shared_vgpr_count 0
		.amdhsa_exception_fp_ieee_invalid_op 0
		.amdhsa_exception_fp_denorm_src 0
		.amdhsa_exception_fp_ieee_div_zero 0
		.amdhsa_exception_fp_ieee_overflow 0
		.amdhsa_exception_fp_ieee_underflow 0
		.amdhsa_exception_fp_ieee_inexact 0
		.amdhsa_exception_int_div_zero 0
	.end_amdhsa_kernel
	.section	.text._ZN9rocsolver6v33100L18trti2_kernel_smallILi34EdPdEEv13rocblas_fill_17rocblas_diagonal_T1_iil,"axG",@progbits,_ZN9rocsolver6v33100L18trti2_kernel_smallILi34EdPdEEv13rocblas_fill_17rocblas_diagonal_T1_iil,comdat
.Lfunc_end33:
	.size	_ZN9rocsolver6v33100L18trti2_kernel_smallILi34EdPdEEv13rocblas_fill_17rocblas_diagonal_T1_iil, .Lfunc_end33-_ZN9rocsolver6v33100L18trti2_kernel_smallILi34EdPdEEv13rocblas_fill_17rocblas_diagonal_T1_iil
                                        ; -- End function
	.section	.AMDGPU.csdata,"",@progbits
; Kernel info:
; codeLenInByte = 18444
; NumSgprs: 18
; NumVgprs: 98
; ScratchSize: 288
; MemoryBound: 0
; FloatMode: 240
; IeeeMode: 1
; LDSByteSize: 544 bytes/workgroup (compile time only)
; SGPRBlocks: 2
; VGPRBlocks: 12
; NumSGPRsForWavesPerEU: 18
; NumVGPRsForWavesPerEU: 98
; Occupancy: 12
; WaveLimiterHint : 0
; COMPUTE_PGM_RSRC2:SCRATCH_EN: 1
; COMPUTE_PGM_RSRC2:USER_SGPR: 15
; COMPUTE_PGM_RSRC2:TRAP_HANDLER: 0
; COMPUTE_PGM_RSRC2:TGID_X_EN: 1
; COMPUTE_PGM_RSRC2:TGID_Y_EN: 0
; COMPUTE_PGM_RSRC2:TGID_Z_EN: 0
; COMPUTE_PGM_RSRC2:TIDIG_COMP_CNT: 0
	.section	.text._ZN9rocsolver6v33100L18trti2_kernel_smallILi35EdPdEEv13rocblas_fill_17rocblas_diagonal_T1_iil,"axG",@progbits,_ZN9rocsolver6v33100L18trti2_kernel_smallILi35EdPdEEv13rocblas_fill_17rocblas_diagonal_T1_iil,comdat
	.globl	_ZN9rocsolver6v33100L18trti2_kernel_smallILi35EdPdEEv13rocblas_fill_17rocblas_diagonal_T1_iil ; -- Begin function _ZN9rocsolver6v33100L18trti2_kernel_smallILi35EdPdEEv13rocblas_fill_17rocblas_diagonal_T1_iil
	.p2align	8
	.type	_ZN9rocsolver6v33100L18trti2_kernel_smallILi35EdPdEEv13rocblas_fill_17rocblas_diagonal_T1_iil,@function
_ZN9rocsolver6v33100L18trti2_kernel_smallILi35EdPdEEv13rocblas_fill_17rocblas_diagonal_T1_iil: ; @_ZN9rocsolver6v33100L18trti2_kernel_smallILi35EdPdEEv13rocblas_fill_17rocblas_diagonal_T1_iil
; %bb.0:
	s_mov_b32 s2, exec_lo
	v_cmpx_gt_u32_e32 35, v0
	s_cbranch_execz .LBB34_676
; %bb.1:
	s_load_b256 s[0:7], s[0:1], 0x0
	s_ashr_i32 s8, s15, 31
	v_lshlrev_b32_e32 v73, 3, v0
	s_waitcnt lgkmcnt(0)
	v_add3_u32 v1, s5, s5, v0
	s_mul_i32 s9, s15, s7
	s_mul_hi_u32 s11, s15, s6
	s_mul_i32 s12, s8, s6
	s_mul_i32 s10, s15, s6
	s_ashr_i32 s7, s4, 31
	s_mov_b32 s6, s4
	s_add_i32 s4, s11, s9
	v_add_nc_u32_e32 v5, s5, v1
	s_add_i32 s11, s4, s12
	v_ashrrev_i32_e32 v2, 31, v1
	s_lshl_b64 s[10:11], s[10:11], 3
	s_mov_b32 s8, s5
	s_add_u32 s4, s2, s10
	s_addc_u32 s9, s3, s11
	s_lshl_b64 s[2:3], s[6:7], 3
	v_add_nc_u32_e32 v7, s5, v5
	s_add_u32 s2, s4, s2
	v_ashrrev_i32_e32 v6, 31, v5
	s_addc_u32 s3, s9, s3
	v_add_co_u32 v3, s4, s2, v73
	s_ashr_i32 s9, s5, 31
	v_add_nc_u32_e32 v11, s5, v7
	v_lshlrev_b64 v[9:10], 3, v[1:2]
	v_add_co_ci_u32_e64 v4, null, s3, 0, s4
	s_lshl_b64 s[6:7], s[8:9], 3
	v_lshlrev_b64 v[13:14], 3, v[5:6]
	v_add_co_u32 v1, vcc_lo, v3, s6
	v_ashrrev_i32_e32 v8, 31, v7
	v_add_nc_u32_e32 v15, s5, v11
	v_add_co_ci_u32_e32 v2, vcc_lo, s7, v4, vcc_lo
	v_add_co_u32 v5, vcc_lo, s2, v9
	v_add_co_ci_u32_e32 v6, vcc_lo, s3, v10, vcc_lo
	v_lshlrev_b64 v[9:10], 3, v[7:8]
	v_add_co_u32 v7, vcc_lo, s2, v13
	v_add_nc_u32_e32 v13, s5, v15
	v_ashrrev_i32_e32 v12, 31, v11
	v_ashrrev_i32_e32 v16, 31, v15
	v_add_co_ci_u32_e32 v8, vcc_lo, s3, v14, vcc_lo
	s_delay_alu instid0(VALU_DEP_4) | instskip(NEXT) | instid1(VALU_DEP_4)
	v_add_nc_u32_e32 v17, s5, v13
	v_lshlrev_b64 v[11:12], 3, v[11:12]
	v_ashrrev_i32_e32 v14, 31, v13
	v_add_co_u32 v9, vcc_lo, s2, v9
	s_delay_alu instid0(VALU_DEP_4)
	v_add_nc_u32_e32 v19, s5, v17
	v_lshlrev_b64 v[15:16], 3, v[15:16]
	s_clause 0x1
	global_load_b64 v[47:48], v73, s[2:3]
	global_load_b64 v[49:50], v[1:2], off
	v_add_co_ci_u32_e32 v10, vcc_lo, s3, v10, vcc_lo
	v_add_co_u32 v11, vcc_lo, s2, v11
	v_lshlrev_b64 v[21:22], 3, v[13:14]
	v_add_nc_u32_e32 v23, s5, v19
	v_add_co_ci_u32_e32 v12, vcc_lo, s3, v12, vcc_lo
	v_add_co_u32 v13, vcc_lo, s2, v15
	v_ashrrev_i32_e32 v18, 31, v17
	v_add_co_ci_u32_e32 v14, vcc_lo, s3, v16, vcc_lo
	v_add_co_u32 v15, vcc_lo, s2, v21
	v_add_nc_u32_e32 v21, s5, v23
	v_ashrrev_i32_e32 v20, 31, v19
	v_lshlrev_b64 v[17:18], 3, v[17:18]
	s_clause 0x2
	global_load_b64 v[55:56], v[5:6], off
	global_load_b64 v[57:58], v[7:8], off
	;; [unrolled: 1-line block ×3, first 2 shown]
	v_ashrrev_i32_e32 v24, 31, v23
	global_load_b64 v[61:62], v[11:12], off
	v_add_nc_u32_e32 v25, s5, v21
	v_lshlrev_b64 v[19:20], 3, v[19:20]
	v_add_co_ci_u32_e32 v16, vcc_lo, s3, v22, vcc_lo
	v_ashrrev_i32_e32 v22, 31, v21
	v_add_co_u32 v17, vcc_lo, s2, v17
	v_lshlrev_b64 v[23:24], 3, v[23:24]
	v_add_nc_u32_e32 v29, s5, v25
	v_add_co_ci_u32_e32 v18, vcc_lo, s3, v18, vcc_lo
	v_add_co_u32 v19, vcc_lo, s2, v19
	v_lshlrev_b64 v[27:28], 3, v[21:22]
	v_ashrrev_i32_e32 v26, 31, v25
	v_add_co_ci_u32_e32 v20, vcc_lo, s3, v20, vcc_lo
	v_add_co_u32 v21, vcc_lo, s2, v23
	v_ashrrev_i32_e32 v30, 31, v29
	s_clause 0x3
	global_load_b64 v[63:64], v[13:14], off
	global_load_b64 v[65:66], v[15:16], off
	;; [unrolled: 1-line block ×4, first 2 shown]
	v_add_co_ci_u32_e32 v22, vcc_lo, s3, v24, vcc_lo
	v_lshlrev_b64 v[25:26], 3, v[25:26]
	v_add_co_u32 v23, vcc_lo, s2, v27
	v_add_co_ci_u32_e32 v24, vcc_lo, s3, v28, vcc_lo
	v_lshlrev_b64 v[27:28], 3, v[29:30]
	s_delay_alu instid0(VALU_DEP_4) | instskip(SKIP_2) | instid1(VALU_DEP_4)
	v_add_co_u32 v25, vcc_lo, s2, v25
	v_add_co_ci_u32_e32 v26, vcc_lo, s3, v26, vcc_lo
	v_add_nc_u32_e32 v29, s5, v29
	v_add_co_u32 v27, vcc_lo, s2, v27
	v_add_co_ci_u32_e32 v28, vcc_lo, s3, v28, vcc_lo
	s_clause 0x3
	global_load_b64 v[74:75], v[21:22], off
	global_load_b64 v[76:77], v[23:24], off
	;; [unrolled: 1-line block ×4, first 2 shown]
	v_add_nc_u32_e32 v31, s5, v29
	v_ashrrev_i32_e32 v30, 31, v29
	s_cmpk_lg_i32 s1, 0x84
	s_delay_alu instid0(VALU_DEP_2) | instskip(SKIP_1) | instid1(VALU_DEP_3)
	v_add_nc_u32_e32 v33, s5, v31
	v_ashrrev_i32_e32 v32, 31, v31
	v_lshlrev_b64 v[29:30], 3, v[29:30]
	s_delay_alu instid0(VALU_DEP_3) | instskip(SKIP_1) | instid1(VALU_DEP_4)
	v_add_nc_u32_e32 v35, s5, v33
	v_ashrrev_i32_e32 v34, 31, v33
	v_lshlrev_b64 v[31:32], 3, v[31:32]
	s_delay_alu instid0(VALU_DEP_4) | instskip(NEXT) | instid1(VALU_DEP_4)
	v_add_co_u32 v29, vcc_lo, s2, v29
	v_add_nc_u32_e32 v37, s5, v35
	v_ashrrev_i32_e32 v36, 31, v35
	v_lshlrev_b64 v[33:34], 3, v[33:34]
	v_add_co_ci_u32_e32 v30, vcc_lo, s3, v30, vcc_lo
	s_delay_alu instid0(VALU_DEP_4) | instskip(SKIP_3) | instid1(VALU_DEP_4)
	v_add_nc_u32_e32 v39, s5, v37
	v_ashrrev_i32_e32 v38, 31, v37
	v_add_co_u32 v31, vcc_lo, s2, v31
	v_lshlrev_b64 v[35:36], 3, v[35:36]
	v_add_nc_u32_e32 v41, s5, v39
	v_ashrrev_i32_e32 v40, 31, v39
	v_add_co_ci_u32_e32 v32, vcc_lo, s3, v32, vcc_lo
	v_add_co_u32 v33, vcc_lo, s2, v33
	s_delay_alu instid0(VALU_DEP_4) | instskip(SKIP_3) | instid1(VALU_DEP_4)
	v_add_nc_u32_e32 v43, s5, v41
	v_lshlrev_b64 v[37:38], 3, v[37:38]
	v_ashrrev_i32_e32 v42, 31, v41
	v_add_co_ci_u32_e32 v34, vcc_lo, s3, v34, vcc_lo
	v_add_nc_u32_e32 v45, s5, v43
	v_add_co_u32 v35, vcc_lo, s2, v35
	v_lshlrev_b64 v[39:40], 3, v[39:40]
	v_add_co_ci_u32_e32 v36, vcc_lo, s3, v36, vcc_lo
	s_delay_alu instid0(VALU_DEP_4) | instskip(SKIP_3) | instid1(VALU_DEP_4)
	v_add_nc_u32_e32 v51, s5, v45
	v_add_co_u32 v37, vcc_lo, s2, v37
	v_lshlrev_b64 v[41:42], 3, v[41:42]
	v_ashrrev_i32_e32 v44, 31, v43
	v_add_nc_u32_e32 v53, s5, v51
	v_add_co_ci_u32_e32 v38, vcc_lo, s3, v38, vcc_lo
	v_add_co_u32 v39, vcc_lo, s2, v39
	s_delay_alu instid0(VALU_DEP_3) | instskip(SKIP_3) | instid1(VALU_DEP_4)
	v_add_nc_u32_e32 v71, s5, v53
	v_ashrrev_i32_e32 v46, 31, v45
	v_add_co_ci_u32_e32 v40, vcc_lo, s3, v40, vcc_lo
	v_lshlrev_b64 v[90:91], 3, v[43:44]
	v_add_nc_u32_e32 v96, s5, v71
	v_add_co_u32 v43, vcc_lo, s2, v41
	v_ashrrev_i32_e32 v52, 31, v51
	v_add_co_ci_u32_e32 v44, vcc_lo, s3, v42, vcc_lo
	s_delay_alu instid0(VALU_DEP_4)
	v_add_nc_u32_e32 v104, s5, v96
	v_lshlrev_b64 v[97:98], 3, v[45:46]
	v_ashrrev_i32_e32 v54, 31, v53
	s_clause 0x2
	global_load_b64 v[82:83], v[29:30], off
	global_load_b64 v[84:85], v[31:32], off
	;; [unrolled: 1-line block ×3, first 2 shown]
	v_ashrrev_i32_e32 v72, 31, v71
	v_add_nc_u32_e32 v106, s5, v104
	v_ashrrev_i32_e32 v105, 31, v104
	s_delay_alu instid0(VALU_DEP_2) | instskip(SKIP_1) | instid1(VALU_DEP_2)
	v_add_nc_u32_e32 v108, s5, v106
	v_ashrrev_i32_e32 v107, 31, v106
	v_add_nc_u32_e32 v110, s5, v108
	v_ashrrev_i32_e32 v109, 31, v108
	s_delay_alu instid0(VALU_DEP_2) | instskip(SKIP_1) | instid1(VALU_DEP_2)
	v_add_nc_u32_e32 v112, s5, v110
	;; [unrolled: 5-line block ×3, first 2 shown]
	v_ashrrev_i32_e32 v115, 31, v114
	v_add_nc_u32_e32 v88, s5, v116
	v_ashrrev_i32_e32 v117, 31, v116
	s_delay_alu instid0(VALU_DEP_2) | instskip(NEXT) | instid1(VALU_DEP_1)
	v_ashrrev_i32_e32 v89, 31, v88
	v_lshlrev_b64 v[88:89], 3, v[88:89]
	s_delay_alu instid0(VALU_DEP_1) | instskip(NEXT) | instid1(VALU_DEP_2)
	v_add_co_u32 v41, vcc_lo, s2, v88
	v_add_co_ci_u32_e32 v42, vcc_lo, s3, v89, vcc_lo
	v_add_co_u32 v45, vcc_lo, s2, v90
	v_add_co_ci_u32_e32 v46, vcc_lo, s3, v91, vcc_lo
	global_load_b64 v[118:119], v[41:42], off
	s_waitcnt vmcnt(16)
	scratch_store_b128 off, v[47:50], off
	v_lshlrev_b64 v[49:50], 3, v[51:52]
	v_add_co_u32 v47, vcc_lo, s2, v97
	v_lshlrev_b64 v[51:52], 3, v[53:54]
	v_ashrrev_i32_e32 v97, 31, v96
	v_add_co_ci_u32_e32 v48, vcc_lo, s3, v98, vcc_lo
	v_add_co_u32 v49, vcc_lo, s2, v49
	v_lshlrev_b64 v[53:54], 3, v[71:72]
	v_add_co_ci_u32_e32 v50, vcc_lo, s3, v50, vcc_lo
	v_add_co_u32 v51, vcc_lo, s2, v51
	v_lshlrev_b64 v[71:72], 3, v[96:97]
	v_add_co_ci_u32_e32 v52, vcc_lo, s3, v52, vcc_lo
	s_clause 0x3
	global_load_b64 v[88:89], v[35:36], off
	global_load_b64 v[90:91], v[37:38], off
	;; [unrolled: 1-line block ×4, first 2 shown]
	v_add_co_u32 v53, vcc_lo, s2, v53
	s_waitcnt vmcnt(18)
	scratch_store_b128 off, v[55:58], off offset:16
	s_waitcnt vmcnt(16)
	scratch_store_b128 off, v[59:62], off offset:32
	v_lshlrev_b64 v[57:58], 3, v[104:105]
	v_add_co_ci_u32_e32 v54, vcc_lo, s3, v54, vcc_lo
	v_add_co_u32 v55, vcc_lo, s2, v71
	v_lshlrev_b64 v[59:60], 3, v[106:107]
	v_add_co_ci_u32_e32 v56, vcc_lo, s3, v72, vcc_lo
	v_add_co_u32 v57, vcc_lo, s2, v57
	;; [unrolled: 3-line block ×3, first 2 shown]
	v_lshlrev_b64 v[71:72], 3, v[110:111]
	v_add_co_ci_u32_e32 v60, vcc_lo, s3, v60, vcc_lo
	s_clause 0x3
	global_load_b64 v[96:97], v[45:46], off
	global_load_b64 v[98:99], v[47:48], off
	;; [unrolled: 1-line block ×4, first 2 shown]
	s_waitcnt vmcnt(18)
	scratch_store_b128 off, v[63:66], off offset:48
	s_waitcnt vmcnt(16)
	scratch_store_b128 off, v[67:70], off offset:64
	v_add_co_u32 v61, vcc_lo, s2, v61
	v_lshlrev_b64 v[65:66], 3, v[112:113]
	v_add_co_ci_u32_e32 v62, vcc_lo, s3, v62, vcc_lo
	v_add_co_u32 v63, vcc_lo, s2, v71
	v_lshlrev_b64 v[67:68], 3, v[114:115]
	v_add_co_ci_u32_e32 v64, vcc_lo, s3, v72, vcc_lo
	v_mov_b32_e32 v71, 0
	v_add_co_u32 v65, vcc_lo, s2, v65
	v_lshlrev_b64 v[69:70], 3, v[116:117]
	v_add_co_ci_u32_e32 v66, vcc_lo, s3, v66, vcc_lo
	v_add_co_u32 v67, vcc_lo, s2, v67
	v_add_co_ci_u32_e32 v68, vcc_lo, s3, v68, vcc_lo
	s_delay_alu instid0(VALU_DEP_4)
	v_add_co_u32 v69, vcc_lo, s2, v69
	s_clause 0x3
	global_load_b64 v[104:105], v[53:54], off
	global_load_b64 v[106:107], v[55:56], off
	;; [unrolled: 1-line block ×4, first 2 shown]
	v_add_co_ci_u32_e32 v70, vcc_lo, s3, v70, vcc_lo
	s_waitcnt vmcnt(18)
	scratch_store_b128 off, v[74:77], off offset:80
	s_waitcnt vmcnt(16)
	scratch_store_b128 off, v[78:81], off offset:96
	s_clause 0x4
	global_load_b64 v[112:113], v[61:62], off
	global_load_b64 v[74:75], v[63:64], off
	global_load_b64 v[76:77], v[65:66], off
	global_load_b64 v[78:79], v[67:68], off
	global_load_b64 v[80:81], v[69:70], off
	v_mov_b32_e32 v72, 0xbff00000
	s_cselect_b32 s3, -1, 0
	s_cmpk_eq_i32 s1, 0x84
	s_waitcnt vmcnt(19)
	scratch_store_b128 off, v[82:85], off offset:112
	s_waitcnt vmcnt(16)
	scratch_store_b128 off, v[86:89], off offset:128
	;; [unrolled: 2-line block ×9, first 2 shown]
	s_waitcnt vmcnt(0)
	s_clause 0x1
	scratch_store_b128 off, v[78:81], off offset:256
	scratch_store_b64 off, v[118:119], off offset:272
	s_cbranch_scc1 .LBB34_3
; %bb.2:
	scratch_load_b64 v[71:72], v73, off
	s_waitcnt vmcnt(0)
	v_div_scale_f64 v[74:75], null, v[71:72], v[71:72], 1.0
	v_div_scale_f64 v[80:81], vcc_lo, 1.0, v[71:72], 1.0
	s_delay_alu instid0(VALU_DEP_2) | instskip(SKIP_2) | instid1(VALU_DEP_1)
	v_rcp_f64_e32 v[76:77], v[74:75]
	s_waitcnt_depctr 0xfff
	v_fma_f64 v[78:79], -v[74:75], v[76:77], 1.0
	v_fma_f64 v[76:77], v[76:77], v[78:79], v[76:77]
	s_delay_alu instid0(VALU_DEP_1) | instskip(NEXT) | instid1(VALU_DEP_1)
	v_fma_f64 v[78:79], -v[74:75], v[76:77], 1.0
	v_fma_f64 v[76:77], v[76:77], v[78:79], v[76:77]
	s_delay_alu instid0(VALU_DEP_1) | instskip(NEXT) | instid1(VALU_DEP_1)
	v_mul_f64 v[78:79], v[80:81], v[76:77]
	v_fma_f64 v[74:75], -v[74:75], v[78:79], v[80:81]
	s_delay_alu instid0(VALU_DEP_1) | instskip(NEXT) | instid1(VALU_DEP_1)
	v_div_fmas_f64 v[74:75], v[74:75], v[76:77], v[78:79]
	v_div_fixup_f64 v[71:72], v[74:75], v[71:72], 1.0
	scratch_store_b64 v73, v[71:72], off
	v_xor_b32_e32 v72, 0x80000000, v72
.LBB34_3:
	v_add_nc_u32_e32 v74, 0x120, v73
	v_add_nc_u32_e32 v75, 0, v73
	s_cmpk_eq_i32 s0, 0x79
	s_mov_b32 s0, -1
	ds_store_b64 v73, v[71:72]
	s_cbranch_scc1 .LBB34_339
; %bb.4:
	scratch_load_b64 v[71:72], off, off offset:264
	v_cmp_eq_u32_e64 s0, 34, v0
	s_movk_i32 s1, 0x50
	s_movk_i32 s2, 0x60
	;; [unrolled: 1-line block ×12, first 2 shown]
	s_waitcnt vmcnt(0)
	ds_store_b64 v74, v[71:72]
	s_waitcnt lgkmcnt(0)
	s_waitcnt_vscnt null, 0x0
	s_barrier
	buffer_gl0_inv
	s_and_saveexec_b32 s14, s0
	s_cbranch_execz .LBB34_10
; %bb.5:
	s_and_b32 vcc_lo, exec_lo, s3
	s_cbranch_vccz .LBB34_7
; %bb.6:
	scratch_load_b64 v[71:72], v75, off
	ds_load_b64 v[76:77], v74
	s_waitcnt vmcnt(0) lgkmcnt(0)
	v_mul_f64 v[71:72], v[71:72], v[76:77]
	s_cbranch_execz .LBB34_8
	s_branch .LBB34_9
.LBB34_7:
                                        ; implicit-def: $vgpr71_vgpr72
.LBB34_8:
	ds_load_b64 v[71:72], v74
.LBB34_9:
	v_mov_b32_e32 v76, 0
	ds_load_b64 v[76:77], v76 offset:264
	s_waitcnt lgkmcnt(0)
	v_mul_f64 v[71:72], v[71:72], v[76:77]
	scratch_store_b64 off, v[71:72], off offset:264
.LBB34_10:
	s_or_b32 exec_lo, exec_lo, s14
	scratch_load_b64 v[71:72], off, off offset:256
	v_add_nc_u32_e64 v76, 0, 16
	v_add_nc_u32_e64 v77, 0, 32
	;; [unrolled: 1-line block ×16, first 2 shown]
	v_cmp_lt_u32_e64 s2, 32, v0
	s_waitcnt vmcnt(0)
	ds_store_b64 v74, v[71:72]
	s_waitcnt lgkmcnt(0)
	s_waitcnt_vscnt null, 0x0
	s_barrier
	buffer_gl0_inv
	s_and_saveexec_b32 s1, s2
	s_cbranch_execz .LBB34_18
; %bb.11:
	s_and_not1_b32 vcc_lo, exec_lo, s3
	s_cbranch_vccnz .LBB34_13
; %bb.12:
	scratch_load_b64 v[71:72], v75, off
	ds_load_b64 v[92:93], v74
	s_waitcnt vmcnt(0) lgkmcnt(0)
	v_mul_f64 v[71:72], v[71:72], v[92:93]
	s_cbranch_execz .LBB34_14
	s_branch .LBB34_15
.LBB34_13:
                                        ; implicit-def: $vgpr71_vgpr72
.LBB34_14:
	ds_load_b64 v[71:72], v74
.LBB34_15:
	s_and_saveexec_b32 s4, s0
	s_cbranch_execz .LBB34_17
; %bb.16:
	scratch_load_b64 v[92:93], off, off offset:264
	v_mov_b32_e32 v94, 0
	ds_load_b64 v[94:95], v94 offset:552
	s_waitcnt vmcnt(0) lgkmcnt(0)
	v_fma_f64 v[71:72], v[92:93], v[94:95], v[71:72]
.LBB34_17:
	s_or_b32 exec_lo, exec_lo, s4
	v_mov_b32_e32 v92, 0
	ds_load_b64 v[92:93], v92 offset:256
	s_waitcnt lgkmcnt(0)
	v_mul_f64 v[71:72], v[71:72], v[92:93]
	scratch_store_b64 off, v[71:72], off offset:256
.LBB34_18:
	s_or_b32 exec_lo, exec_lo, s1
	scratch_load_b64 v[71:72], off, off offset:248
	v_cmp_lt_u32_e64 s1, 31, v0
	s_waitcnt vmcnt(0)
	ds_store_b64 v74, v[71:72]
	s_waitcnt lgkmcnt(0)
	s_waitcnt_vscnt null, 0x0
	s_barrier
	buffer_gl0_inv
	s_and_saveexec_b32 s0, s1
	s_cbranch_execz .LBB34_28
; %bb.19:
	s_and_not1_b32 vcc_lo, exec_lo, s3
	s_cbranch_vccnz .LBB34_21
; %bb.20:
	scratch_load_b64 v[71:72], v75, off
	ds_load_b64 v[92:93], v74
	s_waitcnt vmcnt(0) lgkmcnt(0)
	v_mul_f64 v[71:72], v[71:72], v[92:93]
	s_cbranch_execz .LBB34_22
	s_branch .LBB34_23
.LBB34_21:
                                        ; implicit-def: $vgpr71_vgpr72
.LBB34_22:
	ds_load_b64 v[71:72], v74
.LBB34_23:
	s_and_saveexec_b32 s4, s2
	s_cbranch_execz .LBB34_27
; %bb.24:
	v_subrev_nc_u32_e32 v92, 32, v0
	s_movk_i32 s5, 0x220
	s_mov_b32 s2, 0
.LBB34_25:                              ; =>This Inner Loop Header: Depth=1
	scratch_load_b64 v[93:94], v91, off
	v_dual_mov_b32 v95, s5 :: v_dual_add_nc_u32 v92, -1, v92
	v_add_nc_u32_e32 v91, 8, v91
	s_add_i32 s5, s5, 8
	ds_load_b64 v[95:96], v95
	v_cmp_eq_u32_e32 vcc_lo, 0, v92
	s_or_b32 s2, vcc_lo, s2
	s_waitcnt vmcnt(0) lgkmcnt(0)
	v_fma_f64 v[71:72], v[93:94], v[95:96], v[71:72]
	s_and_not1_b32 exec_lo, exec_lo, s2
	s_cbranch_execnz .LBB34_25
; %bb.26:
	s_or_b32 exec_lo, exec_lo, s2
.LBB34_27:
	s_delay_alu instid0(SALU_CYCLE_1)
	s_or_b32 exec_lo, exec_lo, s4
	v_mov_b32_e32 v91, 0
	ds_load_b64 v[91:92], v91 offset:248
	s_waitcnt lgkmcnt(0)
	v_mul_f64 v[71:72], v[71:72], v[91:92]
	scratch_store_b64 off, v[71:72], off offset:248
.LBB34_28:
	s_or_b32 exec_lo, exec_lo, s0
	scratch_load_b64 v[71:72], off, off offset:240
	v_cmp_lt_u32_e64 s0, 30, v0
	s_waitcnt vmcnt(0)
	ds_store_b64 v74, v[71:72]
	s_waitcnt lgkmcnt(0)
	s_waitcnt_vscnt null, 0x0
	s_barrier
	buffer_gl0_inv
	s_and_saveexec_b32 s2, s0
	s_cbranch_execz .LBB34_38
; %bb.29:
	s_and_not1_b32 vcc_lo, exec_lo, s3
	s_cbranch_vccnz .LBB34_31
; %bb.30:
	scratch_load_b64 v[71:72], v75, off
	ds_load_b64 v[91:92], v74
	s_waitcnt vmcnt(0) lgkmcnt(0)
	v_mul_f64 v[71:72], v[71:72], v[91:92]
	s_cbranch_execz .LBB34_32
	s_branch .LBB34_33
.LBB34_31:
                                        ; implicit-def: $vgpr71_vgpr72
.LBB34_32:
	ds_load_b64 v[71:72], v74
.LBB34_33:
	s_and_saveexec_b32 s4, s1
	s_cbranch_execz .LBB34_37
; %bb.34:
	v_mov_b32_e32 v91, 0
	v_subrev_nc_u32_e32 v92, 31, v0
	s_movk_i32 s5, 0x218
	s_mov_b32 s1, 0
	s_delay_alu instid0(VALU_DEP_2)
	v_add_nc_u32_e32 v91, 0xf8, v91
.LBB34_35:                              ; =>This Inner Loop Header: Depth=1
	scratch_load_b64 v[93:94], v91, off
	v_dual_mov_b32 v95, s5 :: v_dual_add_nc_u32 v92, -1, v92
	v_add_nc_u32_e32 v91, 8, v91
	s_add_i32 s5, s5, 8
	ds_load_b64 v[95:96], v95
	v_cmp_eq_u32_e32 vcc_lo, 0, v92
	s_or_b32 s1, vcc_lo, s1
	s_waitcnt vmcnt(0) lgkmcnt(0)
	v_fma_f64 v[71:72], v[93:94], v[95:96], v[71:72]
	s_and_not1_b32 exec_lo, exec_lo, s1
	s_cbranch_execnz .LBB34_35
; %bb.36:
	s_or_b32 exec_lo, exec_lo, s1
.LBB34_37:
	s_delay_alu instid0(SALU_CYCLE_1)
	s_or_b32 exec_lo, exec_lo, s4
	v_mov_b32_e32 v91, 0
	ds_load_b64 v[91:92], v91 offset:240
	s_waitcnt lgkmcnt(0)
	v_mul_f64 v[71:72], v[71:72], v[91:92]
	scratch_store_b64 off, v[71:72], off offset:240
.LBB34_38:
	s_or_b32 exec_lo, exec_lo, s2
	scratch_load_b64 v[71:72], off, off offset:232
	v_cmp_lt_u32_e64 s1, 29, v0
	s_waitcnt vmcnt(0)
	ds_store_b64 v74, v[71:72]
	s_waitcnt lgkmcnt(0)
	s_waitcnt_vscnt null, 0x0
	s_barrier
	buffer_gl0_inv
	s_and_saveexec_b32 s2, s1
	s_cbranch_execz .LBB34_48
; %bb.39:
	s_and_not1_b32 vcc_lo, exec_lo, s3
	s_cbranch_vccnz .LBB34_41
; %bb.40:
	scratch_load_b64 v[71:72], v75, off
	ds_load_b64 v[91:92], v74
	s_waitcnt vmcnt(0) lgkmcnt(0)
	v_mul_f64 v[71:72], v[71:72], v[91:92]
	s_cbranch_execz .LBB34_42
	s_branch .LBB34_43
.LBB34_41:
                                        ; implicit-def: $vgpr71_vgpr72
.LBB34_42:
	ds_load_b64 v[71:72], v74
.LBB34_43:
	s_and_saveexec_b32 s4, s0
	s_cbranch_execz .LBB34_47
; %bb.44:
	v_subrev_nc_u32_e32 v91, 30, v0
	s_movk_i32 s5, 0x210
	s_mov_b32 s0, 0
.LBB34_45:                              ; =>This Inner Loop Header: Depth=1
	scratch_load_b64 v[92:93], v90, off
	v_dual_mov_b32 v94, s5 :: v_dual_add_nc_u32 v91, -1, v91
	v_add_nc_u32_e32 v90, 8, v90
	s_add_i32 s5, s5, 8
	ds_load_b64 v[94:95], v94
	v_cmp_eq_u32_e32 vcc_lo, 0, v91
	s_or_b32 s0, vcc_lo, s0
	s_waitcnt vmcnt(0) lgkmcnt(0)
	v_fma_f64 v[71:72], v[92:93], v[94:95], v[71:72]
	s_and_not1_b32 exec_lo, exec_lo, s0
	s_cbranch_execnz .LBB34_45
; %bb.46:
	s_or_b32 exec_lo, exec_lo, s0
.LBB34_47:
	s_delay_alu instid0(SALU_CYCLE_1)
	s_or_b32 exec_lo, exec_lo, s4
	v_mov_b32_e32 v90, 0
	ds_load_b64 v[90:91], v90 offset:232
	s_waitcnt lgkmcnt(0)
	v_mul_f64 v[71:72], v[71:72], v[90:91]
	scratch_store_b64 off, v[71:72], off offset:232
.LBB34_48:
	s_or_b32 exec_lo, exec_lo, s2
	scratch_load_b64 v[71:72], off, off offset:224
	v_cmp_lt_u32_e64 s0, 28, v0
	s_waitcnt vmcnt(0)
	ds_store_b64 v74, v[71:72]
	s_waitcnt lgkmcnt(0)
	s_waitcnt_vscnt null, 0x0
	s_barrier
	buffer_gl0_inv
	s_and_saveexec_b32 s2, s0
	s_cbranch_execz .LBB34_58
; %bb.49:
	s_and_not1_b32 vcc_lo, exec_lo, s3
	s_cbranch_vccnz .LBB34_51
; %bb.50:
	scratch_load_b64 v[71:72], v75, off
	ds_load_b64 v[90:91], v74
	s_waitcnt vmcnt(0) lgkmcnt(0)
	v_mul_f64 v[71:72], v[71:72], v[90:91]
	s_cbranch_execz .LBB34_52
	s_branch .LBB34_53
.LBB34_51:
                                        ; implicit-def: $vgpr71_vgpr72
.LBB34_52:
	ds_load_b64 v[71:72], v74
.LBB34_53:
	s_and_saveexec_b32 s4, s1
	s_cbranch_execz .LBB34_57
; %bb.54:
	v_mov_b32_e32 v90, 0
	v_subrev_nc_u32_e32 v91, 29, v0
	s_movk_i32 s5, 0x208
	s_mov_b32 s1, 0
	s_delay_alu instid0(VALU_DEP_2)
	v_add_nc_u32_e32 v90, 0xe8, v90
.LBB34_55:                              ; =>This Inner Loop Header: Depth=1
	scratch_load_b64 v[92:93], v90, off
	v_dual_mov_b32 v94, s5 :: v_dual_add_nc_u32 v91, -1, v91
	v_add_nc_u32_e32 v90, 8, v90
	s_add_i32 s5, s5, 8
	ds_load_b64 v[94:95], v94
	v_cmp_eq_u32_e32 vcc_lo, 0, v91
	s_or_b32 s1, vcc_lo, s1
	s_waitcnt vmcnt(0) lgkmcnt(0)
	v_fma_f64 v[71:72], v[92:93], v[94:95], v[71:72]
	s_and_not1_b32 exec_lo, exec_lo, s1
	s_cbranch_execnz .LBB34_55
; %bb.56:
	s_or_b32 exec_lo, exec_lo, s1
.LBB34_57:
	s_delay_alu instid0(SALU_CYCLE_1)
	s_or_b32 exec_lo, exec_lo, s4
	v_mov_b32_e32 v90, 0
	ds_load_b64 v[90:91], v90 offset:224
	s_waitcnt lgkmcnt(0)
	v_mul_f64 v[71:72], v[71:72], v[90:91]
	scratch_store_b64 off, v[71:72], off offset:224
.LBB34_58:
	s_or_b32 exec_lo, exec_lo, s2
	scratch_load_b64 v[71:72], off, off offset:216
	v_cmp_lt_u32_e64 s1, 27, v0
	s_waitcnt vmcnt(0)
	ds_store_b64 v74, v[71:72]
	s_waitcnt lgkmcnt(0)
	s_waitcnt_vscnt null, 0x0
	s_barrier
	buffer_gl0_inv
	s_and_saveexec_b32 s2, s1
	s_cbranch_execz .LBB34_68
; %bb.59:
	s_and_not1_b32 vcc_lo, exec_lo, s3
	s_cbranch_vccnz .LBB34_61
; %bb.60:
	scratch_load_b64 v[71:72], v75, off
	ds_load_b64 v[90:91], v74
	s_waitcnt vmcnt(0) lgkmcnt(0)
	v_mul_f64 v[71:72], v[71:72], v[90:91]
	s_cbranch_execz .LBB34_62
	s_branch .LBB34_63
.LBB34_61:
                                        ; implicit-def: $vgpr71_vgpr72
.LBB34_62:
	ds_load_b64 v[71:72], v74
.LBB34_63:
	s_and_saveexec_b32 s4, s0
	s_cbranch_execz .LBB34_67
; %bb.64:
	v_subrev_nc_u32_e32 v90, 28, v0
	s_movk_i32 s5, 0x200
	s_mov_b32 s0, 0
.LBB34_65:                              ; =>This Inner Loop Header: Depth=1
	scratch_load_b64 v[91:92], v89, off
	v_dual_mov_b32 v93, s5 :: v_dual_add_nc_u32 v90, -1, v90
	v_add_nc_u32_e32 v89, 8, v89
	s_add_i32 s5, s5, 8
	ds_load_b64 v[93:94], v93
	v_cmp_eq_u32_e32 vcc_lo, 0, v90
	s_or_b32 s0, vcc_lo, s0
	s_waitcnt vmcnt(0) lgkmcnt(0)
	v_fma_f64 v[71:72], v[91:92], v[93:94], v[71:72]
	s_and_not1_b32 exec_lo, exec_lo, s0
	s_cbranch_execnz .LBB34_65
; %bb.66:
	s_or_b32 exec_lo, exec_lo, s0
.LBB34_67:
	s_delay_alu instid0(SALU_CYCLE_1)
	s_or_b32 exec_lo, exec_lo, s4
	v_mov_b32_e32 v89, 0
	ds_load_b64 v[89:90], v89 offset:216
	s_waitcnt lgkmcnt(0)
	v_mul_f64 v[71:72], v[71:72], v[89:90]
	scratch_store_b64 off, v[71:72], off offset:216
.LBB34_68:
	s_or_b32 exec_lo, exec_lo, s2
	scratch_load_b64 v[71:72], off, off offset:208
	v_cmp_lt_u32_e64 s0, 26, v0
	s_waitcnt vmcnt(0)
	ds_store_b64 v74, v[71:72]
	s_waitcnt lgkmcnt(0)
	s_waitcnt_vscnt null, 0x0
	s_barrier
	buffer_gl0_inv
	s_and_saveexec_b32 s2, s0
	s_cbranch_execz .LBB34_78
; %bb.69:
	s_and_not1_b32 vcc_lo, exec_lo, s3
	s_cbranch_vccnz .LBB34_71
; %bb.70:
	scratch_load_b64 v[71:72], v75, off
	ds_load_b64 v[89:90], v74
	s_waitcnt vmcnt(0) lgkmcnt(0)
	v_mul_f64 v[71:72], v[71:72], v[89:90]
	s_cbranch_execz .LBB34_72
	s_branch .LBB34_73
.LBB34_71:
                                        ; implicit-def: $vgpr71_vgpr72
.LBB34_72:
	ds_load_b64 v[71:72], v74
.LBB34_73:
	s_and_saveexec_b32 s4, s1
	s_cbranch_execz .LBB34_77
; %bb.74:
	v_mov_b32_e32 v89, 0
	v_subrev_nc_u32_e32 v90, 27, v0
	s_movk_i32 s5, 0x1f8
	s_mov_b32 s1, 0
	s_delay_alu instid0(VALU_DEP_2)
	v_add_nc_u32_e32 v89, 0xd8, v89
.LBB34_75:                              ; =>This Inner Loop Header: Depth=1
	scratch_load_b64 v[91:92], v89, off
	v_dual_mov_b32 v93, s5 :: v_dual_add_nc_u32 v90, -1, v90
	v_add_nc_u32_e32 v89, 8, v89
	s_add_i32 s5, s5, 8
	ds_load_b64 v[93:94], v93
	v_cmp_eq_u32_e32 vcc_lo, 0, v90
	s_or_b32 s1, vcc_lo, s1
	s_waitcnt vmcnt(0) lgkmcnt(0)
	v_fma_f64 v[71:72], v[91:92], v[93:94], v[71:72]
	s_and_not1_b32 exec_lo, exec_lo, s1
	s_cbranch_execnz .LBB34_75
; %bb.76:
	s_or_b32 exec_lo, exec_lo, s1
.LBB34_77:
	s_delay_alu instid0(SALU_CYCLE_1)
	s_or_b32 exec_lo, exec_lo, s4
	v_mov_b32_e32 v89, 0
	ds_load_b64 v[89:90], v89 offset:208
	s_waitcnt lgkmcnt(0)
	v_mul_f64 v[71:72], v[71:72], v[89:90]
	scratch_store_b64 off, v[71:72], off offset:208
.LBB34_78:
	s_or_b32 exec_lo, exec_lo, s2
	scratch_load_b64 v[71:72], off, off offset:200
	v_cmp_lt_u32_e64 s1, 25, v0
	s_waitcnt vmcnt(0)
	ds_store_b64 v74, v[71:72]
	s_waitcnt lgkmcnt(0)
	s_waitcnt_vscnt null, 0x0
	s_barrier
	buffer_gl0_inv
	s_and_saveexec_b32 s2, s1
	s_cbranch_execz .LBB34_88
; %bb.79:
	s_and_not1_b32 vcc_lo, exec_lo, s3
	s_cbranch_vccnz .LBB34_81
; %bb.80:
	scratch_load_b64 v[71:72], v75, off
	ds_load_b64 v[89:90], v74
	s_waitcnt vmcnt(0) lgkmcnt(0)
	v_mul_f64 v[71:72], v[71:72], v[89:90]
	s_cbranch_execz .LBB34_82
	s_branch .LBB34_83
.LBB34_81:
                                        ; implicit-def: $vgpr71_vgpr72
.LBB34_82:
	ds_load_b64 v[71:72], v74
.LBB34_83:
	s_and_saveexec_b32 s4, s0
	s_cbranch_execz .LBB34_87
; %bb.84:
	v_subrev_nc_u32_e32 v89, 26, v0
	s_movk_i32 s5, 0x1f0
	s_mov_b32 s0, 0
.LBB34_85:                              ; =>This Inner Loop Header: Depth=1
	scratch_load_b64 v[90:91], v88, off
	v_dual_mov_b32 v92, s5 :: v_dual_add_nc_u32 v89, -1, v89
	v_add_nc_u32_e32 v88, 8, v88
	s_add_i32 s5, s5, 8
	ds_load_b64 v[92:93], v92
	v_cmp_eq_u32_e32 vcc_lo, 0, v89
	s_or_b32 s0, vcc_lo, s0
	s_waitcnt vmcnt(0) lgkmcnt(0)
	v_fma_f64 v[71:72], v[90:91], v[92:93], v[71:72]
	s_and_not1_b32 exec_lo, exec_lo, s0
	s_cbranch_execnz .LBB34_85
; %bb.86:
	s_or_b32 exec_lo, exec_lo, s0
.LBB34_87:
	s_delay_alu instid0(SALU_CYCLE_1)
	s_or_b32 exec_lo, exec_lo, s4
	v_mov_b32_e32 v88, 0
	ds_load_b64 v[88:89], v88 offset:200
	s_waitcnt lgkmcnt(0)
	v_mul_f64 v[71:72], v[71:72], v[88:89]
	scratch_store_b64 off, v[71:72], off offset:200
.LBB34_88:
	s_or_b32 exec_lo, exec_lo, s2
	scratch_load_b64 v[71:72], off, off offset:192
	v_cmp_lt_u32_e64 s0, 24, v0
	s_waitcnt vmcnt(0)
	ds_store_b64 v74, v[71:72]
	s_waitcnt lgkmcnt(0)
	s_waitcnt_vscnt null, 0x0
	s_barrier
	buffer_gl0_inv
	s_and_saveexec_b32 s2, s0
	s_cbranch_execz .LBB34_98
; %bb.89:
	s_and_not1_b32 vcc_lo, exec_lo, s3
	s_cbranch_vccnz .LBB34_91
; %bb.90:
	scratch_load_b64 v[71:72], v75, off
	ds_load_b64 v[88:89], v74
	s_waitcnt vmcnt(0) lgkmcnt(0)
	v_mul_f64 v[71:72], v[71:72], v[88:89]
	s_cbranch_execz .LBB34_92
	s_branch .LBB34_93
.LBB34_91:
                                        ; implicit-def: $vgpr71_vgpr72
.LBB34_92:
	ds_load_b64 v[71:72], v74
.LBB34_93:
	s_and_saveexec_b32 s4, s1
	s_cbranch_execz .LBB34_97
; %bb.94:
	v_mov_b32_e32 v88, 0
	v_subrev_nc_u32_e32 v89, 25, v0
	s_movk_i32 s5, 0x1e8
	s_mov_b32 s1, 0
	s_delay_alu instid0(VALU_DEP_2)
	v_add_nc_u32_e32 v88, 0xc8, v88
.LBB34_95:                              ; =>This Inner Loop Header: Depth=1
	scratch_load_b64 v[90:91], v88, off
	v_dual_mov_b32 v92, s5 :: v_dual_add_nc_u32 v89, -1, v89
	v_add_nc_u32_e32 v88, 8, v88
	s_add_i32 s5, s5, 8
	ds_load_b64 v[92:93], v92
	v_cmp_eq_u32_e32 vcc_lo, 0, v89
	s_or_b32 s1, vcc_lo, s1
	s_waitcnt vmcnt(0) lgkmcnt(0)
	v_fma_f64 v[71:72], v[90:91], v[92:93], v[71:72]
	s_and_not1_b32 exec_lo, exec_lo, s1
	s_cbranch_execnz .LBB34_95
; %bb.96:
	s_or_b32 exec_lo, exec_lo, s1
.LBB34_97:
	s_delay_alu instid0(SALU_CYCLE_1)
	s_or_b32 exec_lo, exec_lo, s4
	v_mov_b32_e32 v88, 0
	ds_load_b64 v[88:89], v88 offset:192
	s_waitcnt lgkmcnt(0)
	v_mul_f64 v[71:72], v[71:72], v[88:89]
	scratch_store_b64 off, v[71:72], off offset:192
.LBB34_98:
	s_or_b32 exec_lo, exec_lo, s2
	scratch_load_b64 v[71:72], off, off offset:184
	v_cmp_lt_u32_e64 s1, 23, v0
	s_waitcnt vmcnt(0)
	ds_store_b64 v74, v[71:72]
	s_waitcnt lgkmcnt(0)
	s_waitcnt_vscnt null, 0x0
	s_barrier
	buffer_gl0_inv
	s_and_saveexec_b32 s2, s1
	s_cbranch_execz .LBB34_108
; %bb.99:
	s_and_not1_b32 vcc_lo, exec_lo, s3
	s_cbranch_vccnz .LBB34_101
; %bb.100:
	scratch_load_b64 v[71:72], v75, off
	ds_load_b64 v[88:89], v74
	s_waitcnt vmcnt(0) lgkmcnt(0)
	v_mul_f64 v[71:72], v[71:72], v[88:89]
	s_cbranch_execz .LBB34_102
	s_branch .LBB34_103
.LBB34_101:
                                        ; implicit-def: $vgpr71_vgpr72
.LBB34_102:
	ds_load_b64 v[71:72], v74
.LBB34_103:
	s_and_saveexec_b32 s4, s0
	s_cbranch_execz .LBB34_107
; %bb.104:
	v_subrev_nc_u32_e32 v88, 24, v0
	s_movk_i32 s5, 0x1e0
	s_mov_b32 s0, 0
.LBB34_105:                             ; =>This Inner Loop Header: Depth=1
	scratch_load_b64 v[89:90], v87, off
	v_dual_mov_b32 v91, s5 :: v_dual_add_nc_u32 v88, -1, v88
	v_add_nc_u32_e32 v87, 8, v87
	s_add_i32 s5, s5, 8
	ds_load_b64 v[91:92], v91
	v_cmp_eq_u32_e32 vcc_lo, 0, v88
	s_or_b32 s0, vcc_lo, s0
	s_waitcnt vmcnt(0) lgkmcnt(0)
	v_fma_f64 v[71:72], v[89:90], v[91:92], v[71:72]
	s_and_not1_b32 exec_lo, exec_lo, s0
	s_cbranch_execnz .LBB34_105
; %bb.106:
	s_or_b32 exec_lo, exec_lo, s0
.LBB34_107:
	s_delay_alu instid0(SALU_CYCLE_1)
	s_or_b32 exec_lo, exec_lo, s4
	v_mov_b32_e32 v87, 0
	ds_load_b64 v[87:88], v87 offset:184
	s_waitcnt lgkmcnt(0)
	v_mul_f64 v[71:72], v[71:72], v[87:88]
	scratch_store_b64 off, v[71:72], off offset:184
.LBB34_108:
	s_or_b32 exec_lo, exec_lo, s2
	scratch_load_b64 v[71:72], off, off offset:176
	v_cmp_lt_u32_e64 s0, 22, v0
	s_waitcnt vmcnt(0)
	ds_store_b64 v74, v[71:72]
	s_waitcnt lgkmcnt(0)
	s_waitcnt_vscnt null, 0x0
	s_barrier
	buffer_gl0_inv
	s_and_saveexec_b32 s2, s0
	s_cbranch_execz .LBB34_118
; %bb.109:
	s_and_not1_b32 vcc_lo, exec_lo, s3
	s_cbranch_vccnz .LBB34_111
; %bb.110:
	scratch_load_b64 v[71:72], v75, off
	ds_load_b64 v[87:88], v74
	s_waitcnt vmcnt(0) lgkmcnt(0)
	v_mul_f64 v[71:72], v[71:72], v[87:88]
	s_cbranch_execz .LBB34_112
	s_branch .LBB34_113
.LBB34_111:
                                        ; implicit-def: $vgpr71_vgpr72
.LBB34_112:
	ds_load_b64 v[71:72], v74
.LBB34_113:
	s_and_saveexec_b32 s4, s1
	s_cbranch_execz .LBB34_117
; %bb.114:
	v_mov_b32_e32 v87, 0
	v_subrev_nc_u32_e32 v88, 23, v0
	s_movk_i32 s5, 0x1d8
	s_mov_b32 s1, 0
	s_delay_alu instid0(VALU_DEP_2)
	v_add_nc_u32_e32 v87, 0xb8, v87
.LBB34_115:                             ; =>This Inner Loop Header: Depth=1
	scratch_load_b64 v[89:90], v87, off
	v_dual_mov_b32 v91, s5 :: v_dual_add_nc_u32 v88, -1, v88
	v_add_nc_u32_e32 v87, 8, v87
	s_add_i32 s5, s5, 8
	ds_load_b64 v[91:92], v91
	v_cmp_eq_u32_e32 vcc_lo, 0, v88
	s_or_b32 s1, vcc_lo, s1
	s_waitcnt vmcnt(0) lgkmcnt(0)
	v_fma_f64 v[71:72], v[89:90], v[91:92], v[71:72]
	s_and_not1_b32 exec_lo, exec_lo, s1
	s_cbranch_execnz .LBB34_115
; %bb.116:
	s_or_b32 exec_lo, exec_lo, s1
.LBB34_117:
	s_delay_alu instid0(SALU_CYCLE_1)
	s_or_b32 exec_lo, exec_lo, s4
	v_mov_b32_e32 v87, 0
	ds_load_b64 v[87:88], v87 offset:176
	s_waitcnt lgkmcnt(0)
	v_mul_f64 v[71:72], v[71:72], v[87:88]
	scratch_store_b64 off, v[71:72], off offset:176
.LBB34_118:
	s_or_b32 exec_lo, exec_lo, s2
	scratch_load_b64 v[71:72], off, off offset:168
	v_cmp_lt_u32_e64 s1, 21, v0
	s_waitcnt vmcnt(0)
	ds_store_b64 v74, v[71:72]
	s_waitcnt lgkmcnt(0)
	s_waitcnt_vscnt null, 0x0
	s_barrier
	buffer_gl0_inv
	s_and_saveexec_b32 s2, s1
	s_cbranch_execz .LBB34_128
; %bb.119:
	s_and_not1_b32 vcc_lo, exec_lo, s3
	s_cbranch_vccnz .LBB34_121
; %bb.120:
	scratch_load_b64 v[71:72], v75, off
	ds_load_b64 v[87:88], v74
	s_waitcnt vmcnt(0) lgkmcnt(0)
	v_mul_f64 v[71:72], v[71:72], v[87:88]
	s_cbranch_execz .LBB34_122
	s_branch .LBB34_123
.LBB34_121:
                                        ; implicit-def: $vgpr71_vgpr72
.LBB34_122:
	ds_load_b64 v[71:72], v74
.LBB34_123:
	s_and_saveexec_b32 s4, s0
	s_cbranch_execz .LBB34_127
; %bb.124:
	v_subrev_nc_u32_e32 v87, 22, v0
	s_movk_i32 s5, 0x1d0
	s_mov_b32 s0, 0
.LBB34_125:                             ; =>This Inner Loop Header: Depth=1
	scratch_load_b64 v[88:89], v86, off
	v_dual_mov_b32 v90, s5 :: v_dual_add_nc_u32 v87, -1, v87
	v_add_nc_u32_e32 v86, 8, v86
	s_add_i32 s5, s5, 8
	ds_load_b64 v[90:91], v90
	v_cmp_eq_u32_e32 vcc_lo, 0, v87
	s_or_b32 s0, vcc_lo, s0
	s_waitcnt vmcnt(0) lgkmcnt(0)
	v_fma_f64 v[71:72], v[88:89], v[90:91], v[71:72]
	s_and_not1_b32 exec_lo, exec_lo, s0
	s_cbranch_execnz .LBB34_125
; %bb.126:
	s_or_b32 exec_lo, exec_lo, s0
.LBB34_127:
	s_delay_alu instid0(SALU_CYCLE_1)
	s_or_b32 exec_lo, exec_lo, s4
	v_mov_b32_e32 v86, 0
	ds_load_b64 v[86:87], v86 offset:168
	s_waitcnt lgkmcnt(0)
	v_mul_f64 v[71:72], v[71:72], v[86:87]
	scratch_store_b64 off, v[71:72], off offset:168
.LBB34_128:
	s_or_b32 exec_lo, exec_lo, s2
	scratch_load_b64 v[71:72], off, off offset:160
	v_cmp_lt_u32_e64 s0, 20, v0
	s_waitcnt vmcnt(0)
	ds_store_b64 v74, v[71:72]
	s_waitcnt lgkmcnt(0)
	s_waitcnt_vscnt null, 0x0
	s_barrier
	buffer_gl0_inv
	s_and_saveexec_b32 s2, s0
	s_cbranch_execz .LBB34_138
; %bb.129:
	s_and_not1_b32 vcc_lo, exec_lo, s3
	s_cbranch_vccnz .LBB34_131
; %bb.130:
	scratch_load_b64 v[71:72], v75, off
	ds_load_b64 v[86:87], v74
	s_waitcnt vmcnt(0) lgkmcnt(0)
	v_mul_f64 v[71:72], v[71:72], v[86:87]
	s_cbranch_execz .LBB34_132
	s_branch .LBB34_133
.LBB34_131:
                                        ; implicit-def: $vgpr71_vgpr72
.LBB34_132:
	ds_load_b64 v[71:72], v74
.LBB34_133:
	s_and_saveexec_b32 s4, s1
	s_cbranch_execz .LBB34_137
; %bb.134:
	v_mov_b32_e32 v86, 0
	v_subrev_nc_u32_e32 v87, 21, v0
	s_movk_i32 s5, 0x1c8
	s_mov_b32 s1, 0
	s_delay_alu instid0(VALU_DEP_2)
	v_add_nc_u32_e32 v86, 0xa8, v86
.LBB34_135:                             ; =>This Inner Loop Header: Depth=1
	scratch_load_b64 v[88:89], v86, off
	v_dual_mov_b32 v90, s5 :: v_dual_add_nc_u32 v87, -1, v87
	v_add_nc_u32_e32 v86, 8, v86
	s_add_i32 s5, s5, 8
	ds_load_b64 v[90:91], v90
	v_cmp_eq_u32_e32 vcc_lo, 0, v87
	s_or_b32 s1, vcc_lo, s1
	s_waitcnt vmcnt(0) lgkmcnt(0)
	v_fma_f64 v[71:72], v[88:89], v[90:91], v[71:72]
	s_and_not1_b32 exec_lo, exec_lo, s1
	s_cbranch_execnz .LBB34_135
; %bb.136:
	s_or_b32 exec_lo, exec_lo, s1
.LBB34_137:
	s_delay_alu instid0(SALU_CYCLE_1)
	s_or_b32 exec_lo, exec_lo, s4
	v_mov_b32_e32 v86, 0
	ds_load_b64 v[86:87], v86 offset:160
	s_waitcnt lgkmcnt(0)
	v_mul_f64 v[71:72], v[71:72], v[86:87]
	scratch_store_b64 off, v[71:72], off offset:160
.LBB34_138:
	s_or_b32 exec_lo, exec_lo, s2
	scratch_load_b64 v[71:72], off, off offset:152
	v_cmp_lt_u32_e64 s1, 19, v0
	s_waitcnt vmcnt(0)
	ds_store_b64 v74, v[71:72]
	s_waitcnt lgkmcnt(0)
	s_waitcnt_vscnt null, 0x0
	s_barrier
	buffer_gl0_inv
	s_and_saveexec_b32 s2, s1
	s_cbranch_execz .LBB34_148
; %bb.139:
	s_and_not1_b32 vcc_lo, exec_lo, s3
	s_cbranch_vccnz .LBB34_141
; %bb.140:
	scratch_load_b64 v[71:72], v75, off
	ds_load_b64 v[86:87], v74
	s_waitcnt vmcnt(0) lgkmcnt(0)
	v_mul_f64 v[71:72], v[71:72], v[86:87]
	s_cbranch_execz .LBB34_142
	s_branch .LBB34_143
.LBB34_141:
                                        ; implicit-def: $vgpr71_vgpr72
.LBB34_142:
	ds_load_b64 v[71:72], v74
.LBB34_143:
	s_and_saveexec_b32 s4, s0
	s_cbranch_execz .LBB34_147
; %bb.144:
	v_subrev_nc_u32_e32 v86, 20, v0
	s_movk_i32 s5, 0x1c0
	s_mov_b32 s0, 0
.LBB34_145:                             ; =>This Inner Loop Header: Depth=1
	scratch_load_b64 v[87:88], v85, off
	v_dual_mov_b32 v89, s5 :: v_dual_add_nc_u32 v86, -1, v86
	v_add_nc_u32_e32 v85, 8, v85
	s_add_i32 s5, s5, 8
	ds_load_b64 v[89:90], v89
	v_cmp_eq_u32_e32 vcc_lo, 0, v86
	s_or_b32 s0, vcc_lo, s0
	s_waitcnt vmcnt(0) lgkmcnt(0)
	v_fma_f64 v[71:72], v[87:88], v[89:90], v[71:72]
	s_and_not1_b32 exec_lo, exec_lo, s0
	s_cbranch_execnz .LBB34_145
; %bb.146:
	s_or_b32 exec_lo, exec_lo, s0
.LBB34_147:
	s_delay_alu instid0(SALU_CYCLE_1)
	s_or_b32 exec_lo, exec_lo, s4
	v_mov_b32_e32 v85, 0
	ds_load_b64 v[85:86], v85 offset:152
	s_waitcnt lgkmcnt(0)
	v_mul_f64 v[71:72], v[71:72], v[85:86]
	scratch_store_b64 off, v[71:72], off offset:152
.LBB34_148:
	s_or_b32 exec_lo, exec_lo, s2
	scratch_load_b64 v[71:72], off, off offset:144
	v_cmp_lt_u32_e64 s0, 18, v0
	s_waitcnt vmcnt(0)
	ds_store_b64 v74, v[71:72]
	s_waitcnt lgkmcnt(0)
	s_waitcnt_vscnt null, 0x0
	s_barrier
	buffer_gl0_inv
	s_and_saveexec_b32 s2, s0
	s_cbranch_execz .LBB34_158
; %bb.149:
	s_and_not1_b32 vcc_lo, exec_lo, s3
	s_cbranch_vccnz .LBB34_151
; %bb.150:
	scratch_load_b64 v[71:72], v75, off
	ds_load_b64 v[85:86], v74
	s_waitcnt vmcnt(0) lgkmcnt(0)
	v_mul_f64 v[71:72], v[71:72], v[85:86]
	s_cbranch_execz .LBB34_152
	s_branch .LBB34_153
.LBB34_151:
                                        ; implicit-def: $vgpr71_vgpr72
.LBB34_152:
	ds_load_b64 v[71:72], v74
.LBB34_153:
	s_and_saveexec_b32 s4, s1
	s_cbranch_execz .LBB34_157
; %bb.154:
	v_mov_b32_e32 v85, 0
	v_subrev_nc_u32_e32 v86, 19, v0
	s_movk_i32 s5, 0x1b8
	s_mov_b32 s1, 0
	s_delay_alu instid0(VALU_DEP_2)
	v_add_nc_u32_e32 v85, 0x98, v85
.LBB34_155:                             ; =>This Inner Loop Header: Depth=1
	scratch_load_b64 v[87:88], v85, off
	v_dual_mov_b32 v89, s5 :: v_dual_add_nc_u32 v86, -1, v86
	v_add_nc_u32_e32 v85, 8, v85
	s_add_i32 s5, s5, 8
	ds_load_b64 v[89:90], v89
	v_cmp_eq_u32_e32 vcc_lo, 0, v86
	s_or_b32 s1, vcc_lo, s1
	s_waitcnt vmcnt(0) lgkmcnt(0)
	v_fma_f64 v[71:72], v[87:88], v[89:90], v[71:72]
	s_and_not1_b32 exec_lo, exec_lo, s1
	s_cbranch_execnz .LBB34_155
; %bb.156:
	s_or_b32 exec_lo, exec_lo, s1
.LBB34_157:
	s_delay_alu instid0(SALU_CYCLE_1)
	s_or_b32 exec_lo, exec_lo, s4
	v_mov_b32_e32 v85, 0
	ds_load_b64 v[85:86], v85 offset:144
	s_waitcnt lgkmcnt(0)
	v_mul_f64 v[71:72], v[71:72], v[85:86]
	scratch_store_b64 off, v[71:72], off offset:144
.LBB34_158:
	s_or_b32 exec_lo, exec_lo, s2
	scratch_load_b64 v[71:72], off, off offset:136
	v_cmp_lt_u32_e64 s1, 17, v0
	s_waitcnt vmcnt(0)
	ds_store_b64 v74, v[71:72]
	s_waitcnt lgkmcnt(0)
	s_waitcnt_vscnt null, 0x0
	s_barrier
	buffer_gl0_inv
	s_and_saveexec_b32 s2, s1
	s_cbranch_execz .LBB34_168
; %bb.159:
	s_and_not1_b32 vcc_lo, exec_lo, s3
	s_cbranch_vccnz .LBB34_161
; %bb.160:
	scratch_load_b64 v[71:72], v75, off
	ds_load_b64 v[85:86], v74
	s_waitcnt vmcnt(0) lgkmcnt(0)
	v_mul_f64 v[71:72], v[71:72], v[85:86]
	s_cbranch_execz .LBB34_162
	s_branch .LBB34_163
.LBB34_161:
                                        ; implicit-def: $vgpr71_vgpr72
.LBB34_162:
	ds_load_b64 v[71:72], v74
.LBB34_163:
	s_and_saveexec_b32 s4, s0
	s_cbranch_execz .LBB34_167
; %bb.164:
	v_subrev_nc_u32_e32 v85, 18, v0
	s_movk_i32 s5, 0x1b0
	s_mov_b32 s0, 0
.LBB34_165:                             ; =>This Inner Loop Header: Depth=1
	scratch_load_b64 v[86:87], v84, off
	v_dual_mov_b32 v88, s5 :: v_dual_add_nc_u32 v85, -1, v85
	v_add_nc_u32_e32 v84, 8, v84
	s_add_i32 s5, s5, 8
	ds_load_b64 v[88:89], v88
	v_cmp_eq_u32_e32 vcc_lo, 0, v85
	s_or_b32 s0, vcc_lo, s0
	s_waitcnt vmcnt(0) lgkmcnt(0)
	v_fma_f64 v[71:72], v[86:87], v[88:89], v[71:72]
	s_and_not1_b32 exec_lo, exec_lo, s0
	s_cbranch_execnz .LBB34_165
; %bb.166:
	s_or_b32 exec_lo, exec_lo, s0
.LBB34_167:
	s_delay_alu instid0(SALU_CYCLE_1)
	s_or_b32 exec_lo, exec_lo, s4
	v_mov_b32_e32 v84, 0
	ds_load_b64 v[84:85], v84 offset:136
	s_waitcnt lgkmcnt(0)
	v_mul_f64 v[71:72], v[71:72], v[84:85]
	scratch_store_b64 off, v[71:72], off offset:136
.LBB34_168:
	s_or_b32 exec_lo, exec_lo, s2
	scratch_load_b64 v[71:72], off, off offset:128
	v_cmp_lt_u32_e64 s0, 16, v0
	s_waitcnt vmcnt(0)
	ds_store_b64 v74, v[71:72]
	s_waitcnt lgkmcnt(0)
	s_waitcnt_vscnt null, 0x0
	s_barrier
	buffer_gl0_inv
	s_and_saveexec_b32 s2, s0
	s_cbranch_execz .LBB34_178
; %bb.169:
	s_and_not1_b32 vcc_lo, exec_lo, s3
	s_cbranch_vccnz .LBB34_171
; %bb.170:
	scratch_load_b64 v[71:72], v75, off
	ds_load_b64 v[84:85], v74
	s_waitcnt vmcnt(0) lgkmcnt(0)
	v_mul_f64 v[71:72], v[71:72], v[84:85]
	s_cbranch_execz .LBB34_172
	s_branch .LBB34_173
.LBB34_171:
                                        ; implicit-def: $vgpr71_vgpr72
.LBB34_172:
	ds_load_b64 v[71:72], v74
.LBB34_173:
	s_and_saveexec_b32 s4, s1
	s_cbranch_execz .LBB34_177
; %bb.174:
	v_mov_b32_e32 v84, 0
	v_subrev_nc_u32_e32 v85, 17, v0
	s_movk_i32 s5, 0x1a8
	s_mov_b32 s1, 0
	s_delay_alu instid0(VALU_DEP_2)
	v_add_nc_u32_e32 v84, 0x88, v84
.LBB34_175:                             ; =>This Inner Loop Header: Depth=1
	scratch_load_b64 v[86:87], v84, off
	v_dual_mov_b32 v88, s5 :: v_dual_add_nc_u32 v85, -1, v85
	v_add_nc_u32_e32 v84, 8, v84
	s_add_i32 s5, s5, 8
	ds_load_b64 v[88:89], v88
	v_cmp_eq_u32_e32 vcc_lo, 0, v85
	s_or_b32 s1, vcc_lo, s1
	s_waitcnt vmcnt(0) lgkmcnt(0)
	v_fma_f64 v[71:72], v[86:87], v[88:89], v[71:72]
	s_and_not1_b32 exec_lo, exec_lo, s1
	s_cbranch_execnz .LBB34_175
; %bb.176:
	s_or_b32 exec_lo, exec_lo, s1
.LBB34_177:
	s_delay_alu instid0(SALU_CYCLE_1)
	s_or_b32 exec_lo, exec_lo, s4
	v_mov_b32_e32 v84, 0
	ds_load_b64 v[84:85], v84 offset:128
	s_waitcnt lgkmcnt(0)
	v_mul_f64 v[71:72], v[71:72], v[84:85]
	scratch_store_b64 off, v[71:72], off offset:128
.LBB34_178:
	s_or_b32 exec_lo, exec_lo, s2
	scratch_load_b64 v[71:72], off, off offset:120
	v_cmp_lt_u32_e64 s1, 15, v0
	s_waitcnt vmcnt(0)
	ds_store_b64 v74, v[71:72]
	s_waitcnt lgkmcnt(0)
	s_waitcnt_vscnt null, 0x0
	s_barrier
	buffer_gl0_inv
	s_and_saveexec_b32 s2, s1
	s_cbranch_execz .LBB34_188
; %bb.179:
	s_and_not1_b32 vcc_lo, exec_lo, s3
	s_cbranch_vccnz .LBB34_181
; %bb.180:
	scratch_load_b64 v[71:72], v75, off
	ds_load_b64 v[84:85], v74
	s_waitcnt vmcnt(0) lgkmcnt(0)
	v_mul_f64 v[71:72], v[71:72], v[84:85]
	s_cbranch_execz .LBB34_182
	s_branch .LBB34_183
.LBB34_181:
                                        ; implicit-def: $vgpr71_vgpr72
.LBB34_182:
	ds_load_b64 v[71:72], v74
.LBB34_183:
	s_and_saveexec_b32 s4, s0
	s_cbranch_execz .LBB34_187
; %bb.184:
	v_add_nc_u32_e32 v84, -16, v0
	s_movk_i32 s5, 0x1a0
	s_mov_b32 s0, 0
.LBB34_185:                             ; =>This Inner Loop Header: Depth=1
	scratch_load_b64 v[85:86], v83, off
	v_dual_mov_b32 v87, s5 :: v_dual_add_nc_u32 v84, -1, v84
	v_add_nc_u32_e32 v83, 8, v83
	s_add_i32 s5, s5, 8
	ds_load_b64 v[87:88], v87
	v_cmp_eq_u32_e32 vcc_lo, 0, v84
	s_or_b32 s0, vcc_lo, s0
	s_waitcnt vmcnt(0) lgkmcnt(0)
	v_fma_f64 v[71:72], v[85:86], v[87:88], v[71:72]
	s_and_not1_b32 exec_lo, exec_lo, s0
	s_cbranch_execnz .LBB34_185
; %bb.186:
	s_or_b32 exec_lo, exec_lo, s0
.LBB34_187:
	s_delay_alu instid0(SALU_CYCLE_1)
	s_or_b32 exec_lo, exec_lo, s4
	v_mov_b32_e32 v83, 0
	ds_load_b64 v[83:84], v83 offset:120
	s_waitcnt lgkmcnt(0)
	v_mul_f64 v[71:72], v[71:72], v[83:84]
	scratch_store_b64 off, v[71:72], off offset:120
.LBB34_188:
	s_or_b32 exec_lo, exec_lo, s2
	scratch_load_b64 v[71:72], off, off offset:112
	v_cmp_lt_u32_e64 s0, 14, v0
	s_waitcnt vmcnt(0)
	ds_store_b64 v74, v[71:72]
	s_waitcnt lgkmcnt(0)
	s_waitcnt_vscnt null, 0x0
	s_barrier
	buffer_gl0_inv
	s_and_saveexec_b32 s2, s0
	s_cbranch_execz .LBB34_198
; %bb.189:
	s_and_not1_b32 vcc_lo, exec_lo, s3
	s_cbranch_vccnz .LBB34_191
; %bb.190:
	scratch_load_b64 v[71:72], v75, off
	ds_load_b64 v[83:84], v74
	s_waitcnt vmcnt(0) lgkmcnt(0)
	v_mul_f64 v[71:72], v[71:72], v[83:84]
	s_cbranch_execz .LBB34_192
	s_branch .LBB34_193
.LBB34_191:
                                        ; implicit-def: $vgpr71_vgpr72
.LBB34_192:
	ds_load_b64 v[71:72], v74
.LBB34_193:
	s_and_saveexec_b32 s4, s1
	s_cbranch_execz .LBB34_197
; %bb.194:
	v_dual_mov_b32 v83, 0 :: v_dual_add_nc_u32 v84, -15, v0
	s_movk_i32 s5, 0x198
	s_mov_b32 s1, 0
	s_delay_alu instid0(VALU_DEP_1)
	v_add_nc_u32_e32 v83, 0x78, v83
.LBB34_195:                             ; =>This Inner Loop Header: Depth=1
	scratch_load_b64 v[85:86], v83, off
	v_dual_mov_b32 v87, s5 :: v_dual_add_nc_u32 v84, -1, v84
	v_add_nc_u32_e32 v83, 8, v83
	s_add_i32 s5, s5, 8
	ds_load_b64 v[87:88], v87
	v_cmp_eq_u32_e32 vcc_lo, 0, v84
	s_or_b32 s1, vcc_lo, s1
	s_waitcnt vmcnt(0) lgkmcnt(0)
	v_fma_f64 v[71:72], v[85:86], v[87:88], v[71:72]
	s_and_not1_b32 exec_lo, exec_lo, s1
	s_cbranch_execnz .LBB34_195
; %bb.196:
	s_or_b32 exec_lo, exec_lo, s1
.LBB34_197:
	s_delay_alu instid0(SALU_CYCLE_1)
	s_or_b32 exec_lo, exec_lo, s4
	v_mov_b32_e32 v83, 0
	ds_load_b64 v[83:84], v83 offset:112
	s_waitcnt lgkmcnt(0)
	v_mul_f64 v[71:72], v[71:72], v[83:84]
	scratch_store_b64 off, v[71:72], off offset:112
.LBB34_198:
	s_or_b32 exec_lo, exec_lo, s2
	scratch_load_b64 v[71:72], off, off offset:104
	v_cmp_lt_u32_e64 s1, 13, v0
	s_waitcnt vmcnt(0)
	ds_store_b64 v74, v[71:72]
	s_waitcnt lgkmcnt(0)
	s_waitcnt_vscnt null, 0x0
	s_barrier
	buffer_gl0_inv
	s_and_saveexec_b32 s2, s1
	s_cbranch_execz .LBB34_208
; %bb.199:
	s_and_not1_b32 vcc_lo, exec_lo, s3
	s_cbranch_vccnz .LBB34_201
; %bb.200:
	scratch_load_b64 v[71:72], v75, off
	ds_load_b64 v[83:84], v74
	s_waitcnt vmcnt(0) lgkmcnt(0)
	v_mul_f64 v[71:72], v[71:72], v[83:84]
	s_cbranch_execz .LBB34_202
	s_branch .LBB34_203
.LBB34_201:
                                        ; implicit-def: $vgpr71_vgpr72
.LBB34_202:
	ds_load_b64 v[71:72], v74
.LBB34_203:
	s_and_saveexec_b32 s4, s0
	s_cbranch_execz .LBB34_207
; %bb.204:
	v_add_nc_u32_e32 v83, -14, v0
	s_movk_i32 s5, 0x190
	s_mov_b32 s0, 0
.LBB34_205:                             ; =>This Inner Loop Header: Depth=1
	scratch_load_b64 v[84:85], v82, off
	v_dual_mov_b32 v86, s5 :: v_dual_add_nc_u32 v83, -1, v83
	v_add_nc_u32_e32 v82, 8, v82
	s_add_i32 s5, s5, 8
	ds_load_b64 v[86:87], v86
	v_cmp_eq_u32_e32 vcc_lo, 0, v83
	s_or_b32 s0, vcc_lo, s0
	s_waitcnt vmcnt(0) lgkmcnt(0)
	v_fma_f64 v[71:72], v[84:85], v[86:87], v[71:72]
	s_and_not1_b32 exec_lo, exec_lo, s0
	s_cbranch_execnz .LBB34_205
; %bb.206:
	s_or_b32 exec_lo, exec_lo, s0
.LBB34_207:
	s_delay_alu instid0(SALU_CYCLE_1)
	s_or_b32 exec_lo, exec_lo, s4
	v_mov_b32_e32 v82, 0
	ds_load_b64 v[82:83], v82 offset:104
	s_waitcnt lgkmcnt(0)
	v_mul_f64 v[71:72], v[71:72], v[82:83]
	scratch_store_b64 off, v[71:72], off offset:104
.LBB34_208:
	s_or_b32 exec_lo, exec_lo, s2
	scratch_load_b64 v[71:72], off, off offset:96
	v_cmp_lt_u32_e64 s0, 12, v0
	s_waitcnt vmcnt(0)
	ds_store_b64 v74, v[71:72]
	s_waitcnt lgkmcnt(0)
	s_waitcnt_vscnt null, 0x0
	s_barrier
	buffer_gl0_inv
	s_and_saveexec_b32 s2, s0
	s_cbranch_execz .LBB34_218
; %bb.209:
	s_and_not1_b32 vcc_lo, exec_lo, s3
	s_cbranch_vccnz .LBB34_211
; %bb.210:
	scratch_load_b64 v[71:72], v75, off
	ds_load_b64 v[82:83], v74
	s_waitcnt vmcnt(0) lgkmcnt(0)
	v_mul_f64 v[71:72], v[71:72], v[82:83]
	s_cbranch_execz .LBB34_212
	s_branch .LBB34_213
.LBB34_211:
                                        ; implicit-def: $vgpr71_vgpr72
.LBB34_212:
	ds_load_b64 v[71:72], v74
.LBB34_213:
	s_and_saveexec_b32 s4, s1
	s_cbranch_execz .LBB34_217
; %bb.214:
	v_dual_mov_b32 v82, 0 :: v_dual_add_nc_u32 v83, -13, v0
	s_movk_i32 s5, 0x188
	s_mov_b32 s1, 0
	s_delay_alu instid0(VALU_DEP_1)
	v_add_nc_u32_e32 v82, 0x68, v82
.LBB34_215:                             ; =>This Inner Loop Header: Depth=1
	scratch_load_b64 v[84:85], v82, off
	v_dual_mov_b32 v86, s5 :: v_dual_add_nc_u32 v83, -1, v83
	v_add_nc_u32_e32 v82, 8, v82
	s_add_i32 s5, s5, 8
	ds_load_b64 v[86:87], v86
	v_cmp_eq_u32_e32 vcc_lo, 0, v83
	s_or_b32 s1, vcc_lo, s1
	s_waitcnt vmcnt(0) lgkmcnt(0)
	v_fma_f64 v[71:72], v[84:85], v[86:87], v[71:72]
	s_and_not1_b32 exec_lo, exec_lo, s1
	s_cbranch_execnz .LBB34_215
; %bb.216:
	s_or_b32 exec_lo, exec_lo, s1
.LBB34_217:
	s_delay_alu instid0(SALU_CYCLE_1)
	s_or_b32 exec_lo, exec_lo, s4
	v_mov_b32_e32 v82, 0
	ds_load_b64 v[82:83], v82 offset:96
	s_waitcnt lgkmcnt(0)
	v_mul_f64 v[71:72], v[71:72], v[82:83]
	scratch_store_b64 off, v[71:72], off offset:96
.LBB34_218:
	s_or_b32 exec_lo, exec_lo, s2
	scratch_load_b64 v[71:72], off, off offset:88
	v_cmp_lt_u32_e64 s1, 11, v0
	s_waitcnt vmcnt(0)
	ds_store_b64 v74, v[71:72]
	s_waitcnt lgkmcnt(0)
	s_waitcnt_vscnt null, 0x0
	s_barrier
	buffer_gl0_inv
	s_and_saveexec_b32 s2, s1
	s_cbranch_execz .LBB34_228
; %bb.219:
	s_and_not1_b32 vcc_lo, exec_lo, s3
	s_cbranch_vccnz .LBB34_221
; %bb.220:
	scratch_load_b64 v[71:72], v75, off
	ds_load_b64 v[82:83], v74
	s_waitcnt vmcnt(0) lgkmcnt(0)
	v_mul_f64 v[71:72], v[71:72], v[82:83]
	s_cbranch_execz .LBB34_222
	s_branch .LBB34_223
.LBB34_221:
                                        ; implicit-def: $vgpr71_vgpr72
.LBB34_222:
	ds_load_b64 v[71:72], v74
.LBB34_223:
	s_and_saveexec_b32 s4, s0
	s_cbranch_execz .LBB34_227
; %bb.224:
	v_add_nc_u32_e32 v82, -12, v0
	s_movk_i32 s5, 0x180
	s_mov_b32 s0, 0
.LBB34_225:                             ; =>This Inner Loop Header: Depth=1
	scratch_load_b64 v[83:84], v81, off
	v_dual_mov_b32 v85, s5 :: v_dual_add_nc_u32 v82, -1, v82
	v_add_nc_u32_e32 v81, 8, v81
	s_add_i32 s5, s5, 8
	ds_load_b64 v[85:86], v85
	v_cmp_eq_u32_e32 vcc_lo, 0, v82
	s_or_b32 s0, vcc_lo, s0
	s_waitcnt vmcnt(0) lgkmcnt(0)
	v_fma_f64 v[71:72], v[83:84], v[85:86], v[71:72]
	s_and_not1_b32 exec_lo, exec_lo, s0
	s_cbranch_execnz .LBB34_225
; %bb.226:
	s_or_b32 exec_lo, exec_lo, s0
.LBB34_227:
	s_delay_alu instid0(SALU_CYCLE_1)
	s_or_b32 exec_lo, exec_lo, s4
	v_mov_b32_e32 v81, 0
	ds_load_b64 v[81:82], v81 offset:88
	s_waitcnt lgkmcnt(0)
	v_mul_f64 v[71:72], v[71:72], v[81:82]
	scratch_store_b64 off, v[71:72], off offset:88
.LBB34_228:
	s_or_b32 exec_lo, exec_lo, s2
	scratch_load_b64 v[71:72], off, off offset:80
	v_cmp_lt_u32_e64 s0, 10, v0
	s_waitcnt vmcnt(0)
	ds_store_b64 v74, v[71:72]
	s_waitcnt lgkmcnt(0)
	s_waitcnt_vscnt null, 0x0
	s_barrier
	buffer_gl0_inv
	s_and_saveexec_b32 s2, s0
	s_cbranch_execz .LBB34_238
; %bb.229:
	s_and_not1_b32 vcc_lo, exec_lo, s3
	s_cbranch_vccnz .LBB34_231
; %bb.230:
	scratch_load_b64 v[71:72], v75, off
	ds_load_b64 v[81:82], v74
	s_waitcnt vmcnt(0) lgkmcnt(0)
	v_mul_f64 v[71:72], v[71:72], v[81:82]
	s_cbranch_execz .LBB34_232
	s_branch .LBB34_233
.LBB34_231:
                                        ; implicit-def: $vgpr71_vgpr72
.LBB34_232:
	ds_load_b64 v[71:72], v74
.LBB34_233:
	s_and_saveexec_b32 s4, s1
	s_cbranch_execz .LBB34_237
; %bb.234:
	v_dual_mov_b32 v81, 0 :: v_dual_add_nc_u32 v82, -11, v0
	s_movk_i32 s5, 0x178
	s_mov_b32 s1, 0
	s_delay_alu instid0(VALU_DEP_1)
	v_add_nc_u32_e32 v81, 0x58, v81
.LBB34_235:                             ; =>This Inner Loop Header: Depth=1
	scratch_load_b64 v[83:84], v81, off
	v_dual_mov_b32 v85, s5 :: v_dual_add_nc_u32 v82, -1, v82
	v_add_nc_u32_e32 v81, 8, v81
	s_add_i32 s5, s5, 8
	ds_load_b64 v[85:86], v85
	v_cmp_eq_u32_e32 vcc_lo, 0, v82
	s_or_b32 s1, vcc_lo, s1
	s_waitcnt vmcnt(0) lgkmcnt(0)
	v_fma_f64 v[71:72], v[83:84], v[85:86], v[71:72]
	s_and_not1_b32 exec_lo, exec_lo, s1
	s_cbranch_execnz .LBB34_235
; %bb.236:
	s_or_b32 exec_lo, exec_lo, s1
.LBB34_237:
	s_delay_alu instid0(SALU_CYCLE_1)
	s_or_b32 exec_lo, exec_lo, s4
	v_mov_b32_e32 v81, 0
	ds_load_b64 v[81:82], v81 offset:80
	s_waitcnt lgkmcnt(0)
	v_mul_f64 v[71:72], v[71:72], v[81:82]
	scratch_store_b64 off, v[71:72], off offset:80
.LBB34_238:
	s_or_b32 exec_lo, exec_lo, s2
	scratch_load_b64 v[71:72], off, off offset:72
	v_cmp_lt_u32_e64 s1, 9, v0
	s_waitcnt vmcnt(0)
	ds_store_b64 v74, v[71:72]
	s_waitcnt lgkmcnt(0)
	s_waitcnt_vscnt null, 0x0
	s_barrier
	buffer_gl0_inv
	s_and_saveexec_b32 s2, s1
	s_cbranch_execz .LBB34_248
; %bb.239:
	s_and_not1_b32 vcc_lo, exec_lo, s3
	s_cbranch_vccnz .LBB34_241
; %bb.240:
	scratch_load_b64 v[71:72], v75, off
	ds_load_b64 v[81:82], v74
	s_waitcnt vmcnt(0) lgkmcnt(0)
	v_mul_f64 v[71:72], v[71:72], v[81:82]
	s_cbranch_execz .LBB34_242
	s_branch .LBB34_243
.LBB34_241:
                                        ; implicit-def: $vgpr71_vgpr72
.LBB34_242:
	ds_load_b64 v[71:72], v74
.LBB34_243:
	s_and_saveexec_b32 s4, s0
	s_cbranch_execz .LBB34_247
; %bb.244:
	v_add_nc_u32_e32 v81, -10, v0
	s_movk_i32 s5, 0x170
	s_mov_b32 s0, 0
.LBB34_245:                             ; =>This Inner Loop Header: Depth=1
	scratch_load_b64 v[82:83], v80, off
	v_dual_mov_b32 v84, s5 :: v_dual_add_nc_u32 v81, -1, v81
	v_add_nc_u32_e32 v80, 8, v80
	s_add_i32 s5, s5, 8
	ds_load_b64 v[84:85], v84
	v_cmp_eq_u32_e32 vcc_lo, 0, v81
	s_or_b32 s0, vcc_lo, s0
	s_waitcnt vmcnt(0) lgkmcnt(0)
	v_fma_f64 v[71:72], v[82:83], v[84:85], v[71:72]
	s_and_not1_b32 exec_lo, exec_lo, s0
	s_cbranch_execnz .LBB34_245
; %bb.246:
	s_or_b32 exec_lo, exec_lo, s0
.LBB34_247:
	s_delay_alu instid0(SALU_CYCLE_1)
	s_or_b32 exec_lo, exec_lo, s4
	v_mov_b32_e32 v80, 0
	ds_load_b64 v[80:81], v80 offset:72
	s_waitcnt lgkmcnt(0)
	v_mul_f64 v[71:72], v[71:72], v[80:81]
	scratch_store_b64 off, v[71:72], off offset:72
.LBB34_248:
	s_or_b32 exec_lo, exec_lo, s2
	scratch_load_b64 v[71:72], off, off offset:64
	v_cmp_lt_u32_e64 s0, 8, v0
	s_waitcnt vmcnt(0)
	ds_store_b64 v74, v[71:72]
	s_waitcnt lgkmcnt(0)
	s_waitcnt_vscnt null, 0x0
	s_barrier
	buffer_gl0_inv
	s_and_saveexec_b32 s2, s0
	s_cbranch_execz .LBB34_258
; %bb.249:
	s_and_not1_b32 vcc_lo, exec_lo, s3
	s_cbranch_vccnz .LBB34_251
; %bb.250:
	scratch_load_b64 v[71:72], v75, off
	ds_load_b64 v[80:81], v74
	s_waitcnt vmcnt(0) lgkmcnt(0)
	v_mul_f64 v[71:72], v[71:72], v[80:81]
	s_cbranch_execz .LBB34_252
	s_branch .LBB34_253
.LBB34_251:
                                        ; implicit-def: $vgpr71_vgpr72
.LBB34_252:
	ds_load_b64 v[71:72], v74
.LBB34_253:
	s_and_saveexec_b32 s4, s1
	s_cbranch_execz .LBB34_257
; %bb.254:
	v_dual_mov_b32 v80, 0 :: v_dual_add_nc_u32 v81, -9, v0
	s_movk_i32 s5, 0x168
	s_mov_b32 s1, 0
	s_delay_alu instid0(VALU_DEP_1)
	v_add_nc_u32_e32 v80, 0x48, v80
.LBB34_255:                             ; =>This Inner Loop Header: Depth=1
	scratch_load_b64 v[82:83], v80, off
	v_dual_mov_b32 v84, s5 :: v_dual_add_nc_u32 v81, -1, v81
	v_add_nc_u32_e32 v80, 8, v80
	s_add_i32 s5, s5, 8
	ds_load_b64 v[84:85], v84
	v_cmp_eq_u32_e32 vcc_lo, 0, v81
	s_or_b32 s1, vcc_lo, s1
	s_waitcnt vmcnt(0) lgkmcnt(0)
	v_fma_f64 v[71:72], v[82:83], v[84:85], v[71:72]
	s_and_not1_b32 exec_lo, exec_lo, s1
	s_cbranch_execnz .LBB34_255
; %bb.256:
	s_or_b32 exec_lo, exec_lo, s1
.LBB34_257:
	s_delay_alu instid0(SALU_CYCLE_1)
	s_or_b32 exec_lo, exec_lo, s4
	v_mov_b32_e32 v80, 0
	ds_load_b64 v[80:81], v80 offset:64
	s_waitcnt lgkmcnt(0)
	v_mul_f64 v[71:72], v[71:72], v[80:81]
	scratch_store_b64 off, v[71:72], off offset:64
.LBB34_258:
	s_or_b32 exec_lo, exec_lo, s2
	scratch_load_b64 v[71:72], off, off offset:56
	v_cmp_lt_u32_e64 s1, 7, v0
	s_waitcnt vmcnt(0)
	ds_store_b64 v74, v[71:72]
	s_waitcnt lgkmcnt(0)
	s_waitcnt_vscnt null, 0x0
	s_barrier
	buffer_gl0_inv
	s_and_saveexec_b32 s2, s1
	s_cbranch_execz .LBB34_268
; %bb.259:
	s_and_not1_b32 vcc_lo, exec_lo, s3
	s_cbranch_vccnz .LBB34_261
; %bb.260:
	scratch_load_b64 v[71:72], v75, off
	ds_load_b64 v[80:81], v74
	s_waitcnt vmcnt(0) lgkmcnt(0)
	v_mul_f64 v[71:72], v[71:72], v[80:81]
	s_cbranch_execz .LBB34_262
	s_branch .LBB34_263
.LBB34_261:
                                        ; implicit-def: $vgpr71_vgpr72
.LBB34_262:
	ds_load_b64 v[71:72], v74
.LBB34_263:
	s_and_saveexec_b32 s4, s0
	s_cbranch_execz .LBB34_267
; %bb.264:
	v_add_nc_u32_e32 v80, -8, v0
	s_movk_i32 s5, 0x160
	s_mov_b32 s0, 0
.LBB34_265:                             ; =>This Inner Loop Header: Depth=1
	scratch_load_b64 v[81:82], v79, off
	v_dual_mov_b32 v83, s5 :: v_dual_add_nc_u32 v80, -1, v80
	v_add_nc_u32_e32 v79, 8, v79
	s_add_i32 s5, s5, 8
	ds_load_b64 v[83:84], v83
	v_cmp_eq_u32_e32 vcc_lo, 0, v80
	s_or_b32 s0, vcc_lo, s0
	s_waitcnt vmcnt(0) lgkmcnt(0)
	v_fma_f64 v[71:72], v[81:82], v[83:84], v[71:72]
	s_and_not1_b32 exec_lo, exec_lo, s0
	s_cbranch_execnz .LBB34_265
; %bb.266:
	s_or_b32 exec_lo, exec_lo, s0
.LBB34_267:
	s_delay_alu instid0(SALU_CYCLE_1)
	s_or_b32 exec_lo, exec_lo, s4
	v_mov_b32_e32 v79, 0
	ds_load_b64 v[79:80], v79 offset:56
	s_waitcnt lgkmcnt(0)
	v_mul_f64 v[71:72], v[71:72], v[79:80]
	scratch_store_b64 off, v[71:72], off offset:56
.LBB34_268:
	s_or_b32 exec_lo, exec_lo, s2
	scratch_load_b64 v[71:72], off, off offset:48
	v_cmp_lt_u32_e64 s0, 6, v0
	s_waitcnt vmcnt(0)
	ds_store_b64 v74, v[71:72]
	s_waitcnt lgkmcnt(0)
	s_waitcnt_vscnt null, 0x0
	s_barrier
	buffer_gl0_inv
	s_and_saveexec_b32 s2, s0
	s_cbranch_execz .LBB34_278
; %bb.269:
	s_and_not1_b32 vcc_lo, exec_lo, s3
	s_cbranch_vccnz .LBB34_271
; %bb.270:
	scratch_load_b64 v[71:72], v75, off
	ds_load_b64 v[79:80], v74
	s_waitcnt vmcnt(0) lgkmcnt(0)
	v_mul_f64 v[71:72], v[71:72], v[79:80]
	s_cbranch_execz .LBB34_272
	s_branch .LBB34_273
.LBB34_271:
                                        ; implicit-def: $vgpr71_vgpr72
.LBB34_272:
	ds_load_b64 v[71:72], v74
.LBB34_273:
	s_and_saveexec_b32 s4, s1
	s_cbranch_execz .LBB34_277
; %bb.274:
	v_add_nc_u32_e64 v79, 0, 56
	v_add_nc_u32_e32 v80, -7, v0
	s_movk_i32 s5, 0x158
	s_mov_b32 s1, 0
.LBB34_275:                             ; =>This Inner Loop Header: Depth=1
	scratch_load_b64 v[81:82], v79, off
	v_dual_mov_b32 v83, s5 :: v_dual_add_nc_u32 v80, -1, v80
	v_add_nc_u32_e32 v79, 8, v79
	s_add_i32 s5, s5, 8
	ds_load_b64 v[83:84], v83
	v_cmp_eq_u32_e32 vcc_lo, 0, v80
	s_or_b32 s1, vcc_lo, s1
	s_waitcnt vmcnt(0) lgkmcnt(0)
	v_fma_f64 v[71:72], v[81:82], v[83:84], v[71:72]
	s_and_not1_b32 exec_lo, exec_lo, s1
	s_cbranch_execnz .LBB34_275
; %bb.276:
	s_or_b32 exec_lo, exec_lo, s1
.LBB34_277:
	s_delay_alu instid0(SALU_CYCLE_1)
	s_or_b32 exec_lo, exec_lo, s4
	v_mov_b32_e32 v79, 0
	ds_load_b64 v[79:80], v79 offset:48
	s_waitcnt lgkmcnt(0)
	v_mul_f64 v[71:72], v[71:72], v[79:80]
	scratch_store_b64 off, v[71:72], off offset:48
.LBB34_278:
	s_or_b32 exec_lo, exec_lo, s2
	scratch_load_b64 v[71:72], off, off offset:40
	v_cmp_lt_u32_e64 s1, 5, v0
	s_waitcnt vmcnt(0)
	ds_store_b64 v74, v[71:72]
	s_waitcnt lgkmcnt(0)
	s_waitcnt_vscnt null, 0x0
	s_barrier
	buffer_gl0_inv
	s_and_saveexec_b32 s2, s1
	s_cbranch_execz .LBB34_288
; %bb.279:
	s_and_not1_b32 vcc_lo, exec_lo, s3
	s_cbranch_vccnz .LBB34_281
; %bb.280:
	scratch_load_b64 v[71:72], v75, off
	ds_load_b64 v[79:80], v74
	s_waitcnt vmcnt(0) lgkmcnt(0)
	v_mul_f64 v[71:72], v[71:72], v[79:80]
	s_cbranch_execz .LBB34_282
	s_branch .LBB34_283
.LBB34_281:
                                        ; implicit-def: $vgpr71_vgpr72
.LBB34_282:
	ds_load_b64 v[71:72], v74
.LBB34_283:
	s_and_saveexec_b32 s4, s0
	s_cbranch_execz .LBB34_287
; %bb.284:
	v_add_nc_u32_e32 v79, -6, v0
	s_movk_i32 s5, 0x150
	s_mov_b32 s0, 0
.LBB34_285:                             ; =>This Inner Loop Header: Depth=1
	scratch_load_b64 v[80:81], v78, off
	v_dual_mov_b32 v82, s5 :: v_dual_add_nc_u32 v79, -1, v79
	v_add_nc_u32_e32 v78, 8, v78
	s_add_i32 s5, s5, 8
	ds_load_b64 v[82:83], v82
	v_cmp_eq_u32_e32 vcc_lo, 0, v79
	s_or_b32 s0, vcc_lo, s0
	s_waitcnt vmcnt(0) lgkmcnt(0)
	v_fma_f64 v[71:72], v[80:81], v[82:83], v[71:72]
	s_and_not1_b32 exec_lo, exec_lo, s0
	s_cbranch_execnz .LBB34_285
; %bb.286:
	s_or_b32 exec_lo, exec_lo, s0
.LBB34_287:
	s_delay_alu instid0(SALU_CYCLE_1)
	s_or_b32 exec_lo, exec_lo, s4
	v_mov_b32_e32 v78, 0
	ds_load_b64 v[78:79], v78 offset:40
	s_waitcnt lgkmcnt(0)
	v_mul_f64 v[71:72], v[71:72], v[78:79]
	scratch_store_b64 off, v[71:72], off offset:40
.LBB34_288:
	s_or_b32 exec_lo, exec_lo, s2
	scratch_load_b64 v[71:72], off, off offset:32
	v_cmp_lt_u32_e64 s0, 4, v0
	s_waitcnt vmcnt(0)
	ds_store_b64 v74, v[71:72]
	s_waitcnt lgkmcnt(0)
	s_waitcnt_vscnt null, 0x0
	s_barrier
	buffer_gl0_inv
	s_and_saveexec_b32 s2, s0
	s_cbranch_execz .LBB34_298
; %bb.289:
	s_and_not1_b32 vcc_lo, exec_lo, s3
	s_cbranch_vccnz .LBB34_291
; %bb.290:
	scratch_load_b64 v[71:72], v75, off
	ds_load_b64 v[78:79], v74
	s_waitcnt vmcnt(0) lgkmcnt(0)
	v_mul_f64 v[71:72], v[71:72], v[78:79]
	s_cbranch_execz .LBB34_292
	s_branch .LBB34_293
.LBB34_291:
                                        ; implicit-def: $vgpr71_vgpr72
.LBB34_292:
	ds_load_b64 v[71:72], v74
.LBB34_293:
	s_and_saveexec_b32 s4, s1
	s_cbranch_execz .LBB34_297
; %bb.294:
	v_add_nc_u32_e64 v78, 0, 40
	v_add_nc_u32_e32 v79, -5, v0
	s_movk_i32 s5, 0x148
	s_mov_b32 s1, 0
.LBB34_295:                             ; =>This Inner Loop Header: Depth=1
	scratch_load_b64 v[80:81], v78, off
	v_dual_mov_b32 v82, s5 :: v_dual_add_nc_u32 v79, -1, v79
	v_add_nc_u32_e32 v78, 8, v78
	s_add_i32 s5, s5, 8
	ds_load_b64 v[82:83], v82
	v_cmp_eq_u32_e32 vcc_lo, 0, v79
	s_or_b32 s1, vcc_lo, s1
	s_waitcnt vmcnt(0) lgkmcnt(0)
	v_fma_f64 v[71:72], v[80:81], v[82:83], v[71:72]
	s_and_not1_b32 exec_lo, exec_lo, s1
	s_cbranch_execnz .LBB34_295
; %bb.296:
	s_or_b32 exec_lo, exec_lo, s1
.LBB34_297:
	s_delay_alu instid0(SALU_CYCLE_1)
	s_or_b32 exec_lo, exec_lo, s4
	v_mov_b32_e32 v78, 0
	ds_load_b64 v[78:79], v78 offset:32
	s_waitcnt lgkmcnt(0)
	v_mul_f64 v[71:72], v[71:72], v[78:79]
	scratch_store_b64 off, v[71:72], off offset:32
.LBB34_298:
	s_or_b32 exec_lo, exec_lo, s2
	scratch_load_b64 v[71:72], off, off offset:24
	v_cmp_lt_u32_e64 s1, 3, v0
	s_waitcnt vmcnt(0)
	ds_store_b64 v74, v[71:72]
	s_waitcnt lgkmcnt(0)
	s_waitcnt_vscnt null, 0x0
	s_barrier
	buffer_gl0_inv
	s_and_saveexec_b32 s2, s1
	s_cbranch_execz .LBB34_308
; %bb.299:
	s_and_not1_b32 vcc_lo, exec_lo, s3
	s_cbranch_vccnz .LBB34_301
; %bb.300:
	scratch_load_b64 v[71:72], v75, off
	ds_load_b64 v[78:79], v74
	s_waitcnt vmcnt(0) lgkmcnt(0)
	v_mul_f64 v[71:72], v[71:72], v[78:79]
	s_cbranch_execz .LBB34_302
	s_branch .LBB34_303
.LBB34_301:
                                        ; implicit-def: $vgpr71_vgpr72
.LBB34_302:
	ds_load_b64 v[71:72], v74
.LBB34_303:
	s_and_saveexec_b32 s4, s0
	s_cbranch_execz .LBB34_307
; %bb.304:
	v_add_nc_u32_e32 v78, -4, v0
	s_movk_i32 s5, 0x140
	s_mov_b32 s0, 0
.LBB34_305:                             ; =>This Inner Loop Header: Depth=1
	scratch_load_b64 v[79:80], v77, off
	v_dual_mov_b32 v81, s5 :: v_dual_add_nc_u32 v78, -1, v78
	v_add_nc_u32_e32 v77, 8, v77
	s_add_i32 s5, s5, 8
	ds_load_b64 v[81:82], v81
	v_cmp_eq_u32_e32 vcc_lo, 0, v78
	s_or_b32 s0, vcc_lo, s0
	s_waitcnt vmcnt(0) lgkmcnt(0)
	v_fma_f64 v[71:72], v[79:80], v[81:82], v[71:72]
	s_and_not1_b32 exec_lo, exec_lo, s0
	s_cbranch_execnz .LBB34_305
; %bb.306:
	s_or_b32 exec_lo, exec_lo, s0
.LBB34_307:
	s_delay_alu instid0(SALU_CYCLE_1)
	s_or_b32 exec_lo, exec_lo, s4
	v_mov_b32_e32 v77, 0
	ds_load_b64 v[77:78], v77 offset:24
	s_waitcnt lgkmcnt(0)
	v_mul_f64 v[71:72], v[71:72], v[77:78]
	scratch_store_b64 off, v[71:72], off offset:24
.LBB34_308:
	s_or_b32 exec_lo, exec_lo, s2
	scratch_load_b64 v[71:72], off, off offset:16
	v_cmp_lt_u32_e64 s0, 2, v0
	s_waitcnt vmcnt(0)
	ds_store_b64 v74, v[71:72]
	s_waitcnt lgkmcnt(0)
	s_waitcnt_vscnt null, 0x0
	s_barrier
	buffer_gl0_inv
	s_and_saveexec_b32 s2, s0
	s_cbranch_execz .LBB34_318
; %bb.309:
	s_and_not1_b32 vcc_lo, exec_lo, s3
	s_cbranch_vccnz .LBB34_311
; %bb.310:
	scratch_load_b64 v[71:72], v75, off
	ds_load_b64 v[77:78], v74
	s_waitcnt vmcnt(0) lgkmcnt(0)
	v_mul_f64 v[71:72], v[71:72], v[77:78]
	s_cbranch_execz .LBB34_312
	s_branch .LBB34_313
.LBB34_311:
                                        ; implicit-def: $vgpr71_vgpr72
.LBB34_312:
	ds_load_b64 v[71:72], v74
.LBB34_313:
	s_and_saveexec_b32 s4, s1
	s_cbranch_execz .LBB34_317
; %bb.314:
	v_add_nc_u32_e64 v77, 0, 24
	v_add_nc_u32_e32 v78, -3, v0
	s_movk_i32 s5, 0x138
	s_mov_b32 s1, 0
.LBB34_315:                             ; =>This Inner Loop Header: Depth=1
	scratch_load_b64 v[79:80], v77, off
	v_dual_mov_b32 v81, s5 :: v_dual_add_nc_u32 v78, -1, v78
	v_add_nc_u32_e32 v77, 8, v77
	s_add_i32 s5, s5, 8
	ds_load_b64 v[81:82], v81
	v_cmp_eq_u32_e32 vcc_lo, 0, v78
	s_or_b32 s1, vcc_lo, s1
	s_waitcnt vmcnt(0) lgkmcnt(0)
	v_fma_f64 v[71:72], v[79:80], v[81:82], v[71:72]
	s_and_not1_b32 exec_lo, exec_lo, s1
	s_cbranch_execnz .LBB34_315
; %bb.316:
	s_or_b32 exec_lo, exec_lo, s1
.LBB34_317:
	s_delay_alu instid0(SALU_CYCLE_1)
	s_or_b32 exec_lo, exec_lo, s4
	v_mov_b32_e32 v77, 0
	ds_load_b64 v[77:78], v77 offset:16
	s_waitcnt lgkmcnt(0)
	v_mul_f64 v[71:72], v[71:72], v[77:78]
	scratch_store_b64 off, v[71:72], off offset:16
.LBB34_318:
	s_or_b32 exec_lo, exec_lo, s2
	scratch_load_b64 v[71:72], off, off offset:8
	v_cmp_lt_u32_e64 s1, 1, v0
	s_waitcnt vmcnt(0)
	ds_store_b64 v74, v[71:72]
	s_waitcnt lgkmcnt(0)
	s_waitcnt_vscnt null, 0x0
	s_barrier
	buffer_gl0_inv
	s_and_saveexec_b32 s2, s1
	s_cbranch_execz .LBB34_328
; %bb.319:
	s_and_not1_b32 vcc_lo, exec_lo, s3
	s_cbranch_vccnz .LBB34_321
; %bb.320:
	scratch_load_b64 v[71:72], v75, off
	ds_load_b64 v[77:78], v74
	s_waitcnt vmcnt(0) lgkmcnt(0)
	v_mul_f64 v[71:72], v[71:72], v[77:78]
	s_cbranch_execz .LBB34_322
	s_branch .LBB34_323
.LBB34_321:
                                        ; implicit-def: $vgpr71_vgpr72
.LBB34_322:
	ds_load_b64 v[71:72], v74
.LBB34_323:
	s_and_saveexec_b32 s4, s0
	s_cbranch_execz .LBB34_327
; %bb.324:
	v_add_nc_u32_e32 v77, -2, v0
	s_movk_i32 s5, 0x130
	s_mov_b32 s0, 0
.LBB34_325:                             ; =>This Inner Loop Header: Depth=1
	scratch_load_b64 v[78:79], v76, off
	v_dual_mov_b32 v80, s5 :: v_dual_add_nc_u32 v77, -1, v77
	v_add_nc_u32_e32 v76, 8, v76
	s_add_i32 s5, s5, 8
	ds_load_b64 v[80:81], v80
	v_cmp_eq_u32_e32 vcc_lo, 0, v77
	s_or_b32 s0, vcc_lo, s0
	s_waitcnt vmcnt(0) lgkmcnt(0)
	v_fma_f64 v[71:72], v[78:79], v[80:81], v[71:72]
	s_and_not1_b32 exec_lo, exec_lo, s0
	s_cbranch_execnz .LBB34_325
; %bb.326:
	s_or_b32 exec_lo, exec_lo, s0
.LBB34_327:
	s_delay_alu instid0(SALU_CYCLE_1)
	s_or_b32 exec_lo, exec_lo, s4
	v_mov_b32_e32 v76, 0
	ds_load_b64 v[76:77], v76 offset:8
	s_waitcnt lgkmcnt(0)
	v_mul_f64 v[71:72], v[71:72], v[76:77]
	scratch_store_b64 off, v[71:72], off offset:8
.LBB34_328:
	s_or_b32 exec_lo, exec_lo, s2
	scratch_load_b64 v[71:72], off, off
	s_mov_b32 s0, 0
	s_mov_b32 s2, exec_lo
	s_waitcnt vmcnt(0)
	ds_store_b64 v74, v[71:72]
	s_waitcnt lgkmcnt(0)
	s_waitcnt_vscnt null, 0x0
	s_barrier
	buffer_gl0_inv
	v_cmpx_ne_u32_e32 0, v0
	s_cbranch_execz .LBB34_338
; %bb.329:
	s_and_not1_b32 vcc_lo, exec_lo, s3
	s_cbranch_vccnz .LBB34_331
; %bb.330:
	scratch_load_b64 v[71:72], v75, off
	ds_load_b64 v[76:77], v74
	s_waitcnt vmcnt(0) lgkmcnt(0)
	v_mul_f64 v[71:72], v[71:72], v[76:77]
	s_cbranch_execz .LBB34_332
	s_branch .LBB34_333
.LBB34_331:
                                        ; implicit-def: $vgpr71_vgpr72
.LBB34_332:
	ds_load_b64 v[71:72], v74
.LBB34_333:
	s_and_saveexec_b32 s4, s1
	s_cbranch_execz .LBB34_337
; %bb.334:
	v_or_b32_e64 v76, 0, 8
	v_add_nc_u32_e32 v77, -1, v0
	s_movk_i32 s5, 0x128
	s_mov_b32 s1, 0
.LBB34_335:                             ; =>This Inner Loop Header: Depth=1
	scratch_load_b64 v[78:79], v76, off
	v_dual_mov_b32 v80, s5 :: v_dual_add_nc_u32 v77, -1, v77
	v_add_nc_u32_e32 v76, 8, v76
	s_add_i32 s5, s5, 8
	ds_load_b64 v[80:81], v80
	v_cmp_eq_u32_e32 vcc_lo, 0, v77
	s_or_b32 s1, vcc_lo, s1
	s_waitcnt vmcnt(0) lgkmcnt(0)
	v_fma_f64 v[71:72], v[78:79], v[80:81], v[71:72]
	s_and_not1_b32 exec_lo, exec_lo, s1
	s_cbranch_execnz .LBB34_335
; %bb.336:
	s_or_b32 exec_lo, exec_lo, s1
.LBB34_337:
	s_delay_alu instid0(SALU_CYCLE_1)
	s_or_b32 exec_lo, exec_lo, s4
	v_mov_b32_e32 v76, 0
	ds_load_b64 v[76:77], v76
	s_waitcnt lgkmcnt(0)
	v_mul_f64 v[71:72], v[71:72], v[76:77]
	scratch_store_b64 off, v[71:72], off
.LBB34_338:
	s_or_b32 exec_lo, exec_lo, s2
.LBB34_339:
	s_delay_alu instid0(SALU_CYCLE_1)
	s_and_b32 vcc_lo, exec_lo, s0
	s_cbranch_vccz .LBB34_675
; %bb.340:
	scratch_load_b64 v[71:72], off, off offset:8
	v_cmp_eq_u32_e64 s0, 0, v0
	s_waitcnt vmcnt(0)
	ds_store_b64 v74, v[71:72]
	s_waitcnt lgkmcnt(0)
	s_waitcnt_vscnt null, 0x0
	s_barrier
	buffer_gl0_inv
	s_and_saveexec_b32 s1, s0
	s_cbranch_execz .LBB34_346
; %bb.341:
	s_and_b32 vcc_lo, exec_lo, s3
	s_cbranch_vccz .LBB34_343
; %bb.342:
	scratch_load_b64 v[71:72], v75, off
	ds_load_b64 v[76:77], v74
	s_waitcnt vmcnt(0) lgkmcnt(0)
	v_mul_f64 v[71:72], v[71:72], v[76:77]
	s_cbranch_execz .LBB34_344
	s_branch .LBB34_345
.LBB34_343:
                                        ; implicit-def: $vgpr71_vgpr72
.LBB34_344:
	ds_load_b64 v[71:72], v74
.LBB34_345:
	v_mov_b32_e32 v76, 0
	ds_load_b64 v[76:77], v76 offset:8
	s_waitcnt lgkmcnt(0)
	v_mul_f64 v[71:72], v[71:72], v[76:77]
	scratch_store_b64 off, v[71:72], off offset:8
.LBB34_346:
	s_or_b32 exec_lo, exec_lo, s1
	scratch_load_b64 v[71:72], off, off offset:16
	v_cndmask_b32_e64 v76, 0, 1, s3
	s_mov_b32 s1, exec_lo
	s_waitcnt vmcnt(0)
	ds_store_b64 v74, v[71:72]
	s_waitcnt lgkmcnt(0)
	s_waitcnt_vscnt null, 0x0
	s_barrier
	buffer_gl0_inv
	v_cmpx_gt_u32_e32 2, v0
	s_cbranch_execz .LBB34_354
; %bb.347:
	s_and_not1_b32 vcc_lo, exec_lo, s3
	s_cbranch_vccnz .LBB34_349
; %bb.348:
	scratch_load_b64 v[71:72], v75, off
	ds_load_b64 v[77:78], v74
	s_waitcnt vmcnt(0) lgkmcnt(0)
	v_mul_f64 v[71:72], v[71:72], v[77:78]
	s_cbranch_execz .LBB34_350
	s_branch .LBB34_351
.LBB34_349:
                                        ; implicit-def: $vgpr71_vgpr72
.LBB34_350:
	ds_load_b64 v[71:72], v74
.LBB34_351:
	s_and_saveexec_b32 s2, s0
	s_cbranch_execz .LBB34_353
; %bb.352:
	scratch_load_b64 v[77:78], v75, off offset:8
	ds_load_b64 v[79:80], v74 offset:8
	s_waitcnt vmcnt(0) lgkmcnt(0)
	v_fma_f64 v[71:72], v[77:78], v[79:80], v[71:72]
.LBB34_353:
	s_or_b32 exec_lo, exec_lo, s2
	v_mov_b32_e32 v77, 0
	ds_load_b64 v[77:78], v77 offset:16
	s_waitcnt lgkmcnt(0)
	v_mul_f64 v[71:72], v[71:72], v[77:78]
	scratch_store_b64 off, v[71:72], off offset:16
.LBB34_354:
	s_or_b32 exec_lo, exec_lo, s1
	scratch_load_b64 v[71:72], off, off offset:24
	s_mov_b32 s1, exec_lo
	s_waitcnt vmcnt(0)
	ds_store_b64 v74, v[71:72]
	s_waitcnt lgkmcnt(0)
	s_waitcnt_vscnt null, 0x0
	s_barrier
	buffer_gl0_inv
	v_cmpx_gt_u32_e32 3, v0
	s_cbranch_execz .LBB34_364
; %bb.355:
	v_cmp_ne_u32_e32 vcc_lo, 1, v76
	s_cbranch_vccnz .LBB34_357
; %bb.356:
	scratch_load_b64 v[71:72], v75, off
	ds_load_b64 v[77:78], v74
	s_waitcnt vmcnt(0) lgkmcnt(0)
	v_mul_f64 v[71:72], v[71:72], v[77:78]
	s_cbranch_execz .LBB34_358
	s_branch .LBB34_359
.LBB34_357:
                                        ; implicit-def: $vgpr71_vgpr72
.LBB34_358:
	ds_load_b64 v[71:72], v74
.LBB34_359:
	s_mov_b32 s2, exec_lo
	v_cmpx_ne_u32_e32 2, v0
	s_cbranch_execz .LBB34_363
; %bb.360:
	scratch_load_b64 v[77:78], v75, off offset:8
	ds_load_b64 v[79:80], v74 offset:8
	s_waitcnt vmcnt(0) lgkmcnt(0)
	v_fma_f64 v[71:72], v[77:78], v[79:80], v[71:72]
	s_and_saveexec_b32 s3, s0
	s_cbranch_execz .LBB34_362
; %bb.361:
	scratch_load_b64 v[77:78], off, off offset:16
	v_mov_b32_e32 v79, 0
	ds_load_b64 v[79:80], v79 offset:304
	s_waitcnt vmcnt(0) lgkmcnt(0)
	v_fma_f64 v[71:72], v[77:78], v[79:80], v[71:72]
.LBB34_362:
	s_or_b32 exec_lo, exec_lo, s3
.LBB34_363:
	s_delay_alu instid0(SALU_CYCLE_1)
	s_or_b32 exec_lo, exec_lo, s2
	v_mov_b32_e32 v77, 0
	ds_load_b64 v[77:78], v77 offset:24
	s_waitcnt lgkmcnt(0)
	v_mul_f64 v[71:72], v[71:72], v[77:78]
	scratch_store_b64 off, v[71:72], off offset:24
.LBB34_364:
	s_or_b32 exec_lo, exec_lo, s1
	scratch_load_b64 v[71:72], off, off offset:32
	s_mov_b32 s0, exec_lo
	s_waitcnt vmcnt(0)
	ds_store_b64 v74, v[71:72]
	s_waitcnt lgkmcnt(0)
	s_waitcnt_vscnt null, 0x0
	s_barrier
	buffer_gl0_inv
	v_cmpx_gt_u32_e32 4, v0
	s_cbranch_execz .LBB34_374
; %bb.365:
	v_cmp_ne_u32_e32 vcc_lo, 1, v76
	s_cbranch_vccnz .LBB34_367
; %bb.366:
	scratch_load_b64 v[71:72], v75, off
	ds_load_b64 v[77:78], v74
	s_waitcnt vmcnt(0) lgkmcnt(0)
	v_mul_f64 v[71:72], v[71:72], v[77:78]
	s_cbranch_execz .LBB34_368
	s_branch .LBB34_369
.LBB34_367:
                                        ; implicit-def: $vgpr71_vgpr72
.LBB34_368:
	ds_load_b64 v[71:72], v74
.LBB34_369:
	s_mov_b32 s1, exec_lo
	v_cmpx_ne_u32_e32 3, v0
	s_cbranch_execz .LBB34_373
; %bb.370:
	v_add_nc_u32_e32 v77, 0x128, v73
	v_add3_u32 v78, 0, v73, 8
	v_mov_b32_e32 v79, v0
	s_mov_b32 s2, 0
.LBB34_371:                             ; =>This Inner Loop Header: Depth=1
	scratch_load_b64 v[80:81], v78, off
	ds_load_b64 v[82:83], v77
	v_add_nc_u32_e32 v79, 1, v79
	v_add_nc_u32_e32 v77, 8, v77
	v_add_nc_u32_e32 v78, 8, v78
	s_delay_alu instid0(VALU_DEP_3)
	v_cmp_lt_u32_e32 vcc_lo, 2, v79
	s_or_b32 s2, vcc_lo, s2
	s_waitcnt vmcnt(0) lgkmcnt(0)
	v_fma_f64 v[71:72], v[80:81], v[82:83], v[71:72]
	s_and_not1_b32 exec_lo, exec_lo, s2
	s_cbranch_execnz .LBB34_371
; %bb.372:
	s_or_b32 exec_lo, exec_lo, s2
.LBB34_373:
	s_delay_alu instid0(SALU_CYCLE_1)
	s_or_b32 exec_lo, exec_lo, s1
	v_mov_b32_e32 v77, 0
	ds_load_b64 v[77:78], v77 offset:32
	s_waitcnt lgkmcnt(0)
	v_mul_f64 v[71:72], v[71:72], v[77:78]
	scratch_store_b64 off, v[71:72], off offset:32
.LBB34_374:
	s_or_b32 exec_lo, exec_lo, s0
	scratch_load_b64 v[71:72], off, off offset:40
	s_mov_b32 s0, exec_lo
	s_waitcnt vmcnt(0)
	ds_store_b64 v74, v[71:72]
	s_waitcnt lgkmcnt(0)
	s_waitcnt_vscnt null, 0x0
	s_barrier
	buffer_gl0_inv
	v_cmpx_gt_u32_e32 5, v0
	s_cbranch_execz .LBB34_384
; %bb.375:
	v_cmp_ne_u32_e32 vcc_lo, 1, v76
	s_cbranch_vccnz .LBB34_377
; %bb.376:
	scratch_load_b64 v[71:72], v75, off
	ds_load_b64 v[77:78], v74
	s_waitcnt vmcnt(0) lgkmcnt(0)
	v_mul_f64 v[71:72], v[71:72], v[77:78]
	s_cbranch_execz .LBB34_378
	s_branch .LBB34_379
.LBB34_377:
                                        ; implicit-def: $vgpr71_vgpr72
.LBB34_378:
	ds_load_b64 v[71:72], v74
.LBB34_379:
	s_mov_b32 s1, exec_lo
	v_cmpx_ne_u32_e32 4, v0
	s_cbranch_execz .LBB34_383
; %bb.380:
	v_add_nc_u32_e32 v77, 0x128, v73
	v_add3_u32 v78, 0, v73, 8
	v_mov_b32_e32 v79, v0
	s_mov_b32 s2, 0
.LBB34_381:                             ; =>This Inner Loop Header: Depth=1
	scratch_load_b64 v[80:81], v78, off
	ds_load_b64 v[82:83], v77
	v_add_nc_u32_e32 v79, 1, v79
	v_add_nc_u32_e32 v77, 8, v77
	v_add_nc_u32_e32 v78, 8, v78
	s_delay_alu instid0(VALU_DEP_3)
	v_cmp_lt_u32_e32 vcc_lo, 3, v79
	s_or_b32 s2, vcc_lo, s2
	s_waitcnt vmcnt(0) lgkmcnt(0)
	v_fma_f64 v[71:72], v[80:81], v[82:83], v[71:72]
	s_and_not1_b32 exec_lo, exec_lo, s2
	s_cbranch_execnz .LBB34_381
; %bb.382:
	s_or_b32 exec_lo, exec_lo, s2
.LBB34_383:
	s_delay_alu instid0(SALU_CYCLE_1)
	s_or_b32 exec_lo, exec_lo, s1
	v_mov_b32_e32 v77, 0
	ds_load_b64 v[77:78], v77 offset:40
	s_waitcnt lgkmcnt(0)
	v_mul_f64 v[71:72], v[71:72], v[77:78]
	scratch_store_b64 off, v[71:72], off offset:40
.LBB34_384:
	;; [unrolled: 58-line block ×29, first 2 shown]
	s_or_b32 exec_lo, exec_lo, s0
	scratch_load_b64 v[71:72], off, off offset:264
	v_cmp_gt_u32_e64 s0, 33, v0
	s_waitcnt vmcnt(0)
	ds_store_b64 v74, v[71:72]
	s_waitcnt lgkmcnt(0)
	s_waitcnt_vscnt null, 0x0
	s_barrier
	buffer_gl0_inv
	s_and_saveexec_b32 s1, s0
	s_cbranch_execz .LBB34_664
; %bb.655:
	v_cmp_ne_u32_e32 vcc_lo, 1, v76
	s_cbranch_vccnz .LBB34_657
; %bb.656:
	scratch_load_b64 v[71:72], v75, off
	ds_load_b64 v[77:78], v74
	s_waitcnt vmcnt(0) lgkmcnt(0)
	v_mul_f64 v[71:72], v[71:72], v[77:78]
	s_cbranch_execz .LBB34_658
	s_branch .LBB34_659
.LBB34_657:
                                        ; implicit-def: $vgpr71_vgpr72
.LBB34_658:
	ds_load_b64 v[71:72], v74
.LBB34_659:
	s_mov_b32 s2, exec_lo
	v_cmpx_ne_u32_e32 32, v0
	s_cbranch_execz .LBB34_663
; %bb.660:
	v_add_nc_u32_e32 v77, 0x128, v73
	v_add3_u32 v78, 0, v73, 8
	v_mov_b32_e32 v79, v0
	s_mov_b32 s3, 0
.LBB34_661:                             ; =>This Inner Loop Header: Depth=1
	scratch_load_b64 v[80:81], v78, off
	ds_load_b64 v[82:83], v77
	v_add_nc_u32_e32 v79, 1, v79
	v_add_nc_u32_e32 v77, 8, v77
	v_add_nc_u32_e32 v78, 8, v78
	s_delay_alu instid0(VALU_DEP_3)
	v_cmp_lt_u32_e32 vcc_lo, 31, v79
	s_or_b32 s3, vcc_lo, s3
	s_waitcnt vmcnt(0) lgkmcnt(0)
	v_fma_f64 v[71:72], v[80:81], v[82:83], v[71:72]
	s_and_not1_b32 exec_lo, exec_lo, s3
	s_cbranch_execnz .LBB34_661
; %bb.662:
	s_or_b32 exec_lo, exec_lo, s3
.LBB34_663:
	s_delay_alu instid0(SALU_CYCLE_1)
	s_or_b32 exec_lo, exec_lo, s2
	v_mov_b32_e32 v77, 0
	ds_load_b64 v[77:78], v77 offset:264
	s_waitcnt lgkmcnt(0)
	v_mul_f64 v[71:72], v[71:72], v[77:78]
	scratch_store_b64 off, v[71:72], off offset:264
.LBB34_664:
	s_or_b32 exec_lo, exec_lo, s1
	scratch_load_b64 v[71:72], off, off offset:272
	s_mov_b32 s1, exec_lo
	s_waitcnt vmcnt(0)
	ds_store_b64 v74, v[71:72]
	s_waitcnt lgkmcnt(0)
	s_waitcnt_vscnt null, 0x0
	s_barrier
	buffer_gl0_inv
	v_cmpx_ne_u32_e32 34, v0
	s_cbranch_execz .LBB34_674
; %bb.665:
	v_cmp_ne_u32_e32 vcc_lo, 1, v76
	s_cbranch_vccnz .LBB34_667
; %bb.666:
	scratch_load_b64 v[71:72], v75, off
	ds_load_b64 v[75:76], v74
	s_waitcnt vmcnt(0) lgkmcnt(0)
	v_mul_f64 v[71:72], v[71:72], v[75:76]
	s_cbranch_execz .LBB34_668
	s_branch .LBB34_669
.LBB34_667:
                                        ; implicit-def: $vgpr71_vgpr72
.LBB34_668:
	ds_load_b64 v[71:72], v74
.LBB34_669:
	s_and_saveexec_b32 s2, s0
	s_cbranch_execz .LBB34_673
; %bb.670:
	v_add_nc_u32_e32 v74, 0x128, v73
	v_add3_u32 v73, 0, v73, 8
	s_mov_b32 s0, 0
.LBB34_671:                             ; =>This Inner Loop Header: Depth=1
	scratch_load_b64 v[75:76], v73, off
	ds_load_b64 v[77:78], v74
	v_add_nc_u32_e32 v0, 1, v0
	v_add_nc_u32_e32 v74, 8, v74
	;; [unrolled: 1-line block ×3, first 2 shown]
	s_delay_alu instid0(VALU_DEP_3)
	v_cmp_lt_u32_e32 vcc_lo, 32, v0
	s_or_b32 s0, vcc_lo, s0
	s_waitcnt vmcnt(0) lgkmcnt(0)
	v_fma_f64 v[71:72], v[75:76], v[77:78], v[71:72]
	s_and_not1_b32 exec_lo, exec_lo, s0
	s_cbranch_execnz .LBB34_671
; %bb.672:
	s_or_b32 exec_lo, exec_lo, s0
.LBB34_673:
	s_delay_alu instid0(SALU_CYCLE_1)
	s_or_b32 exec_lo, exec_lo, s2
	v_mov_b32_e32 v0, 0
	ds_load_b64 v[73:74], v0 offset:272
	s_waitcnt lgkmcnt(0)
	v_mul_f64 v[71:72], v[71:72], v[73:74]
	scratch_store_b64 off, v[71:72], off offset:272
.LBB34_674:
	s_or_b32 exec_lo, exec_lo, s1
.LBB34_675:
	s_clause 0xb
	scratch_load_b128 v[71:74], off, off
	scratch_load_b128 v[75:78], off, off offset:16
	scratch_load_b128 v[79:82], off, off offset:32
	;; [unrolled: 1-line block ×11, first 2 shown]
	s_waitcnt vmcnt(11)
	s_clause 0x1
	global_store_b64 v[3:4], v[71:72], off
	global_store_b64 v[1:2], v[73:74], off
	scratch_load_b128 v[0:3], off, off offset:192
	s_waitcnt vmcnt(11)
	s_clause 0x1
	global_store_b64 v[5:6], v[75:76], off
	global_store_b64 v[7:8], v[77:78], off
	s_waitcnt vmcnt(10)
	s_clause 0x1
	global_store_b64 v[9:10], v[79:80], off
	global_store_b64 v[11:12], v[81:82], off
	s_clause 0x4
	scratch_load_b128 v[71:74], off, off offset:208
	scratch_load_b128 v[4:7], off, off offset:224
	scratch_load_b128 v[75:78], off, off offset:240
	scratch_load_b128 v[8:11], off, off offset:256
	scratch_load_b64 v[79:80], off, off offset:272
	s_waitcnt vmcnt(14)
	s_clause 0x1
	global_store_b64 v[13:14], v[83:84], off
	global_store_b64 v[15:16], v[85:86], off
	s_waitcnt vmcnt(13)
	s_clause 0x1
	global_store_b64 v[17:18], v[87:88], off
	global_store_b64 v[19:20], v[89:90], off
	;; [unrolled: 4-line block ×14, first 2 shown]
	s_waitcnt vmcnt(0)
	global_store_b64 v[41:42], v[79:80], off
.LBB34_676:
	s_endpgm
	.section	.rodata,"a",@progbits
	.p2align	6, 0x0
	.amdhsa_kernel _ZN9rocsolver6v33100L18trti2_kernel_smallILi35EdPdEEv13rocblas_fill_17rocblas_diagonal_T1_iil
		.amdhsa_group_segment_fixed_size 568
		.amdhsa_private_segment_fixed_size 288
		.amdhsa_kernarg_size 32
		.amdhsa_user_sgpr_count 15
		.amdhsa_user_sgpr_dispatch_ptr 0
		.amdhsa_user_sgpr_queue_ptr 0
		.amdhsa_user_sgpr_kernarg_segment_ptr 1
		.amdhsa_user_sgpr_dispatch_id 0
		.amdhsa_user_sgpr_private_segment_size 0
		.amdhsa_wavefront_size32 1
		.amdhsa_uses_dynamic_stack 0
		.amdhsa_enable_private_segment 1
		.amdhsa_system_sgpr_workgroup_id_x 1
		.amdhsa_system_sgpr_workgroup_id_y 0
		.amdhsa_system_sgpr_workgroup_id_z 0
		.amdhsa_system_sgpr_workgroup_info 0
		.amdhsa_system_vgpr_workitem_id 0
		.amdhsa_next_free_vgpr 120
		.amdhsa_next_free_sgpr 16
		.amdhsa_reserve_vcc 1
		.amdhsa_float_round_mode_32 0
		.amdhsa_float_round_mode_16_64 0
		.amdhsa_float_denorm_mode_32 3
		.amdhsa_float_denorm_mode_16_64 3
		.amdhsa_dx10_clamp 1
		.amdhsa_ieee_mode 1
		.amdhsa_fp16_overflow 0
		.amdhsa_workgroup_processor_mode 1
		.amdhsa_memory_ordered 1
		.amdhsa_forward_progress 0
		.amdhsa_shared_vgpr_count 0
		.amdhsa_exception_fp_ieee_invalid_op 0
		.amdhsa_exception_fp_denorm_src 0
		.amdhsa_exception_fp_ieee_div_zero 0
		.amdhsa_exception_fp_ieee_overflow 0
		.amdhsa_exception_fp_ieee_underflow 0
		.amdhsa_exception_fp_ieee_inexact 0
		.amdhsa_exception_int_div_zero 0
	.end_amdhsa_kernel
	.section	.text._ZN9rocsolver6v33100L18trti2_kernel_smallILi35EdPdEEv13rocblas_fill_17rocblas_diagonal_T1_iil,"axG",@progbits,_ZN9rocsolver6v33100L18trti2_kernel_smallILi35EdPdEEv13rocblas_fill_17rocblas_diagonal_T1_iil,comdat
.Lfunc_end34:
	.size	_ZN9rocsolver6v33100L18trti2_kernel_smallILi35EdPdEEv13rocblas_fill_17rocblas_diagonal_T1_iil, .Lfunc_end34-_ZN9rocsolver6v33100L18trti2_kernel_smallILi35EdPdEEv13rocblas_fill_17rocblas_diagonal_T1_iil
                                        ; -- End function
	.section	.AMDGPU.csdata,"",@progbits
; Kernel info:
; codeLenInByte = 18968
; NumSgprs: 18
; NumVgprs: 120
; ScratchSize: 288
; MemoryBound: 0
; FloatMode: 240
; IeeeMode: 1
; LDSByteSize: 568 bytes/workgroup (compile time only)
; SGPRBlocks: 2
; VGPRBlocks: 14
; NumSGPRsForWavesPerEU: 18
; NumVGPRsForWavesPerEU: 120
; Occupancy: 12
; WaveLimiterHint : 0
; COMPUTE_PGM_RSRC2:SCRATCH_EN: 1
; COMPUTE_PGM_RSRC2:USER_SGPR: 15
; COMPUTE_PGM_RSRC2:TRAP_HANDLER: 0
; COMPUTE_PGM_RSRC2:TGID_X_EN: 1
; COMPUTE_PGM_RSRC2:TGID_Y_EN: 0
; COMPUTE_PGM_RSRC2:TGID_Z_EN: 0
; COMPUTE_PGM_RSRC2:TIDIG_COMP_CNT: 0
	.section	.text._ZN9rocsolver6v33100L18trti2_kernel_smallILi36EdPdEEv13rocblas_fill_17rocblas_diagonal_T1_iil,"axG",@progbits,_ZN9rocsolver6v33100L18trti2_kernel_smallILi36EdPdEEv13rocblas_fill_17rocblas_diagonal_T1_iil,comdat
	.globl	_ZN9rocsolver6v33100L18trti2_kernel_smallILi36EdPdEEv13rocblas_fill_17rocblas_diagonal_T1_iil ; -- Begin function _ZN9rocsolver6v33100L18trti2_kernel_smallILi36EdPdEEv13rocblas_fill_17rocblas_diagonal_T1_iil
	.p2align	8
	.type	_ZN9rocsolver6v33100L18trti2_kernel_smallILi36EdPdEEv13rocblas_fill_17rocblas_diagonal_T1_iil,@function
_ZN9rocsolver6v33100L18trti2_kernel_smallILi36EdPdEEv13rocblas_fill_17rocblas_diagonal_T1_iil: ; @_ZN9rocsolver6v33100L18trti2_kernel_smallILi36EdPdEEv13rocblas_fill_17rocblas_diagonal_T1_iil
; %bb.0:
	s_mov_b32 s2, exec_lo
	v_cmpx_gt_u32_e32 36, v0
	s_cbranch_execz .LBB35_696
; %bb.1:
	s_load_b256 s[0:7], s[0:1], 0x0
	s_ashr_i32 s10, s15, 31
	v_lshlrev_b32_e32 v75, 3, v0
	s_waitcnt lgkmcnt(0)
	v_add3_u32 v1, s5, s5, v0
	s_ashr_i32 s9, s4, 31
	s_mov_b32 s8, s4
	s_mul_i32 s4, s15, s7
	s_mul_hi_u32 s7, s15, s6
	v_add_nc_u32_e32 v3, s5, v1
	s_mul_i32 s11, s10, s6
	s_add_i32 s4, s7, s4
	s_mul_i32 s6, s15, s6
	s_add_i32 s7, s4, s11
	v_add_nc_u32_e32 v9, s5, v3
	v_ashrrev_i32_e32 v2, 31, v1
	s_lshl_b64 s[6:7], s[6:7], 3
	v_ashrrev_i32_e32 v4, 31, v3
	s_add_u32 s4, s2, s6
	v_add_nc_u32_e32 v13, s5, v9
	s_addc_u32 s6, s3, s7
	s_lshl_b64 s[2:3], s[8:9], 3
	v_lshlrev_b64 v[7:8], 3, v[1:2]
	s_add_u32 s2, s4, s2
	v_add_nc_u32_e32 v17, s5, v13
	s_addc_u32 s3, s6, s3
	v_add_co_u32 v5, s4, s2, v75
	v_ashrrev_i32_e32 v10, 31, v9
	s_delay_alu instid0(VALU_DEP_3) | instskip(SKIP_3) | instid1(VALU_DEP_2)
	v_add_nc_u32_e32 v21, s5, v17
	s_mov_b32 s10, s5
	s_ashr_i32 s11, s5, 31
	v_add_co_ci_u32_e64 v6, null, s3, 0, s4
	v_add_nc_u32_e32 v23, s5, v21
	v_lshlrev_b64 v[3:4], 3, v[3:4]
	v_add_co_u32 v7, vcc_lo, s2, v7
	s_lshl_b64 s[6:7], s[10:11], 3
	v_ashrrev_i32_e32 v14, 31, v13
	v_add_co_ci_u32_e32 v8, vcc_lo, s3, v8, vcc_lo
	v_add_nc_u32_e32 v25, s5, v23
	v_add_co_u32 v11, vcc_lo, v5, s6
	v_lshlrev_b64 v[15:16], 3, v[9:10]
	v_add_co_ci_u32_e32 v12, vcc_lo, s7, v6, vcc_lo
	v_add_co_u32 v9, vcc_lo, s2, v3
	v_lshlrev_b64 v[13:14], 3, v[13:14]
	v_ashrrev_i32_e32 v18, 31, v17
	v_add_nc_u32_e32 v27, s5, v25
	v_add_co_ci_u32_e32 v10, vcc_lo, s3, v4, vcc_lo
	v_add_co_u32 v15, vcc_lo, s2, v15
	v_ashrrev_i32_e32 v22, 31, v21
	v_add_co_ci_u32_e32 v16, vcc_lo, s3, v16, vcc_lo
	v_lshlrev_b64 v[17:18], 3, v[17:18]
	v_add_co_u32 v19, vcc_lo, s2, v13
	v_add_nc_u32_e32 v29, s5, v27
	s_clause 0x3
	global_load_b64 v[1:2], v75, s[2:3]
	global_load_b64 v[3:4], v[11:12], off
	global_load_b64 v[51:52], v[7:8], off
	global_load_b64 v[53:54], v[9:10], off
	v_ashrrev_i32_e32 v24, 31, v23
	v_add_co_ci_u32_e32 v20, vcc_lo, s3, v14, vcc_lo
	v_lshlrev_b64 v[13:14], 3, v[21:22]
	v_ashrrev_i32_e32 v26, 31, v25
	v_add_co_u32 v17, vcc_lo, s2, v17
	v_ashrrev_i32_e32 v28, 31, v27
	v_ashrrev_i32_e32 v30, 31, v29
	v_lshlrev_b64 v[21:22], 3, v[23:24]
	v_add_co_ci_u32_e32 v18, vcc_lo, s3, v18, vcc_lo
	v_add_co_u32 v13, vcc_lo, s2, v13
	v_lshlrev_b64 v[23:24], 3, v[25:26]
	v_add_co_ci_u32_e32 v14, vcc_lo, s3, v14, vcc_lo
	v_lshlrev_b64 v[25:26], 3, v[27:28]
	v_lshlrev_b64 v[27:28], 3, v[29:30]
	v_add_nc_u32_e32 v29, s5, v29
	v_add_co_u32 v21, vcc_lo, s2, v21
	s_clause 0x3
	global_load_b64 v[55:56], v[15:16], off
	global_load_b64 v[57:58], v[19:20], off
	;; [unrolled: 1-line block ×4, first 2 shown]
	v_add_co_ci_u32_e32 v22, vcc_lo, s3, v22, vcc_lo
	v_add_co_u32 v23, vcc_lo, s2, v23
	v_add_nc_u32_e32 v31, s5, v29
	v_add_co_ci_u32_e32 v24, vcc_lo, s3, v24, vcc_lo
	v_add_co_u32 v25, vcc_lo, s2, v25
	v_add_co_ci_u32_e32 v26, vcc_lo, s3, v26, vcc_lo
	s_delay_alu instid0(VALU_DEP_4)
	v_add_nc_u32_e32 v33, s5, v31
	v_add_co_u32 v27, vcc_lo, s2, v27
	v_ashrrev_i32_e32 v30, 31, v29
	v_add_co_ci_u32_e32 v28, vcc_lo, s3, v28, vcc_lo
	v_ashrrev_i32_e32 v32, 31, v31
	s_clause 0x3
	global_load_b64 v[63:64], v[21:22], off
	global_load_b64 v[65:66], v[23:24], off
	;; [unrolled: 1-line block ×4, first 2 shown]
	v_add_nc_u32_e32 v37, s5, v33
	v_lshlrev_b64 v[29:30], 3, v[29:30]
	v_ashrrev_i32_e32 v34, 31, v33
	v_lshlrev_b64 v[31:32], 3, v[31:32]
	s_cmpk_lg_i32 s1, 0x84
	v_ashrrev_i32_e32 v38, 31, v37
	s_delay_alu instid0(VALU_DEP_4)
	v_add_co_u32 v29, vcc_lo, s2, v29
	v_lshlrev_b64 v[33:34], 3, v[33:34]
	v_add_co_ci_u32_e32 v30, vcc_lo, s3, v30, vcc_lo
	v_add_co_u32 v31, vcc_lo, s2, v31
	v_lshlrev_b64 v[35:36], 3, v[37:38]
	v_add_co_ci_u32_e32 v32, vcc_lo, s3, v32, vcc_lo
	v_add_co_u32 v33, vcc_lo, s2, v33
	v_add_co_ci_u32_e32 v34, vcc_lo, s3, v34, vcc_lo
	s_delay_alu instid0(VALU_DEP_4)
	v_add_co_u32 v35, vcc_lo, s2, v35
	v_add_co_ci_u32_e32 v36, vcc_lo, s3, v36, vcc_lo
	s_clause 0x3
	global_load_b64 v[76:77], v[29:30], off
	global_load_b64 v[78:79], v[31:32], off
	;; [unrolled: 1-line block ×4, first 2 shown]
	v_add_nc_u32_e32 v37, s5, v37
	s_delay_alu instid0(VALU_DEP_1) | instskip(SKIP_1) | instid1(VALU_DEP_2)
	v_add_nc_u32_e32 v39, s5, v37
	v_ashrrev_i32_e32 v38, 31, v37
	v_add_nc_u32_e32 v41, s5, v39
	v_ashrrev_i32_e32 v40, 31, v39
	s_delay_alu instid0(VALU_DEP_3) | instskip(NEXT) | instid1(VALU_DEP_3)
	v_lshlrev_b64 v[37:38], 3, v[37:38]
	v_add_nc_u32_e32 v43, s5, v41
	v_ashrrev_i32_e32 v42, 31, v41
	s_delay_alu instid0(VALU_DEP_4) | instskip(NEXT) | instid1(VALU_DEP_4)
	v_lshlrev_b64 v[39:40], 3, v[39:40]
	v_add_co_u32 v37, vcc_lo, s2, v37
	s_delay_alu instid0(VALU_DEP_4) | instskip(SKIP_3) | instid1(VALU_DEP_4)
	v_add_nc_u32_e32 v45, s5, v43
	v_ashrrev_i32_e32 v44, 31, v43
	v_lshlrev_b64 v[41:42], 3, v[41:42]
	v_add_co_ci_u32_e32 v38, vcc_lo, s3, v38, vcc_lo
	v_add_nc_u32_e32 v47, s5, v45
	v_add_co_u32 v39, vcc_lo, s2, v39
	v_lshlrev_b64 v[43:44], 3, v[43:44]
	v_ashrrev_i32_e32 v46, 31, v45
	s_delay_alu instid0(VALU_DEP_4) | instskip(SKIP_2) | instid1(VALU_DEP_3)
	v_add_nc_u32_e32 v49, s5, v47
	v_add_co_ci_u32_e32 v40, vcc_lo, s3, v40, vcc_lo
	v_add_co_u32 v41, vcc_lo, s2, v41
	v_add_nc_u32_e32 v71, s5, v49
	v_add_co_ci_u32_e32 v42, vcc_lo, s3, v42, vcc_lo
	v_lshlrev_b64 v[89:90], 3, v[45:46]
	v_ashrrev_i32_e32 v48, 31, v47
	s_delay_alu instid0(VALU_DEP_4) | instskip(SKIP_2) | instid1(VALU_DEP_3)
	v_add_nc_u32_e32 v73, s5, v71
	v_add_co_u32 v45, vcc_lo, s2, v43
	v_add_co_ci_u32_e32 v46, vcc_lo, s3, v44, vcc_lo
	v_add_nc_u32_e32 v88, s5, v73
	v_lshlrev_b64 v[91:92], 3, v[47:48]
	v_add_co_u32 v47, vcc_lo, s2, v89
	v_ashrrev_i32_e32 v50, 31, v49
	s_delay_alu instid0(VALU_DEP_4) | instskip(SKIP_2) | instid1(VALU_DEP_4)
	v_add_nc_u32_e32 v98, s5, v88
	v_add_co_ci_u32_e32 v48, vcc_lo, s3, v90, vcc_lo
	v_ashrrev_i32_e32 v72, 31, v71
	v_lshlrev_b64 v[99:100], 3, v[49:50]
	s_delay_alu instid0(VALU_DEP_4)
	v_add_nc_u32_e32 v106, s5, v98
	v_ashrrev_i32_e32 v74, 31, v73
	global_load_b64 v[84:85], v[37:38], off
	v_ashrrev_i32_e32 v89, 31, v88
	v_add_nc_u32_e32 v108, s5, v106
	v_ashrrev_i32_e32 v107, 31, v106
	s_delay_alu instid0(VALU_DEP_2) | instskip(SKIP_1) | instid1(VALU_DEP_2)
	v_add_nc_u32_e32 v110, s5, v108
	v_ashrrev_i32_e32 v109, 31, v108
	v_add_nc_u32_e32 v112, s5, v110
	v_ashrrev_i32_e32 v111, 31, v110
	s_delay_alu instid0(VALU_DEP_2) | instskip(SKIP_1) | instid1(VALU_DEP_2)
	v_add_nc_u32_e32 v114, s5, v112
	;; [unrolled: 5-line block ×4, first 2 shown]
	v_ashrrev_i32_e32 v121, 31, v120
	v_ashrrev_i32_e32 v87, 31, v86
	s_delay_alu instid0(VALU_DEP_1) | instskip(NEXT) | instid1(VALU_DEP_1)
	v_lshlrev_b64 v[43:44], 3, v[86:87]
	v_add_co_u32 v43, vcc_lo, s2, v43
	s_delay_alu instid0(VALU_DEP_2)
	v_add_co_ci_u32_e32 v44, vcc_lo, s3, v44, vcc_lo
	v_add_co_u32 v49, vcc_lo, s2, v91
	v_add_co_ci_u32_e32 v50, vcc_lo, s3, v92, vcc_lo
	global_load_b64 v[90:91], v[43:44], off
	s_waitcnt vmcnt(16)
	scratch_store_b128 off, v[1:4], off
	s_waitcnt vmcnt(14)
	scratch_store_b128 off, v[51:54], off offset:16
	v_lshlrev_b64 v[3:4], 3, v[71:72]
	v_add_co_u32 v1, vcc_lo, s2, v99
	v_lshlrev_b64 v[51:52], 3, v[73:74]
	v_ashrrev_i32_e32 v99, 31, v98
	v_add_co_ci_u32_e32 v2, vcc_lo, s3, v100, vcc_lo
	v_add_co_u32 v3, vcc_lo, s2, v3
	v_lshlrev_b64 v[53:54], 3, v[88:89]
	v_add_co_ci_u32_e32 v4, vcc_lo, s3, v4, vcc_lo
	v_add_co_u32 v51, vcc_lo, s2, v51
	v_lshlrev_b64 v[71:72], 3, v[98:99]
	v_add_co_ci_u32_e32 v52, vcc_lo, s3, v52, vcc_lo
	s_clause 0x3
	global_load_b64 v[86:87], v[39:40], off
	global_load_b64 v[92:93], v[41:42], off
	;; [unrolled: 1-line block ×4, first 2 shown]
	s_waitcnt vmcnt(16)
	scratch_store_b128 off, v[55:58], off offset:32
	s_waitcnt vmcnt(14)
	scratch_store_b128 off, v[59:62], off offset:48
	v_add_co_u32 v53, vcc_lo, s2, v53
	v_lshlrev_b64 v[57:58], 3, v[106:107]
	v_add_co_ci_u32_e32 v54, vcc_lo, s3, v54, vcc_lo
	v_add_co_u32 v55, vcc_lo, s2, v71
	v_lshlrev_b64 v[59:60], 3, v[108:109]
	v_add_co_ci_u32_e32 v56, vcc_lo, s3, v72, vcc_lo
	;; [unrolled: 3-line block ×4, first 2 shown]
	s_clause 0x3
	global_load_b64 v[98:99], v[49:50], off
	global_load_b64 v[100:101], v[1:2], off
	;; [unrolled: 1-line block ×4, first 2 shown]
	s_waitcnt vmcnt(16)
	scratch_store_b128 off, v[63:66], off offset:64
	s_waitcnt vmcnt(14)
	scratch_store_b128 off, v[67:70], off offset:80
	v_add_co_u32 v61, vcc_lo, s2, v61
	v_lshlrev_b64 v[65:66], 3, v[114:115]
	v_add_co_ci_u32_e32 v62, vcc_lo, s3, v62, vcc_lo
	v_add_co_u32 v63, vcc_lo, s2, v71
	v_add_co_ci_u32_e32 v64, vcc_lo, s3, v72, vcc_lo
	v_lshlrev_b64 v[69:70], 3, v[116:117]
	v_add_co_u32 v67, vcc_lo, s2, v65
	v_add_co_ci_u32_e32 v68, vcc_lo, s3, v66, vcc_lo
	v_lshlrev_b64 v[65:66], 3, v[118:119]
	s_delay_alu instid0(VALU_DEP_4) | instskip(SKIP_2) | instid1(VALU_DEP_4)
	v_add_co_u32 v69, vcc_lo, s2, v69
	v_lshlrev_b64 v[73:74], 3, v[120:121]
	v_add_co_ci_u32_e32 v70, vcc_lo, s3, v70, vcc_lo
	v_add_co_u32 v71, vcc_lo, s2, v65
	v_add_co_ci_u32_e32 v72, vcc_lo, s3, v66, vcc_lo
	s_delay_alu instid0(VALU_DEP_4)
	v_add_co_u32 v65, vcc_lo, s2, v73
	v_add_co_ci_u32_e32 v66, vcc_lo, s3, v74, vcc_lo
	s_clause 0x3
	global_load_b64 v[106:107], v[53:54], off
	global_load_b64 v[108:109], v[55:56], off
	;; [unrolled: 1-line block ×4, first 2 shown]
	s_waitcnt vmcnt(16)
	scratch_store_b128 off, v[76:79], off offset:96
	s_clause 0x2
	global_load_b64 v[114:115], v[61:62], off
	global_load_b64 v[76:77], v[63:64], off
	;; [unrolled: 1-line block ×3, first 2 shown]
	s_waitcnt vmcnt(17)
	scratch_store_b128 off, v[80:83], off offset:112
	s_clause 0x2
	global_load_b64 v[80:81], v[69:70], off
	global_load_b64 v[82:83], v[71:72], off
	;; [unrolled: 1-line block ×3, first 2 shown]
	v_mov_b32_e32 v73, 0
	v_mov_b32_e32 v74, 0xbff00000
	s_cselect_b32 s2, -1, 0
	s_cmpk_eq_i32 s1, 0x84
	s_waitcnt vmcnt(17)
	scratch_store_b128 off, v[84:87], off offset:128
	s_waitcnt vmcnt(15)
	scratch_store_b128 off, v[92:95], off offset:144
	;; [unrolled: 2-line block ×10, first 2 shown]
	s_cbranch_scc1 .LBB35_3
; %bb.2:
	scratch_load_b64 v[73:74], v75, off
	s_waitcnt vmcnt(0)
	v_div_scale_f64 v[76:77], null, v[73:74], v[73:74], 1.0
	v_div_scale_f64 v[82:83], vcc_lo, 1.0, v[73:74], 1.0
	s_delay_alu instid0(VALU_DEP_2) | instskip(SKIP_2) | instid1(VALU_DEP_1)
	v_rcp_f64_e32 v[78:79], v[76:77]
	s_waitcnt_depctr 0xfff
	v_fma_f64 v[80:81], -v[76:77], v[78:79], 1.0
	v_fma_f64 v[78:79], v[78:79], v[80:81], v[78:79]
	s_delay_alu instid0(VALU_DEP_1) | instskip(NEXT) | instid1(VALU_DEP_1)
	v_fma_f64 v[80:81], -v[76:77], v[78:79], 1.0
	v_fma_f64 v[78:79], v[78:79], v[80:81], v[78:79]
	s_delay_alu instid0(VALU_DEP_1) | instskip(NEXT) | instid1(VALU_DEP_1)
	v_mul_f64 v[80:81], v[82:83], v[78:79]
	v_fma_f64 v[76:77], -v[76:77], v[80:81], v[82:83]
	s_delay_alu instid0(VALU_DEP_1) | instskip(NEXT) | instid1(VALU_DEP_1)
	v_div_fmas_f64 v[76:77], v[76:77], v[78:79], v[80:81]
	v_div_fixup_f64 v[73:74], v[76:77], v[73:74], 1.0
	scratch_store_b64 v75, v[73:74], off
	v_xor_b32_e32 v74, 0x80000000, v74
.LBB35_3:
	v_add_nc_u32_e32 v76, 0x120, v75
	v_add_nc_u32_e32 v77, 0, v75
	s_cmpk_eq_i32 s0, 0x79
	s_mov_b32 s0, -1
	ds_store_b64 v75, v[73:74]
	s_cbranch_scc1 .LBB35_349
; %bb.4:
	scratch_load_b64 v[73:74], off, off offset:272
	v_cmp_eq_u32_e64 s0, 35, v0
	s_movk_i32 s1, 0x50
	s_movk_i32 s3, 0x60
	;; [unrolled: 1-line block ×12, first 2 shown]
	s_waitcnt vmcnt(0)
	ds_store_b64 v76, v[73:74]
	s_waitcnt lgkmcnt(0)
	s_waitcnt_vscnt null, 0x0
	s_barrier
	buffer_gl0_inv
	s_and_saveexec_b32 s14, s0
	s_cbranch_execz .LBB35_10
; %bb.5:
	s_and_b32 vcc_lo, exec_lo, s2
	s_cbranch_vccz .LBB35_7
; %bb.6:
	scratch_load_b64 v[73:74], v77, off
	ds_load_b64 v[78:79], v76
	s_waitcnt vmcnt(0) lgkmcnt(0)
	v_mul_f64 v[73:74], v[73:74], v[78:79]
	s_cbranch_execz .LBB35_8
	s_branch .LBB35_9
.LBB35_7:
                                        ; implicit-def: $vgpr73_vgpr74
.LBB35_8:
	ds_load_b64 v[73:74], v76
.LBB35_9:
	v_mov_b32_e32 v78, 0
	ds_load_b64 v[78:79], v78 offset:272
	s_waitcnt lgkmcnt(0)
	v_mul_f64 v[73:74], v[73:74], v[78:79]
	scratch_store_b64 off, v[73:74], off offset:272
.LBB35_10:
	s_or_b32 exec_lo, exec_lo, s14
	scratch_load_b64 v[73:74], off, off offset:264
	v_add_nc_u32_e64 v78, 0, 16
	v_add_nc_u32_e64 v79, 0, 32
	;; [unrolled: 1-line block ×16, first 2 shown]
	v_cmp_lt_u32_e64 s1, 33, v0
	s_waitcnt vmcnt(0)
	ds_store_b64 v76, v[73:74]
	s_waitcnt lgkmcnt(0)
	s_waitcnt_vscnt null, 0x0
	s_barrier
	buffer_gl0_inv
	s_and_saveexec_b32 s3, s1
	s_cbranch_execz .LBB35_18
; %bb.11:
	s_and_not1_b32 vcc_lo, exec_lo, s2
	s_cbranch_vccnz .LBB35_13
; %bb.12:
	scratch_load_b64 v[73:74], v77, off
	ds_load_b64 v[94:95], v76
	s_waitcnt vmcnt(0) lgkmcnt(0)
	v_mul_f64 v[73:74], v[73:74], v[94:95]
	s_cbranch_execz .LBB35_14
	s_branch .LBB35_15
.LBB35_13:
                                        ; implicit-def: $vgpr73_vgpr74
.LBB35_14:
	ds_load_b64 v[73:74], v76
.LBB35_15:
	s_and_saveexec_b32 s4, s0
	s_cbranch_execz .LBB35_17
; %bb.16:
	scratch_load_b64 v[94:95], off, off offset:272
	v_mov_b32_e32 v96, 0
	ds_load_b64 v[96:97], v96 offset:560
	s_waitcnt vmcnt(0) lgkmcnt(0)
	v_fma_f64 v[73:74], v[94:95], v[96:97], v[73:74]
.LBB35_17:
	s_or_b32 exec_lo, exec_lo, s4
	v_mov_b32_e32 v94, 0
	ds_load_b64 v[94:95], v94 offset:264
	s_waitcnt lgkmcnt(0)
	v_mul_f64 v[73:74], v[73:74], v[94:95]
	scratch_store_b64 off, v[73:74], off offset:264
.LBB35_18:
	s_or_b32 exec_lo, exec_lo, s3
	scratch_load_b64 v[73:74], off, off offset:256
	v_cmp_lt_u32_e64 s0, 32, v0
	s_waitcnt vmcnt(0)
	ds_store_b64 v76, v[73:74]
	s_waitcnt lgkmcnt(0)
	s_waitcnt_vscnt null, 0x0
	s_barrier
	buffer_gl0_inv
	s_and_saveexec_b32 s3, s0
	s_cbranch_execz .LBB35_28
; %bb.19:
	s_and_not1_b32 vcc_lo, exec_lo, s2
	s_cbranch_vccnz .LBB35_21
; %bb.20:
	scratch_load_b64 v[73:74], v77, off
	ds_load_b64 v[94:95], v76
	s_waitcnt vmcnt(0) lgkmcnt(0)
	v_mul_f64 v[73:74], v[73:74], v[94:95]
	s_cbranch_execz .LBB35_22
	s_branch .LBB35_23
.LBB35_21:
                                        ; implicit-def: $vgpr73_vgpr74
.LBB35_22:
	ds_load_b64 v[73:74], v76
.LBB35_23:
	s_and_saveexec_b32 s4, s1
	s_cbranch_execz .LBB35_27
; %bb.24:
	v_mov_b32_e32 v94, 0
	v_subrev_nc_u32_e32 v95, 33, v0
	s_movk_i32 s5, 0x228
	s_mov_b32 s1, 0
	s_delay_alu instid0(VALU_DEP_2)
	v_add_nc_u32_e32 v94, 0x108, v94
.LBB35_25:                              ; =>This Inner Loop Header: Depth=1
	scratch_load_b64 v[96:97], v94, off
	v_dual_mov_b32 v98, s5 :: v_dual_add_nc_u32 v95, -1, v95
	v_add_nc_u32_e32 v94, 8, v94
	s_add_i32 s5, s5, 8
	ds_load_b64 v[98:99], v98
	v_cmp_eq_u32_e32 vcc_lo, 0, v95
	s_or_b32 s1, vcc_lo, s1
	s_waitcnt vmcnt(0) lgkmcnt(0)
	v_fma_f64 v[73:74], v[96:97], v[98:99], v[73:74]
	s_and_not1_b32 exec_lo, exec_lo, s1
	s_cbranch_execnz .LBB35_25
; %bb.26:
	s_or_b32 exec_lo, exec_lo, s1
.LBB35_27:
	s_delay_alu instid0(SALU_CYCLE_1)
	s_or_b32 exec_lo, exec_lo, s4
	v_mov_b32_e32 v94, 0
	ds_load_b64 v[94:95], v94 offset:256
	s_waitcnt lgkmcnt(0)
	v_mul_f64 v[73:74], v[73:74], v[94:95]
	scratch_store_b64 off, v[73:74], off offset:256
.LBB35_28:
	s_or_b32 exec_lo, exec_lo, s3
	scratch_load_b64 v[73:74], off, off offset:248
	v_cmp_lt_u32_e64 s1, 31, v0
	s_waitcnt vmcnt(0)
	ds_store_b64 v76, v[73:74]
	s_waitcnt lgkmcnt(0)
	s_waitcnt_vscnt null, 0x0
	s_barrier
	buffer_gl0_inv
	s_and_saveexec_b32 s3, s1
	s_cbranch_execz .LBB35_38
; %bb.29:
	s_and_not1_b32 vcc_lo, exec_lo, s2
	s_cbranch_vccnz .LBB35_31
; %bb.30:
	scratch_load_b64 v[73:74], v77, off
	ds_load_b64 v[94:95], v76
	s_waitcnt vmcnt(0) lgkmcnt(0)
	v_mul_f64 v[73:74], v[73:74], v[94:95]
	s_cbranch_execz .LBB35_32
	s_branch .LBB35_33
.LBB35_31:
                                        ; implicit-def: $vgpr73_vgpr74
.LBB35_32:
	ds_load_b64 v[73:74], v76
.LBB35_33:
	s_and_saveexec_b32 s4, s0
	s_cbranch_execz .LBB35_37
; %bb.34:
	v_subrev_nc_u32_e32 v94, 32, v0
	s_movk_i32 s5, 0x220
	s_mov_b32 s0, 0
.LBB35_35:                              ; =>This Inner Loop Header: Depth=1
	scratch_load_b64 v[95:96], v93, off
	v_dual_mov_b32 v97, s5 :: v_dual_add_nc_u32 v94, -1, v94
	v_add_nc_u32_e32 v93, 8, v93
	s_add_i32 s5, s5, 8
	ds_load_b64 v[97:98], v97
	v_cmp_eq_u32_e32 vcc_lo, 0, v94
	s_or_b32 s0, vcc_lo, s0
	s_waitcnt vmcnt(0) lgkmcnt(0)
	v_fma_f64 v[73:74], v[95:96], v[97:98], v[73:74]
	s_and_not1_b32 exec_lo, exec_lo, s0
	s_cbranch_execnz .LBB35_35
; %bb.36:
	s_or_b32 exec_lo, exec_lo, s0
.LBB35_37:
	s_delay_alu instid0(SALU_CYCLE_1)
	s_or_b32 exec_lo, exec_lo, s4
	v_mov_b32_e32 v93, 0
	ds_load_b64 v[93:94], v93 offset:248
	s_waitcnt lgkmcnt(0)
	v_mul_f64 v[73:74], v[73:74], v[93:94]
	scratch_store_b64 off, v[73:74], off offset:248
.LBB35_38:
	s_or_b32 exec_lo, exec_lo, s3
	scratch_load_b64 v[73:74], off, off offset:240
	v_cmp_lt_u32_e64 s0, 30, v0
	s_waitcnt vmcnt(0)
	ds_store_b64 v76, v[73:74]
	s_waitcnt lgkmcnt(0)
	s_waitcnt_vscnt null, 0x0
	s_barrier
	buffer_gl0_inv
	s_and_saveexec_b32 s3, s0
	s_cbranch_execz .LBB35_48
; %bb.39:
	s_and_not1_b32 vcc_lo, exec_lo, s2
	s_cbranch_vccnz .LBB35_41
; %bb.40:
	scratch_load_b64 v[73:74], v77, off
	ds_load_b64 v[93:94], v76
	s_waitcnt vmcnt(0) lgkmcnt(0)
	v_mul_f64 v[73:74], v[73:74], v[93:94]
	s_cbranch_execz .LBB35_42
	s_branch .LBB35_43
.LBB35_41:
                                        ; implicit-def: $vgpr73_vgpr74
.LBB35_42:
	ds_load_b64 v[73:74], v76
.LBB35_43:
	s_and_saveexec_b32 s4, s1
	s_cbranch_execz .LBB35_47
; %bb.44:
	v_mov_b32_e32 v93, 0
	v_subrev_nc_u32_e32 v94, 31, v0
	s_movk_i32 s5, 0x218
	s_mov_b32 s1, 0
	s_delay_alu instid0(VALU_DEP_2)
	v_add_nc_u32_e32 v93, 0xf8, v93
.LBB35_45:                              ; =>This Inner Loop Header: Depth=1
	scratch_load_b64 v[95:96], v93, off
	v_dual_mov_b32 v97, s5 :: v_dual_add_nc_u32 v94, -1, v94
	v_add_nc_u32_e32 v93, 8, v93
	s_add_i32 s5, s5, 8
	ds_load_b64 v[97:98], v97
	v_cmp_eq_u32_e32 vcc_lo, 0, v94
	s_or_b32 s1, vcc_lo, s1
	s_waitcnt vmcnt(0) lgkmcnt(0)
	v_fma_f64 v[73:74], v[95:96], v[97:98], v[73:74]
	s_and_not1_b32 exec_lo, exec_lo, s1
	s_cbranch_execnz .LBB35_45
; %bb.46:
	s_or_b32 exec_lo, exec_lo, s1
.LBB35_47:
	s_delay_alu instid0(SALU_CYCLE_1)
	s_or_b32 exec_lo, exec_lo, s4
	v_mov_b32_e32 v93, 0
	ds_load_b64 v[93:94], v93 offset:240
	s_waitcnt lgkmcnt(0)
	v_mul_f64 v[73:74], v[73:74], v[93:94]
	scratch_store_b64 off, v[73:74], off offset:240
.LBB35_48:
	s_or_b32 exec_lo, exec_lo, s3
	scratch_load_b64 v[73:74], off, off offset:232
	v_cmp_lt_u32_e64 s1, 29, v0
	s_waitcnt vmcnt(0)
	ds_store_b64 v76, v[73:74]
	s_waitcnt lgkmcnt(0)
	s_waitcnt_vscnt null, 0x0
	s_barrier
	buffer_gl0_inv
	s_and_saveexec_b32 s3, s1
	s_cbranch_execz .LBB35_58
; %bb.49:
	s_and_not1_b32 vcc_lo, exec_lo, s2
	s_cbranch_vccnz .LBB35_51
; %bb.50:
	scratch_load_b64 v[73:74], v77, off
	ds_load_b64 v[93:94], v76
	s_waitcnt vmcnt(0) lgkmcnt(0)
	v_mul_f64 v[73:74], v[73:74], v[93:94]
	s_cbranch_execz .LBB35_52
	s_branch .LBB35_53
.LBB35_51:
                                        ; implicit-def: $vgpr73_vgpr74
.LBB35_52:
	ds_load_b64 v[73:74], v76
.LBB35_53:
	s_and_saveexec_b32 s4, s0
	s_cbranch_execz .LBB35_57
; %bb.54:
	v_subrev_nc_u32_e32 v93, 30, v0
	s_movk_i32 s5, 0x210
	s_mov_b32 s0, 0
.LBB35_55:                              ; =>This Inner Loop Header: Depth=1
	scratch_load_b64 v[94:95], v92, off
	v_dual_mov_b32 v96, s5 :: v_dual_add_nc_u32 v93, -1, v93
	v_add_nc_u32_e32 v92, 8, v92
	s_add_i32 s5, s5, 8
	ds_load_b64 v[96:97], v96
	v_cmp_eq_u32_e32 vcc_lo, 0, v93
	s_or_b32 s0, vcc_lo, s0
	s_waitcnt vmcnt(0) lgkmcnt(0)
	v_fma_f64 v[73:74], v[94:95], v[96:97], v[73:74]
	s_and_not1_b32 exec_lo, exec_lo, s0
	s_cbranch_execnz .LBB35_55
; %bb.56:
	s_or_b32 exec_lo, exec_lo, s0
.LBB35_57:
	s_delay_alu instid0(SALU_CYCLE_1)
	s_or_b32 exec_lo, exec_lo, s4
	v_mov_b32_e32 v92, 0
	ds_load_b64 v[92:93], v92 offset:232
	s_waitcnt lgkmcnt(0)
	v_mul_f64 v[73:74], v[73:74], v[92:93]
	scratch_store_b64 off, v[73:74], off offset:232
.LBB35_58:
	s_or_b32 exec_lo, exec_lo, s3
	scratch_load_b64 v[73:74], off, off offset:224
	v_cmp_lt_u32_e64 s0, 28, v0
	s_waitcnt vmcnt(0)
	ds_store_b64 v76, v[73:74]
	s_waitcnt lgkmcnt(0)
	s_waitcnt_vscnt null, 0x0
	s_barrier
	buffer_gl0_inv
	s_and_saveexec_b32 s3, s0
	s_cbranch_execz .LBB35_68
; %bb.59:
	s_and_not1_b32 vcc_lo, exec_lo, s2
	s_cbranch_vccnz .LBB35_61
; %bb.60:
	scratch_load_b64 v[73:74], v77, off
	ds_load_b64 v[92:93], v76
	s_waitcnt vmcnt(0) lgkmcnt(0)
	v_mul_f64 v[73:74], v[73:74], v[92:93]
	s_cbranch_execz .LBB35_62
	s_branch .LBB35_63
.LBB35_61:
                                        ; implicit-def: $vgpr73_vgpr74
.LBB35_62:
	ds_load_b64 v[73:74], v76
.LBB35_63:
	s_and_saveexec_b32 s4, s1
	s_cbranch_execz .LBB35_67
; %bb.64:
	v_mov_b32_e32 v92, 0
	v_subrev_nc_u32_e32 v93, 29, v0
	s_movk_i32 s5, 0x208
	s_mov_b32 s1, 0
	s_delay_alu instid0(VALU_DEP_2)
	v_add_nc_u32_e32 v92, 0xe8, v92
.LBB35_65:                              ; =>This Inner Loop Header: Depth=1
	scratch_load_b64 v[94:95], v92, off
	v_dual_mov_b32 v96, s5 :: v_dual_add_nc_u32 v93, -1, v93
	v_add_nc_u32_e32 v92, 8, v92
	s_add_i32 s5, s5, 8
	ds_load_b64 v[96:97], v96
	v_cmp_eq_u32_e32 vcc_lo, 0, v93
	s_or_b32 s1, vcc_lo, s1
	s_waitcnt vmcnt(0) lgkmcnt(0)
	v_fma_f64 v[73:74], v[94:95], v[96:97], v[73:74]
	s_and_not1_b32 exec_lo, exec_lo, s1
	s_cbranch_execnz .LBB35_65
; %bb.66:
	s_or_b32 exec_lo, exec_lo, s1
.LBB35_67:
	s_delay_alu instid0(SALU_CYCLE_1)
	s_or_b32 exec_lo, exec_lo, s4
	v_mov_b32_e32 v92, 0
	ds_load_b64 v[92:93], v92 offset:224
	s_waitcnt lgkmcnt(0)
	v_mul_f64 v[73:74], v[73:74], v[92:93]
	scratch_store_b64 off, v[73:74], off offset:224
.LBB35_68:
	s_or_b32 exec_lo, exec_lo, s3
	scratch_load_b64 v[73:74], off, off offset:216
	v_cmp_lt_u32_e64 s1, 27, v0
	s_waitcnt vmcnt(0)
	ds_store_b64 v76, v[73:74]
	s_waitcnt lgkmcnt(0)
	s_waitcnt_vscnt null, 0x0
	s_barrier
	buffer_gl0_inv
	s_and_saveexec_b32 s3, s1
	s_cbranch_execz .LBB35_78
; %bb.69:
	s_and_not1_b32 vcc_lo, exec_lo, s2
	s_cbranch_vccnz .LBB35_71
; %bb.70:
	scratch_load_b64 v[73:74], v77, off
	ds_load_b64 v[92:93], v76
	s_waitcnt vmcnt(0) lgkmcnt(0)
	v_mul_f64 v[73:74], v[73:74], v[92:93]
	s_cbranch_execz .LBB35_72
	s_branch .LBB35_73
.LBB35_71:
                                        ; implicit-def: $vgpr73_vgpr74
.LBB35_72:
	ds_load_b64 v[73:74], v76
.LBB35_73:
	s_and_saveexec_b32 s4, s0
	s_cbranch_execz .LBB35_77
; %bb.74:
	v_subrev_nc_u32_e32 v92, 28, v0
	s_movk_i32 s5, 0x200
	s_mov_b32 s0, 0
.LBB35_75:                              ; =>This Inner Loop Header: Depth=1
	scratch_load_b64 v[93:94], v91, off
	v_dual_mov_b32 v95, s5 :: v_dual_add_nc_u32 v92, -1, v92
	v_add_nc_u32_e32 v91, 8, v91
	s_add_i32 s5, s5, 8
	ds_load_b64 v[95:96], v95
	v_cmp_eq_u32_e32 vcc_lo, 0, v92
	s_or_b32 s0, vcc_lo, s0
	s_waitcnt vmcnt(0) lgkmcnt(0)
	v_fma_f64 v[73:74], v[93:94], v[95:96], v[73:74]
	s_and_not1_b32 exec_lo, exec_lo, s0
	s_cbranch_execnz .LBB35_75
; %bb.76:
	s_or_b32 exec_lo, exec_lo, s0
.LBB35_77:
	s_delay_alu instid0(SALU_CYCLE_1)
	s_or_b32 exec_lo, exec_lo, s4
	v_mov_b32_e32 v91, 0
	ds_load_b64 v[91:92], v91 offset:216
	s_waitcnt lgkmcnt(0)
	v_mul_f64 v[73:74], v[73:74], v[91:92]
	scratch_store_b64 off, v[73:74], off offset:216
.LBB35_78:
	s_or_b32 exec_lo, exec_lo, s3
	scratch_load_b64 v[73:74], off, off offset:208
	v_cmp_lt_u32_e64 s0, 26, v0
	s_waitcnt vmcnt(0)
	ds_store_b64 v76, v[73:74]
	s_waitcnt lgkmcnt(0)
	s_waitcnt_vscnt null, 0x0
	s_barrier
	buffer_gl0_inv
	s_and_saveexec_b32 s3, s0
	s_cbranch_execz .LBB35_88
; %bb.79:
	s_and_not1_b32 vcc_lo, exec_lo, s2
	s_cbranch_vccnz .LBB35_81
; %bb.80:
	scratch_load_b64 v[73:74], v77, off
	ds_load_b64 v[91:92], v76
	s_waitcnt vmcnt(0) lgkmcnt(0)
	v_mul_f64 v[73:74], v[73:74], v[91:92]
	s_cbranch_execz .LBB35_82
	s_branch .LBB35_83
.LBB35_81:
                                        ; implicit-def: $vgpr73_vgpr74
.LBB35_82:
	ds_load_b64 v[73:74], v76
.LBB35_83:
	s_and_saveexec_b32 s4, s1
	s_cbranch_execz .LBB35_87
; %bb.84:
	v_mov_b32_e32 v91, 0
	v_subrev_nc_u32_e32 v92, 27, v0
	s_movk_i32 s5, 0x1f8
	s_mov_b32 s1, 0
	s_delay_alu instid0(VALU_DEP_2)
	v_add_nc_u32_e32 v91, 0xd8, v91
.LBB35_85:                              ; =>This Inner Loop Header: Depth=1
	scratch_load_b64 v[93:94], v91, off
	v_dual_mov_b32 v95, s5 :: v_dual_add_nc_u32 v92, -1, v92
	v_add_nc_u32_e32 v91, 8, v91
	s_add_i32 s5, s5, 8
	ds_load_b64 v[95:96], v95
	v_cmp_eq_u32_e32 vcc_lo, 0, v92
	s_or_b32 s1, vcc_lo, s1
	s_waitcnt vmcnt(0) lgkmcnt(0)
	v_fma_f64 v[73:74], v[93:94], v[95:96], v[73:74]
	s_and_not1_b32 exec_lo, exec_lo, s1
	s_cbranch_execnz .LBB35_85
; %bb.86:
	s_or_b32 exec_lo, exec_lo, s1
.LBB35_87:
	s_delay_alu instid0(SALU_CYCLE_1)
	s_or_b32 exec_lo, exec_lo, s4
	v_mov_b32_e32 v91, 0
	ds_load_b64 v[91:92], v91 offset:208
	s_waitcnt lgkmcnt(0)
	v_mul_f64 v[73:74], v[73:74], v[91:92]
	scratch_store_b64 off, v[73:74], off offset:208
.LBB35_88:
	s_or_b32 exec_lo, exec_lo, s3
	scratch_load_b64 v[73:74], off, off offset:200
	v_cmp_lt_u32_e64 s1, 25, v0
	s_waitcnt vmcnt(0)
	ds_store_b64 v76, v[73:74]
	s_waitcnt lgkmcnt(0)
	s_waitcnt_vscnt null, 0x0
	s_barrier
	buffer_gl0_inv
	s_and_saveexec_b32 s3, s1
	s_cbranch_execz .LBB35_98
; %bb.89:
	s_and_not1_b32 vcc_lo, exec_lo, s2
	s_cbranch_vccnz .LBB35_91
; %bb.90:
	scratch_load_b64 v[73:74], v77, off
	ds_load_b64 v[91:92], v76
	s_waitcnt vmcnt(0) lgkmcnt(0)
	v_mul_f64 v[73:74], v[73:74], v[91:92]
	s_cbranch_execz .LBB35_92
	s_branch .LBB35_93
.LBB35_91:
                                        ; implicit-def: $vgpr73_vgpr74
.LBB35_92:
	ds_load_b64 v[73:74], v76
.LBB35_93:
	s_and_saveexec_b32 s4, s0
	s_cbranch_execz .LBB35_97
; %bb.94:
	v_subrev_nc_u32_e32 v91, 26, v0
	s_movk_i32 s5, 0x1f0
	s_mov_b32 s0, 0
.LBB35_95:                              ; =>This Inner Loop Header: Depth=1
	scratch_load_b64 v[92:93], v90, off
	v_dual_mov_b32 v94, s5 :: v_dual_add_nc_u32 v91, -1, v91
	v_add_nc_u32_e32 v90, 8, v90
	s_add_i32 s5, s5, 8
	ds_load_b64 v[94:95], v94
	v_cmp_eq_u32_e32 vcc_lo, 0, v91
	s_or_b32 s0, vcc_lo, s0
	s_waitcnt vmcnt(0) lgkmcnt(0)
	v_fma_f64 v[73:74], v[92:93], v[94:95], v[73:74]
	s_and_not1_b32 exec_lo, exec_lo, s0
	s_cbranch_execnz .LBB35_95
; %bb.96:
	s_or_b32 exec_lo, exec_lo, s0
.LBB35_97:
	s_delay_alu instid0(SALU_CYCLE_1)
	s_or_b32 exec_lo, exec_lo, s4
	v_mov_b32_e32 v90, 0
	ds_load_b64 v[90:91], v90 offset:200
	s_waitcnt lgkmcnt(0)
	v_mul_f64 v[73:74], v[73:74], v[90:91]
	scratch_store_b64 off, v[73:74], off offset:200
.LBB35_98:
	s_or_b32 exec_lo, exec_lo, s3
	scratch_load_b64 v[73:74], off, off offset:192
	v_cmp_lt_u32_e64 s0, 24, v0
	s_waitcnt vmcnt(0)
	ds_store_b64 v76, v[73:74]
	s_waitcnt lgkmcnt(0)
	s_waitcnt_vscnt null, 0x0
	s_barrier
	buffer_gl0_inv
	s_and_saveexec_b32 s3, s0
	s_cbranch_execz .LBB35_108
; %bb.99:
	s_and_not1_b32 vcc_lo, exec_lo, s2
	s_cbranch_vccnz .LBB35_101
; %bb.100:
	scratch_load_b64 v[73:74], v77, off
	ds_load_b64 v[90:91], v76
	s_waitcnt vmcnt(0) lgkmcnt(0)
	v_mul_f64 v[73:74], v[73:74], v[90:91]
	s_cbranch_execz .LBB35_102
	s_branch .LBB35_103
.LBB35_101:
                                        ; implicit-def: $vgpr73_vgpr74
.LBB35_102:
	ds_load_b64 v[73:74], v76
.LBB35_103:
	s_and_saveexec_b32 s4, s1
	s_cbranch_execz .LBB35_107
; %bb.104:
	v_mov_b32_e32 v90, 0
	v_subrev_nc_u32_e32 v91, 25, v0
	s_movk_i32 s5, 0x1e8
	s_mov_b32 s1, 0
	s_delay_alu instid0(VALU_DEP_2)
	v_add_nc_u32_e32 v90, 0xc8, v90
.LBB35_105:                             ; =>This Inner Loop Header: Depth=1
	scratch_load_b64 v[92:93], v90, off
	v_dual_mov_b32 v94, s5 :: v_dual_add_nc_u32 v91, -1, v91
	v_add_nc_u32_e32 v90, 8, v90
	s_add_i32 s5, s5, 8
	ds_load_b64 v[94:95], v94
	v_cmp_eq_u32_e32 vcc_lo, 0, v91
	s_or_b32 s1, vcc_lo, s1
	s_waitcnt vmcnt(0) lgkmcnt(0)
	v_fma_f64 v[73:74], v[92:93], v[94:95], v[73:74]
	s_and_not1_b32 exec_lo, exec_lo, s1
	s_cbranch_execnz .LBB35_105
; %bb.106:
	s_or_b32 exec_lo, exec_lo, s1
.LBB35_107:
	s_delay_alu instid0(SALU_CYCLE_1)
	s_or_b32 exec_lo, exec_lo, s4
	v_mov_b32_e32 v90, 0
	ds_load_b64 v[90:91], v90 offset:192
	s_waitcnt lgkmcnt(0)
	v_mul_f64 v[73:74], v[73:74], v[90:91]
	scratch_store_b64 off, v[73:74], off offset:192
.LBB35_108:
	s_or_b32 exec_lo, exec_lo, s3
	scratch_load_b64 v[73:74], off, off offset:184
	v_cmp_lt_u32_e64 s1, 23, v0
	s_waitcnt vmcnt(0)
	ds_store_b64 v76, v[73:74]
	s_waitcnt lgkmcnt(0)
	s_waitcnt_vscnt null, 0x0
	s_barrier
	buffer_gl0_inv
	s_and_saveexec_b32 s3, s1
	s_cbranch_execz .LBB35_118
; %bb.109:
	s_and_not1_b32 vcc_lo, exec_lo, s2
	s_cbranch_vccnz .LBB35_111
; %bb.110:
	scratch_load_b64 v[73:74], v77, off
	ds_load_b64 v[90:91], v76
	s_waitcnt vmcnt(0) lgkmcnt(0)
	v_mul_f64 v[73:74], v[73:74], v[90:91]
	s_cbranch_execz .LBB35_112
	s_branch .LBB35_113
.LBB35_111:
                                        ; implicit-def: $vgpr73_vgpr74
.LBB35_112:
	ds_load_b64 v[73:74], v76
.LBB35_113:
	s_and_saveexec_b32 s4, s0
	s_cbranch_execz .LBB35_117
; %bb.114:
	v_subrev_nc_u32_e32 v90, 24, v0
	s_movk_i32 s5, 0x1e0
	s_mov_b32 s0, 0
.LBB35_115:                             ; =>This Inner Loop Header: Depth=1
	scratch_load_b64 v[91:92], v89, off
	v_dual_mov_b32 v93, s5 :: v_dual_add_nc_u32 v90, -1, v90
	v_add_nc_u32_e32 v89, 8, v89
	s_add_i32 s5, s5, 8
	ds_load_b64 v[93:94], v93
	v_cmp_eq_u32_e32 vcc_lo, 0, v90
	s_or_b32 s0, vcc_lo, s0
	s_waitcnt vmcnt(0) lgkmcnt(0)
	v_fma_f64 v[73:74], v[91:92], v[93:94], v[73:74]
	s_and_not1_b32 exec_lo, exec_lo, s0
	s_cbranch_execnz .LBB35_115
; %bb.116:
	s_or_b32 exec_lo, exec_lo, s0
.LBB35_117:
	s_delay_alu instid0(SALU_CYCLE_1)
	s_or_b32 exec_lo, exec_lo, s4
	v_mov_b32_e32 v89, 0
	ds_load_b64 v[89:90], v89 offset:184
	s_waitcnt lgkmcnt(0)
	v_mul_f64 v[73:74], v[73:74], v[89:90]
	scratch_store_b64 off, v[73:74], off offset:184
.LBB35_118:
	s_or_b32 exec_lo, exec_lo, s3
	scratch_load_b64 v[73:74], off, off offset:176
	v_cmp_lt_u32_e64 s0, 22, v0
	s_waitcnt vmcnt(0)
	ds_store_b64 v76, v[73:74]
	s_waitcnt lgkmcnt(0)
	s_waitcnt_vscnt null, 0x0
	s_barrier
	buffer_gl0_inv
	s_and_saveexec_b32 s3, s0
	s_cbranch_execz .LBB35_128
; %bb.119:
	s_and_not1_b32 vcc_lo, exec_lo, s2
	s_cbranch_vccnz .LBB35_121
; %bb.120:
	scratch_load_b64 v[73:74], v77, off
	ds_load_b64 v[89:90], v76
	s_waitcnt vmcnt(0) lgkmcnt(0)
	v_mul_f64 v[73:74], v[73:74], v[89:90]
	s_cbranch_execz .LBB35_122
	s_branch .LBB35_123
.LBB35_121:
                                        ; implicit-def: $vgpr73_vgpr74
.LBB35_122:
	ds_load_b64 v[73:74], v76
.LBB35_123:
	s_and_saveexec_b32 s4, s1
	s_cbranch_execz .LBB35_127
; %bb.124:
	v_mov_b32_e32 v89, 0
	v_subrev_nc_u32_e32 v90, 23, v0
	s_movk_i32 s5, 0x1d8
	s_mov_b32 s1, 0
	s_delay_alu instid0(VALU_DEP_2)
	v_add_nc_u32_e32 v89, 0xb8, v89
.LBB35_125:                             ; =>This Inner Loop Header: Depth=1
	scratch_load_b64 v[91:92], v89, off
	v_dual_mov_b32 v93, s5 :: v_dual_add_nc_u32 v90, -1, v90
	v_add_nc_u32_e32 v89, 8, v89
	s_add_i32 s5, s5, 8
	ds_load_b64 v[93:94], v93
	v_cmp_eq_u32_e32 vcc_lo, 0, v90
	s_or_b32 s1, vcc_lo, s1
	s_waitcnt vmcnt(0) lgkmcnt(0)
	v_fma_f64 v[73:74], v[91:92], v[93:94], v[73:74]
	s_and_not1_b32 exec_lo, exec_lo, s1
	s_cbranch_execnz .LBB35_125
; %bb.126:
	s_or_b32 exec_lo, exec_lo, s1
.LBB35_127:
	s_delay_alu instid0(SALU_CYCLE_1)
	s_or_b32 exec_lo, exec_lo, s4
	v_mov_b32_e32 v89, 0
	ds_load_b64 v[89:90], v89 offset:176
	s_waitcnt lgkmcnt(0)
	v_mul_f64 v[73:74], v[73:74], v[89:90]
	scratch_store_b64 off, v[73:74], off offset:176
.LBB35_128:
	s_or_b32 exec_lo, exec_lo, s3
	scratch_load_b64 v[73:74], off, off offset:168
	v_cmp_lt_u32_e64 s1, 21, v0
	s_waitcnt vmcnt(0)
	ds_store_b64 v76, v[73:74]
	s_waitcnt lgkmcnt(0)
	s_waitcnt_vscnt null, 0x0
	s_barrier
	buffer_gl0_inv
	s_and_saveexec_b32 s3, s1
	s_cbranch_execz .LBB35_138
; %bb.129:
	s_and_not1_b32 vcc_lo, exec_lo, s2
	s_cbranch_vccnz .LBB35_131
; %bb.130:
	scratch_load_b64 v[73:74], v77, off
	ds_load_b64 v[89:90], v76
	s_waitcnt vmcnt(0) lgkmcnt(0)
	v_mul_f64 v[73:74], v[73:74], v[89:90]
	s_cbranch_execz .LBB35_132
	s_branch .LBB35_133
.LBB35_131:
                                        ; implicit-def: $vgpr73_vgpr74
.LBB35_132:
	ds_load_b64 v[73:74], v76
.LBB35_133:
	s_and_saveexec_b32 s4, s0
	s_cbranch_execz .LBB35_137
; %bb.134:
	v_subrev_nc_u32_e32 v89, 22, v0
	s_movk_i32 s5, 0x1d0
	s_mov_b32 s0, 0
.LBB35_135:                             ; =>This Inner Loop Header: Depth=1
	scratch_load_b64 v[90:91], v88, off
	v_dual_mov_b32 v92, s5 :: v_dual_add_nc_u32 v89, -1, v89
	v_add_nc_u32_e32 v88, 8, v88
	s_add_i32 s5, s5, 8
	ds_load_b64 v[92:93], v92
	v_cmp_eq_u32_e32 vcc_lo, 0, v89
	s_or_b32 s0, vcc_lo, s0
	s_waitcnt vmcnt(0) lgkmcnt(0)
	v_fma_f64 v[73:74], v[90:91], v[92:93], v[73:74]
	s_and_not1_b32 exec_lo, exec_lo, s0
	s_cbranch_execnz .LBB35_135
; %bb.136:
	s_or_b32 exec_lo, exec_lo, s0
.LBB35_137:
	s_delay_alu instid0(SALU_CYCLE_1)
	s_or_b32 exec_lo, exec_lo, s4
	v_mov_b32_e32 v88, 0
	ds_load_b64 v[88:89], v88 offset:168
	s_waitcnt lgkmcnt(0)
	v_mul_f64 v[73:74], v[73:74], v[88:89]
	scratch_store_b64 off, v[73:74], off offset:168
.LBB35_138:
	s_or_b32 exec_lo, exec_lo, s3
	scratch_load_b64 v[73:74], off, off offset:160
	v_cmp_lt_u32_e64 s0, 20, v0
	s_waitcnt vmcnt(0)
	ds_store_b64 v76, v[73:74]
	s_waitcnt lgkmcnt(0)
	s_waitcnt_vscnt null, 0x0
	s_barrier
	buffer_gl0_inv
	s_and_saveexec_b32 s3, s0
	s_cbranch_execz .LBB35_148
; %bb.139:
	s_and_not1_b32 vcc_lo, exec_lo, s2
	s_cbranch_vccnz .LBB35_141
; %bb.140:
	scratch_load_b64 v[73:74], v77, off
	ds_load_b64 v[88:89], v76
	s_waitcnt vmcnt(0) lgkmcnt(0)
	v_mul_f64 v[73:74], v[73:74], v[88:89]
	s_cbranch_execz .LBB35_142
	s_branch .LBB35_143
.LBB35_141:
                                        ; implicit-def: $vgpr73_vgpr74
.LBB35_142:
	ds_load_b64 v[73:74], v76
.LBB35_143:
	s_and_saveexec_b32 s4, s1
	s_cbranch_execz .LBB35_147
; %bb.144:
	v_mov_b32_e32 v88, 0
	v_subrev_nc_u32_e32 v89, 21, v0
	s_movk_i32 s5, 0x1c8
	s_mov_b32 s1, 0
	s_delay_alu instid0(VALU_DEP_2)
	v_add_nc_u32_e32 v88, 0xa8, v88
.LBB35_145:                             ; =>This Inner Loop Header: Depth=1
	scratch_load_b64 v[90:91], v88, off
	v_dual_mov_b32 v92, s5 :: v_dual_add_nc_u32 v89, -1, v89
	v_add_nc_u32_e32 v88, 8, v88
	s_add_i32 s5, s5, 8
	ds_load_b64 v[92:93], v92
	v_cmp_eq_u32_e32 vcc_lo, 0, v89
	s_or_b32 s1, vcc_lo, s1
	s_waitcnt vmcnt(0) lgkmcnt(0)
	v_fma_f64 v[73:74], v[90:91], v[92:93], v[73:74]
	s_and_not1_b32 exec_lo, exec_lo, s1
	s_cbranch_execnz .LBB35_145
; %bb.146:
	s_or_b32 exec_lo, exec_lo, s1
.LBB35_147:
	s_delay_alu instid0(SALU_CYCLE_1)
	s_or_b32 exec_lo, exec_lo, s4
	v_mov_b32_e32 v88, 0
	ds_load_b64 v[88:89], v88 offset:160
	s_waitcnt lgkmcnt(0)
	v_mul_f64 v[73:74], v[73:74], v[88:89]
	scratch_store_b64 off, v[73:74], off offset:160
.LBB35_148:
	s_or_b32 exec_lo, exec_lo, s3
	scratch_load_b64 v[73:74], off, off offset:152
	v_cmp_lt_u32_e64 s1, 19, v0
	s_waitcnt vmcnt(0)
	ds_store_b64 v76, v[73:74]
	s_waitcnt lgkmcnt(0)
	s_waitcnt_vscnt null, 0x0
	s_barrier
	buffer_gl0_inv
	s_and_saveexec_b32 s3, s1
	s_cbranch_execz .LBB35_158
; %bb.149:
	s_and_not1_b32 vcc_lo, exec_lo, s2
	s_cbranch_vccnz .LBB35_151
; %bb.150:
	scratch_load_b64 v[73:74], v77, off
	ds_load_b64 v[88:89], v76
	s_waitcnt vmcnt(0) lgkmcnt(0)
	v_mul_f64 v[73:74], v[73:74], v[88:89]
	s_cbranch_execz .LBB35_152
	s_branch .LBB35_153
.LBB35_151:
                                        ; implicit-def: $vgpr73_vgpr74
.LBB35_152:
	ds_load_b64 v[73:74], v76
.LBB35_153:
	s_and_saveexec_b32 s4, s0
	s_cbranch_execz .LBB35_157
; %bb.154:
	v_subrev_nc_u32_e32 v88, 20, v0
	s_movk_i32 s5, 0x1c0
	s_mov_b32 s0, 0
.LBB35_155:                             ; =>This Inner Loop Header: Depth=1
	scratch_load_b64 v[89:90], v87, off
	v_dual_mov_b32 v91, s5 :: v_dual_add_nc_u32 v88, -1, v88
	v_add_nc_u32_e32 v87, 8, v87
	s_add_i32 s5, s5, 8
	ds_load_b64 v[91:92], v91
	v_cmp_eq_u32_e32 vcc_lo, 0, v88
	s_or_b32 s0, vcc_lo, s0
	s_waitcnt vmcnt(0) lgkmcnt(0)
	v_fma_f64 v[73:74], v[89:90], v[91:92], v[73:74]
	s_and_not1_b32 exec_lo, exec_lo, s0
	s_cbranch_execnz .LBB35_155
; %bb.156:
	s_or_b32 exec_lo, exec_lo, s0
.LBB35_157:
	s_delay_alu instid0(SALU_CYCLE_1)
	s_or_b32 exec_lo, exec_lo, s4
	v_mov_b32_e32 v87, 0
	ds_load_b64 v[87:88], v87 offset:152
	s_waitcnt lgkmcnt(0)
	v_mul_f64 v[73:74], v[73:74], v[87:88]
	scratch_store_b64 off, v[73:74], off offset:152
.LBB35_158:
	s_or_b32 exec_lo, exec_lo, s3
	scratch_load_b64 v[73:74], off, off offset:144
	v_cmp_lt_u32_e64 s0, 18, v0
	s_waitcnt vmcnt(0)
	ds_store_b64 v76, v[73:74]
	s_waitcnt lgkmcnt(0)
	s_waitcnt_vscnt null, 0x0
	s_barrier
	buffer_gl0_inv
	s_and_saveexec_b32 s3, s0
	s_cbranch_execz .LBB35_168
; %bb.159:
	s_and_not1_b32 vcc_lo, exec_lo, s2
	s_cbranch_vccnz .LBB35_161
; %bb.160:
	scratch_load_b64 v[73:74], v77, off
	ds_load_b64 v[87:88], v76
	s_waitcnt vmcnt(0) lgkmcnt(0)
	v_mul_f64 v[73:74], v[73:74], v[87:88]
	s_cbranch_execz .LBB35_162
	s_branch .LBB35_163
.LBB35_161:
                                        ; implicit-def: $vgpr73_vgpr74
.LBB35_162:
	ds_load_b64 v[73:74], v76
.LBB35_163:
	s_and_saveexec_b32 s4, s1
	s_cbranch_execz .LBB35_167
; %bb.164:
	v_mov_b32_e32 v87, 0
	v_subrev_nc_u32_e32 v88, 19, v0
	s_movk_i32 s5, 0x1b8
	s_mov_b32 s1, 0
	s_delay_alu instid0(VALU_DEP_2)
	v_add_nc_u32_e32 v87, 0x98, v87
.LBB35_165:                             ; =>This Inner Loop Header: Depth=1
	scratch_load_b64 v[89:90], v87, off
	v_dual_mov_b32 v91, s5 :: v_dual_add_nc_u32 v88, -1, v88
	v_add_nc_u32_e32 v87, 8, v87
	s_add_i32 s5, s5, 8
	ds_load_b64 v[91:92], v91
	v_cmp_eq_u32_e32 vcc_lo, 0, v88
	s_or_b32 s1, vcc_lo, s1
	s_waitcnt vmcnt(0) lgkmcnt(0)
	v_fma_f64 v[73:74], v[89:90], v[91:92], v[73:74]
	s_and_not1_b32 exec_lo, exec_lo, s1
	s_cbranch_execnz .LBB35_165
; %bb.166:
	s_or_b32 exec_lo, exec_lo, s1
.LBB35_167:
	s_delay_alu instid0(SALU_CYCLE_1)
	s_or_b32 exec_lo, exec_lo, s4
	v_mov_b32_e32 v87, 0
	ds_load_b64 v[87:88], v87 offset:144
	s_waitcnt lgkmcnt(0)
	v_mul_f64 v[73:74], v[73:74], v[87:88]
	scratch_store_b64 off, v[73:74], off offset:144
.LBB35_168:
	s_or_b32 exec_lo, exec_lo, s3
	scratch_load_b64 v[73:74], off, off offset:136
	v_cmp_lt_u32_e64 s1, 17, v0
	s_waitcnt vmcnt(0)
	ds_store_b64 v76, v[73:74]
	s_waitcnt lgkmcnt(0)
	s_waitcnt_vscnt null, 0x0
	s_barrier
	buffer_gl0_inv
	s_and_saveexec_b32 s3, s1
	s_cbranch_execz .LBB35_178
; %bb.169:
	s_and_not1_b32 vcc_lo, exec_lo, s2
	s_cbranch_vccnz .LBB35_171
; %bb.170:
	scratch_load_b64 v[73:74], v77, off
	ds_load_b64 v[87:88], v76
	s_waitcnt vmcnt(0) lgkmcnt(0)
	v_mul_f64 v[73:74], v[73:74], v[87:88]
	s_cbranch_execz .LBB35_172
	s_branch .LBB35_173
.LBB35_171:
                                        ; implicit-def: $vgpr73_vgpr74
.LBB35_172:
	ds_load_b64 v[73:74], v76
.LBB35_173:
	s_and_saveexec_b32 s4, s0
	s_cbranch_execz .LBB35_177
; %bb.174:
	v_subrev_nc_u32_e32 v87, 18, v0
	s_movk_i32 s5, 0x1b0
	s_mov_b32 s0, 0
.LBB35_175:                             ; =>This Inner Loop Header: Depth=1
	scratch_load_b64 v[88:89], v86, off
	v_dual_mov_b32 v90, s5 :: v_dual_add_nc_u32 v87, -1, v87
	v_add_nc_u32_e32 v86, 8, v86
	s_add_i32 s5, s5, 8
	ds_load_b64 v[90:91], v90
	v_cmp_eq_u32_e32 vcc_lo, 0, v87
	s_or_b32 s0, vcc_lo, s0
	s_waitcnt vmcnt(0) lgkmcnt(0)
	v_fma_f64 v[73:74], v[88:89], v[90:91], v[73:74]
	s_and_not1_b32 exec_lo, exec_lo, s0
	s_cbranch_execnz .LBB35_175
; %bb.176:
	s_or_b32 exec_lo, exec_lo, s0
.LBB35_177:
	s_delay_alu instid0(SALU_CYCLE_1)
	s_or_b32 exec_lo, exec_lo, s4
	v_mov_b32_e32 v86, 0
	ds_load_b64 v[86:87], v86 offset:136
	s_waitcnt lgkmcnt(0)
	v_mul_f64 v[73:74], v[73:74], v[86:87]
	scratch_store_b64 off, v[73:74], off offset:136
.LBB35_178:
	s_or_b32 exec_lo, exec_lo, s3
	scratch_load_b64 v[73:74], off, off offset:128
	v_cmp_lt_u32_e64 s0, 16, v0
	s_waitcnt vmcnt(0)
	ds_store_b64 v76, v[73:74]
	s_waitcnt lgkmcnt(0)
	s_waitcnt_vscnt null, 0x0
	s_barrier
	buffer_gl0_inv
	s_and_saveexec_b32 s3, s0
	s_cbranch_execz .LBB35_188
; %bb.179:
	s_and_not1_b32 vcc_lo, exec_lo, s2
	s_cbranch_vccnz .LBB35_181
; %bb.180:
	scratch_load_b64 v[73:74], v77, off
	ds_load_b64 v[86:87], v76
	s_waitcnt vmcnt(0) lgkmcnt(0)
	v_mul_f64 v[73:74], v[73:74], v[86:87]
	s_cbranch_execz .LBB35_182
	s_branch .LBB35_183
.LBB35_181:
                                        ; implicit-def: $vgpr73_vgpr74
.LBB35_182:
	ds_load_b64 v[73:74], v76
.LBB35_183:
	s_and_saveexec_b32 s4, s1
	s_cbranch_execz .LBB35_187
; %bb.184:
	v_mov_b32_e32 v86, 0
	v_subrev_nc_u32_e32 v87, 17, v0
	s_movk_i32 s5, 0x1a8
	s_mov_b32 s1, 0
	s_delay_alu instid0(VALU_DEP_2)
	v_add_nc_u32_e32 v86, 0x88, v86
.LBB35_185:                             ; =>This Inner Loop Header: Depth=1
	scratch_load_b64 v[88:89], v86, off
	v_dual_mov_b32 v90, s5 :: v_dual_add_nc_u32 v87, -1, v87
	v_add_nc_u32_e32 v86, 8, v86
	s_add_i32 s5, s5, 8
	ds_load_b64 v[90:91], v90
	v_cmp_eq_u32_e32 vcc_lo, 0, v87
	s_or_b32 s1, vcc_lo, s1
	s_waitcnt vmcnt(0) lgkmcnt(0)
	v_fma_f64 v[73:74], v[88:89], v[90:91], v[73:74]
	s_and_not1_b32 exec_lo, exec_lo, s1
	s_cbranch_execnz .LBB35_185
; %bb.186:
	s_or_b32 exec_lo, exec_lo, s1
.LBB35_187:
	s_delay_alu instid0(SALU_CYCLE_1)
	s_or_b32 exec_lo, exec_lo, s4
	v_mov_b32_e32 v86, 0
	ds_load_b64 v[86:87], v86 offset:128
	s_waitcnt lgkmcnt(0)
	v_mul_f64 v[73:74], v[73:74], v[86:87]
	scratch_store_b64 off, v[73:74], off offset:128
.LBB35_188:
	s_or_b32 exec_lo, exec_lo, s3
	scratch_load_b64 v[73:74], off, off offset:120
	v_cmp_lt_u32_e64 s1, 15, v0
	s_waitcnt vmcnt(0)
	ds_store_b64 v76, v[73:74]
	s_waitcnt lgkmcnt(0)
	s_waitcnt_vscnt null, 0x0
	s_barrier
	buffer_gl0_inv
	s_and_saveexec_b32 s3, s1
	s_cbranch_execz .LBB35_198
; %bb.189:
	s_and_not1_b32 vcc_lo, exec_lo, s2
	s_cbranch_vccnz .LBB35_191
; %bb.190:
	scratch_load_b64 v[73:74], v77, off
	ds_load_b64 v[86:87], v76
	s_waitcnt vmcnt(0) lgkmcnt(0)
	v_mul_f64 v[73:74], v[73:74], v[86:87]
	s_cbranch_execz .LBB35_192
	s_branch .LBB35_193
.LBB35_191:
                                        ; implicit-def: $vgpr73_vgpr74
.LBB35_192:
	ds_load_b64 v[73:74], v76
.LBB35_193:
	s_and_saveexec_b32 s4, s0
	s_cbranch_execz .LBB35_197
; %bb.194:
	v_add_nc_u32_e32 v86, -16, v0
	s_movk_i32 s5, 0x1a0
	s_mov_b32 s0, 0
.LBB35_195:                             ; =>This Inner Loop Header: Depth=1
	scratch_load_b64 v[87:88], v85, off
	v_dual_mov_b32 v89, s5 :: v_dual_add_nc_u32 v86, -1, v86
	v_add_nc_u32_e32 v85, 8, v85
	s_add_i32 s5, s5, 8
	ds_load_b64 v[89:90], v89
	v_cmp_eq_u32_e32 vcc_lo, 0, v86
	s_or_b32 s0, vcc_lo, s0
	s_waitcnt vmcnt(0) lgkmcnt(0)
	v_fma_f64 v[73:74], v[87:88], v[89:90], v[73:74]
	s_and_not1_b32 exec_lo, exec_lo, s0
	s_cbranch_execnz .LBB35_195
; %bb.196:
	s_or_b32 exec_lo, exec_lo, s0
.LBB35_197:
	s_delay_alu instid0(SALU_CYCLE_1)
	s_or_b32 exec_lo, exec_lo, s4
	v_mov_b32_e32 v85, 0
	ds_load_b64 v[85:86], v85 offset:120
	s_waitcnt lgkmcnt(0)
	v_mul_f64 v[73:74], v[73:74], v[85:86]
	scratch_store_b64 off, v[73:74], off offset:120
.LBB35_198:
	s_or_b32 exec_lo, exec_lo, s3
	scratch_load_b64 v[73:74], off, off offset:112
	v_cmp_lt_u32_e64 s0, 14, v0
	s_waitcnt vmcnt(0)
	ds_store_b64 v76, v[73:74]
	s_waitcnt lgkmcnt(0)
	s_waitcnt_vscnt null, 0x0
	s_barrier
	buffer_gl0_inv
	s_and_saveexec_b32 s3, s0
	s_cbranch_execz .LBB35_208
; %bb.199:
	s_and_not1_b32 vcc_lo, exec_lo, s2
	s_cbranch_vccnz .LBB35_201
; %bb.200:
	scratch_load_b64 v[73:74], v77, off
	ds_load_b64 v[85:86], v76
	s_waitcnt vmcnt(0) lgkmcnt(0)
	v_mul_f64 v[73:74], v[73:74], v[85:86]
	s_cbranch_execz .LBB35_202
	s_branch .LBB35_203
.LBB35_201:
                                        ; implicit-def: $vgpr73_vgpr74
.LBB35_202:
	ds_load_b64 v[73:74], v76
.LBB35_203:
	s_and_saveexec_b32 s4, s1
	s_cbranch_execz .LBB35_207
; %bb.204:
	v_dual_mov_b32 v85, 0 :: v_dual_add_nc_u32 v86, -15, v0
	s_movk_i32 s5, 0x198
	s_mov_b32 s1, 0
	s_delay_alu instid0(VALU_DEP_1)
	v_add_nc_u32_e32 v85, 0x78, v85
.LBB35_205:                             ; =>This Inner Loop Header: Depth=1
	scratch_load_b64 v[87:88], v85, off
	v_dual_mov_b32 v89, s5 :: v_dual_add_nc_u32 v86, -1, v86
	v_add_nc_u32_e32 v85, 8, v85
	s_add_i32 s5, s5, 8
	ds_load_b64 v[89:90], v89
	v_cmp_eq_u32_e32 vcc_lo, 0, v86
	s_or_b32 s1, vcc_lo, s1
	s_waitcnt vmcnt(0) lgkmcnt(0)
	v_fma_f64 v[73:74], v[87:88], v[89:90], v[73:74]
	s_and_not1_b32 exec_lo, exec_lo, s1
	s_cbranch_execnz .LBB35_205
; %bb.206:
	s_or_b32 exec_lo, exec_lo, s1
.LBB35_207:
	s_delay_alu instid0(SALU_CYCLE_1)
	s_or_b32 exec_lo, exec_lo, s4
	v_mov_b32_e32 v85, 0
	ds_load_b64 v[85:86], v85 offset:112
	s_waitcnt lgkmcnt(0)
	v_mul_f64 v[73:74], v[73:74], v[85:86]
	scratch_store_b64 off, v[73:74], off offset:112
.LBB35_208:
	s_or_b32 exec_lo, exec_lo, s3
	scratch_load_b64 v[73:74], off, off offset:104
	v_cmp_lt_u32_e64 s1, 13, v0
	s_waitcnt vmcnt(0)
	ds_store_b64 v76, v[73:74]
	s_waitcnt lgkmcnt(0)
	s_waitcnt_vscnt null, 0x0
	s_barrier
	buffer_gl0_inv
	s_and_saveexec_b32 s3, s1
	s_cbranch_execz .LBB35_218
; %bb.209:
	s_and_not1_b32 vcc_lo, exec_lo, s2
	s_cbranch_vccnz .LBB35_211
; %bb.210:
	scratch_load_b64 v[73:74], v77, off
	ds_load_b64 v[85:86], v76
	s_waitcnt vmcnt(0) lgkmcnt(0)
	v_mul_f64 v[73:74], v[73:74], v[85:86]
	s_cbranch_execz .LBB35_212
	s_branch .LBB35_213
.LBB35_211:
                                        ; implicit-def: $vgpr73_vgpr74
.LBB35_212:
	ds_load_b64 v[73:74], v76
.LBB35_213:
	s_and_saveexec_b32 s4, s0
	s_cbranch_execz .LBB35_217
; %bb.214:
	v_add_nc_u32_e32 v85, -14, v0
	s_movk_i32 s5, 0x190
	s_mov_b32 s0, 0
.LBB35_215:                             ; =>This Inner Loop Header: Depth=1
	scratch_load_b64 v[86:87], v84, off
	v_dual_mov_b32 v88, s5 :: v_dual_add_nc_u32 v85, -1, v85
	v_add_nc_u32_e32 v84, 8, v84
	s_add_i32 s5, s5, 8
	ds_load_b64 v[88:89], v88
	v_cmp_eq_u32_e32 vcc_lo, 0, v85
	s_or_b32 s0, vcc_lo, s0
	s_waitcnt vmcnt(0) lgkmcnt(0)
	v_fma_f64 v[73:74], v[86:87], v[88:89], v[73:74]
	s_and_not1_b32 exec_lo, exec_lo, s0
	s_cbranch_execnz .LBB35_215
; %bb.216:
	s_or_b32 exec_lo, exec_lo, s0
.LBB35_217:
	s_delay_alu instid0(SALU_CYCLE_1)
	s_or_b32 exec_lo, exec_lo, s4
	v_mov_b32_e32 v84, 0
	ds_load_b64 v[84:85], v84 offset:104
	s_waitcnt lgkmcnt(0)
	v_mul_f64 v[73:74], v[73:74], v[84:85]
	scratch_store_b64 off, v[73:74], off offset:104
.LBB35_218:
	s_or_b32 exec_lo, exec_lo, s3
	scratch_load_b64 v[73:74], off, off offset:96
	v_cmp_lt_u32_e64 s0, 12, v0
	s_waitcnt vmcnt(0)
	ds_store_b64 v76, v[73:74]
	s_waitcnt lgkmcnt(0)
	s_waitcnt_vscnt null, 0x0
	s_barrier
	buffer_gl0_inv
	s_and_saveexec_b32 s3, s0
	s_cbranch_execz .LBB35_228
; %bb.219:
	s_and_not1_b32 vcc_lo, exec_lo, s2
	s_cbranch_vccnz .LBB35_221
; %bb.220:
	scratch_load_b64 v[73:74], v77, off
	ds_load_b64 v[84:85], v76
	s_waitcnt vmcnt(0) lgkmcnt(0)
	v_mul_f64 v[73:74], v[73:74], v[84:85]
	s_cbranch_execz .LBB35_222
	s_branch .LBB35_223
.LBB35_221:
                                        ; implicit-def: $vgpr73_vgpr74
.LBB35_222:
	ds_load_b64 v[73:74], v76
.LBB35_223:
	s_and_saveexec_b32 s4, s1
	s_cbranch_execz .LBB35_227
; %bb.224:
	v_dual_mov_b32 v84, 0 :: v_dual_add_nc_u32 v85, -13, v0
	s_movk_i32 s5, 0x188
	s_mov_b32 s1, 0
	s_delay_alu instid0(VALU_DEP_1)
	v_add_nc_u32_e32 v84, 0x68, v84
.LBB35_225:                             ; =>This Inner Loop Header: Depth=1
	scratch_load_b64 v[86:87], v84, off
	v_dual_mov_b32 v88, s5 :: v_dual_add_nc_u32 v85, -1, v85
	v_add_nc_u32_e32 v84, 8, v84
	s_add_i32 s5, s5, 8
	ds_load_b64 v[88:89], v88
	v_cmp_eq_u32_e32 vcc_lo, 0, v85
	s_or_b32 s1, vcc_lo, s1
	s_waitcnt vmcnt(0) lgkmcnt(0)
	v_fma_f64 v[73:74], v[86:87], v[88:89], v[73:74]
	s_and_not1_b32 exec_lo, exec_lo, s1
	s_cbranch_execnz .LBB35_225
; %bb.226:
	s_or_b32 exec_lo, exec_lo, s1
.LBB35_227:
	s_delay_alu instid0(SALU_CYCLE_1)
	s_or_b32 exec_lo, exec_lo, s4
	v_mov_b32_e32 v84, 0
	ds_load_b64 v[84:85], v84 offset:96
	s_waitcnt lgkmcnt(0)
	v_mul_f64 v[73:74], v[73:74], v[84:85]
	scratch_store_b64 off, v[73:74], off offset:96
.LBB35_228:
	s_or_b32 exec_lo, exec_lo, s3
	scratch_load_b64 v[73:74], off, off offset:88
	v_cmp_lt_u32_e64 s1, 11, v0
	s_waitcnt vmcnt(0)
	ds_store_b64 v76, v[73:74]
	s_waitcnt lgkmcnt(0)
	s_waitcnt_vscnt null, 0x0
	s_barrier
	buffer_gl0_inv
	s_and_saveexec_b32 s3, s1
	s_cbranch_execz .LBB35_238
; %bb.229:
	s_and_not1_b32 vcc_lo, exec_lo, s2
	s_cbranch_vccnz .LBB35_231
; %bb.230:
	scratch_load_b64 v[73:74], v77, off
	ds_load_b64 v[84:85], v76
	s_waitcnt vmcnt(0) lgkmcnt(0)
	v_mul_f64 v[73:74], v[73:74], v[84:85]
	s_cbranch_execz .LBB35_232
	s_branch .LBB35_233
.LBB35_231:
                                        ; implicit-def: $vgpr73_vgpr74
.LBB35_232:
	ds_load_b64 v[73:74], v76
.LBB35_233:
	s_and_saveexec_b32 s4, s0
	s_cbranch_execz .LBB35_237
; %bb.234:
	v_add_nc_u32_e32 v84, -12, v0
	s_movk_i32 s5, 0x180
	s_mov_b32 s0, 0
.LBB35_235:                             ; =>This Inner Loop Header: Depth=1
	scratch_load_b64 v[85:86], v83, off
	v_dual_mov_b32 v87, s5 :: v_dual_add_nc_u32 v84, -1, v84
	v_add_nc_u32_e32 v83, 8, v83
	s_add_i32 s5, s5, 8
	ds_load_b64 v[87:88], v87
	v_cmp_eq_u32_e32 vcc_lo, 0, v84
	s_or_b32 s0, vcc_lo, s0
	s_waitcnt vmcnt(0) lgkmcnt(0)
	v_fma_f64 v[73:74], v[85:86], v[87:88], v[73:74]
	s_and_not1_b32 exec_lo, exec_lo, s0
	s_cbranch_execnz .LBB35_235
; %bb.236:
	s_or_b32 exec_lo, exec_lo, s0
.LBB35_237:
	s_delay_alu instid0(SALU_CYCLE_1)
	s_or_b32 exec_lo, exec_lo, s4
	v_mov_b32_e32 v83, 0
	ds_load_b64 v[83:84], v83 offset:88
	s_waitcnt lgkmcnt(0)
	v_mul_f64 v[73:74], v[73:74], v[83:84]
	scratch_store_b64 off, v[73:74], off offset:88
.LBB35_238:
	s_or_b32 exec_lo, exec_lo, s3
	scratch_load_b64 v[73:74], off, off offset:80
	v_cmp_lt_u32_e64 s0, 10, v0
	s_waitcnt vmcnt(0)
	ds_store_b64 v76, v[73:74]
	s_waitcnt lgkmcnt(0)
	s_waitcnt_vscnt null, 0x0
	s_barrier
	buffer_gl0_inv
	s_and_saveexec_b32 s3, s0
	s_cbranch_execz .LBB35_248
; %bb.239:
	s_and_not1_b32 vcc_lo, exec_lo, s2
	s_cbranch_vccnz .LBB35_241
; %bb.240:
	scratch_load_b64 v[73:74], v77, off
	ds_load_b64 v[83:84], v76
	s_waitcnt vmcnt(0) lgkmcnt(0)
	v_mul_f64 v[73:74], v[73:74], v[83:84]
	s_cbranch_execz .LBB35_242
	s_branch .LBB35_243
.LBB35_241:
                                        ; implicit-def: $vgpr73_vgpr74
.LBB35_242:
	ds_load_b64 v[73:74], v76
.LBB35_243:
	s_and_saveexec_b32 s4, s1
	s_cbranch_execz .LBB35_247
; %bb.244:
	v_dual_mov_b32 v83, 0 :: v_dual_add_nc_u32 v84, -11, v0
	s_movk_i32 s5, 0x178
	s_mov_b32 s1, 0
	s_delay_alu instid0(VALU_DEP_1)
	v_add_nc_u32_e32 v83, 0x58, v83
.LBB35_245:                             ; =>This Inner Loop Header: Depth=1
	scratch_load_b64 v[85:86], v83, off
	v_dual_mov_b32 v87, s5 :: v_dual_add_nc_u32 v84, -1, v84
	v_add_nc_u32_e32 v83, 8, v83
	s_add_i32 s5, s5, 8
	ds_load_b64 v[87:88], v87
	v_cmp_eq_u32_e32 vcc_lo, 0, v84
	s_or_b32 s1, vcc_lo, s1
	s_waitcnt vmcnt(0) lgkmcnt(0)
	v_fma_f64 v[73:74], v[85:86], v[87:88], v[73:74]
	s_and_not1_b32 exec_lo, exec_lo, s1
	s_cbranch_execnz .LBB35_245
; %bb.246:
	s_or_b32 exec_lo, exec_lo, s1
.LBB35_247:
	s_delay_alu instid0(SALU_CYCLE_1)
	s_or_b32 exec_lo, exec_lo, s4
	v_mov_b32_e32 v83, 0
	ds_load_b64 v[83:84], v83 offset:80
	s_waitcnt lgkmcnt(0)
	v_mul_f64 v[73:74], v[73:74], v[83:84]
	scratch_store_b64 off, v[73:74], off offset:80
.LBB35_248:
	s_or_b32 exec_lo, exec_lo, s3
	scratch_load_b64 v[73:74], off, off offset:72
	v_cmp_lt_u32_e64 s1, 9, v0
	s_waitcnt vmcnt(0)
	ds_store_b64 v76, v[73:74]
	s_waitcnt lgkmcnt(0)
	s_waitcnt_vscnt null, 0x0
	s_barrier
	buffer_gl0_inv
	s_and_saveexec_b32 s3, s1
	s_cbranch_execz .LBB35_258
; %bb.249:
	s_and_not1_b32 vcc_lo, exec_lo, s2
	s_cbranch_vccnz .LBB35_251
; %bb.250:
	scratch_load_b64 v[73:74], v77, off
	ds_load_b64 v[83:84], v76
	s_waitcnt vmcnt(0) lgkmcnt(0)
	v_mul_f64 v[73:74], v[73:74], v[83:84]
	s_cbranch_execz .LBB35_252
	s_branch .LBB35_253
.LBB35_251:
                                        ; implicit-def: $vgpr73_vgpr74
.LBB35_252:
	ds_load_b64 v[73:74], v76
.LBB35_253:
	s_and_saveexec_b32 s4, s0
	s_cbranch_execz .LBB35_257
; %bb.254:
	v_add_nc_u32_e32 v83, -10, v0
	s_movk_i32 s5, 0x170
	s_mov_b32 s0, 0
.LBB35_255:                             ; =>This Inner Loop Header: Depth=1
	scratch_load_b64 v[84:85], v82, off
	v_dual_mov_b32 v86, s5 :: v_dual_add_nc_u32 v83, -1, v83
	v_add_nc_u32_e32 v82, 8, v82
	s_add_i32 s5, s5, 8
	ds_load_b64 v[86:87], v86
	v_cmp_eq_u32_e32 vcc_lo, 0, v83
	s_or_b32 s0, vcc_lo, s0
	s_waitcnt vmcnt(0) lgkmcnt(0)
	v_fma_f64 v[73:74], v[84:85], v[86:87], v[73:74]
	s_and_not1_b32 exec_lo, exec_lo, s0
	s_cbranch_execnz .LBB35_255
; %bb.256:
	s_or_b32 exec_lo, exec_lo, s0
.LBB35_257:
	s_delay_alu instid0(SALU_CYCLE_1)
	s_or_b32 exec_lo, exec_lo, s4
	v_mov_b32_e32 v82, 0
	ds_load_b64 v[82:83], v82 offset:72
	s_waitcnt lgkmcnt(0)
	v_mul_f64 v[73:74], v[73:74], v[82:83]
	scratch_store_b64 off, v[73:74], off offset:72
.LBB35_258:
	s_or_b32 exec_lo, exec_lo, s3
	scratch_load_b64 v[73:74], off, off offset:64
	v_cmp_lt_u32_e64 s0, 8, v0
	s_waitcnt vmcnt(0)
	ds_store_b64 v76, v[73:74]
	s_waitcnt lgkmcnt(0)
	s_waitcnt_vscnt null, 0x0
	s_barrier
	buffer_gl0_inv
	s_and_saveexec_b32 s3, s0
	s_cbranch_execz .LBB35_268
; %bb.259:
	s_and_not1_b32 vcc_lo, exec_lo, s2
	s_cbranch_vccnz .LBB35_261
; %bb.260:
	scratch_load_b64 v[73:74], v77, off
	ds_load_b64 v[82:83], v76
	s_waitcnt vmcnt(0) lgkmcnt(0)
	v_mul_f64 v[73:74], v[73:74], v[82:83]
	s_cbranch_execz .LBB35_262
	s_branch .LBB35_263
.LBB35_261:
                                        ; implicit-def: $vgpr73_vgpr74
.LBB35_262:
	ds_load_b64 v[73:74], v76
.LBB35_263:
	s_and_saveexec_b32 s4, s1
	s_cbranch_execz .LBB35_267
; %bb.264:
	v_dual_mov_b32 v82, 0 :: v_dual_add_nc_u32 v83, -9, v0
	s_movk_i32 s5, 0x168
	s_mov_b32 s1, 0
	s_delay_alu instid0(VALU_DEP_1)
	v_add_nc_u32_e32 v82, 0x48, v82
.LBB35_265:                             ; =>This Inner Loop Header: Depth=1
	scratch_load_b64 v[84:85], v82, off
	v_dual_mov_b32 v86, s5 :: v_dual_add_nc_u32 v83, -1, v83
	v_add_nc_u32_e32 v82, 8, v82
	s_add_i32 s5, s5, 8
	ds_load_b64 v[86:87], v86
	v_cmp_eq_u32_e32 vcc_lo, 0, v83
	s_or_b32 s1, vcc_lo, s1
	s_waitcnt vmcnt(0) lgkmcnt(0)
	v_fma_f64 v[73:74], v[84:85], v[86:87], v[73:74]
	s_and_not1_b32 exec_lo, exec_lo, s1
	s_cbranch_execnz .LBB35_265
; %bb.266:
	s_or_b32 exec_lo, exec_lo, s1
.LBB35_267:
	s_delay_alu instid0(SALU_CYCLE_1)
	s_or_b32 exec_lo, exec_lo, s4
	v_mov_b32_e32 v82, 0
	ds_load_b64 v[82:83], v82 offset:64
	s_waitcnt lgkmcnt(0)
	v_mul_f64 v[73:74], v[73:74], v[82:83]
	scratch_store_b64 off, v[73:74], off offset:64
.LBB35_268:
	s_or_b32 exec_lo, exec_lo, s3
	scratch_load_b64 v[73:74], off, off offset:56
	v_cmp_lt_u32_e64 s1, 7, v0
	s_waitcnt vmcnt(0)
	ds_store_b64 v76, v[73:74]
	s_waitcnt lgkmcnt(0)
	s_waitcnt_vscnt null, 0x0
	s_barrier
	buffer_gl0_inv
	s_and_saveexec_b32 s3, s1
	s_cbranch_execz .LBB35_278
; %bb.269:
	s_and_not1_b32 vcc_lo, exec_lo, s2
	s_cbranch_vccnz .LBB35_271
; %bb.270:
	scratch_load_b64 v[73:74], v77, off
	ds_load_b64 v[82:83], v76
	s_waitcnt vmcnt(0) lgkmcnt(0)
	v_mul_f64 v[73:74], v[73:74], v[82:83]
	s_cbranch_execz .LBB35_272
	s_branch .LBB35_273
.LBB35_271:
                                        ; implicit-def: $vgpr73_vgpr74
.LBB35_272:
	ds_load_b64 v[73:74], v76
.LBB35_273:
	s_and_saveexec_b32 s4, s0
	s_cbranch_execz .LBB35_277
; %bb.274:
	v_add_nc_u32_e32 v82, -8, v0
	s_movk_i32 s5, 0x160
	s_mov_b32 s0, 0
.LBB35_275:                             ; =>This Inner Loop Header: Depth=1
	scratch_load_b64 v[83:84], v81, off
	v_dual_mov_b32 v85, s5 :: v_dual_add_nc_u32 v82, -1, v82
	v_add_nc_u32_e32 v81, 8, v81
	s_add_i32 s5, s5, 8
	ds_load_b64 v[85:86], v85
	v_cmp_eq_u32_e32 vcc_lo, 0, v82
	s_or_b32 s0, vcc_lo, s0
	s_waitcnt vmcnt(0) lgkmcnt(0)
	v_fma_f64 v[73:74], v[83:84], v[85:86], v[73:74]
	s_and_not1_b32 exec_lo, exec_lo, s0
	s_cbranch_execnz .LBB35_275
; %bb.276:
	s_or_b32 exec_lo, exec_lo, s0
.LBB35_277:
	s_delay_alu instid0(SALU_CYCLE_1)
	s_or_b32 exec_lo, exec_lo, s4
	v_mov_b32_e32 v81, 0
	ds_load_b64 v[81:82], v81 offset:56
	s_waitcnt lgkmcnt(0)
	v_mul_f64 v[73:74], v[73:74], v[81:82]
	scratch_store_b64 off, v[73:74], off offset:56
.LBB35_278:
	s_or_b32 exec_lo, exec_lo, s3
	scratch_load_b64 v[73:74], off, off offset:48
	v_cmp_lt_u32_e64 s0, 6, v0
	s_waitcnt vmcnt(0)
	ds_store_b64 v76, v[73:74]
	s_waitcnt lgkmcnt(0)
	s_waitcnt_vscnt null, 0x0
	s_barrier
	buffer_gl0_inv
	s_and_saveexec_b32 s3, s0
	s_cbranch_execz .LBB35_288
; %bb.279:
	s_and_not1_b32 vcc_lo, exec_lo, s2
	s_cbranch_vccnz .LBB35_281
; %bb.280:
	scratch_load_b64 v[73:74], v77, off
	ds_load_b64 v[81:82], v76
	s_waitcnt vmcnt(0) lgkmcnt(0)
	v_mul_f64 v[73:74], v[73:74], v[81:82]
	s_cbranch_execz .LBB35_282
	s_branch .LBB35_283
.LBB35_281:
                                        ; implicit-def: $vgpr73_vgpr74
.LBB35_282:
	ds_load_b64 v[73:74], v76
.LBB35_283:
	s_and_saveexec_b32 s4, s1
	s_cbranch_execz .LBB35_287
; %bb.284:
	v_add_nc_u32_e64 v81, 0, 56
	v_add_nc_u32_e32 v82, -7, v0
	s_movk_i32 s5, 0x158
	s_mov_b32 s1, 0
.LBB35_285:                             ; =>This Inner Loop Header: Depth=1
	scratch_load_b64 v[83:84], v81, off
	v_dual_mov_b32 v85, s5 :: v_dual_add_nc_u32 v82, -1, v82
	v_add_nc_u32_e32 v81, 8, v81
	s_add_i32 s5, s5, 8
	ds_load_b64 v[85:86], v85
	v_cmp_eq_u32_e32 vcc_lo, 0, v82
	s_or_b32 s1, vcc_lo, s1
	s_waitcnt vmcnt(0) lgkmcnt(0)
	v_fma_f64 v[73:74], v[83:84], v[85:86], v[73:74]
	s_and_not1_b32 exec_lo, exec_lo, s1
	s_cbranch_execnz .LBB35_285
; %bb.286:
	s_or_b32 exec_lo, exec_lo, s1
.LBB35_287:
	s_delay_alu instid0(SALU_CYCLE_1)
	s_or_b32 exec_lo, exec_lo, s4
	v_mov_b32_e32 v81, 0
	ds_load_b64 v[81:82], v81 offset:48
	s_waitcnt lgkmcnt(0)
	v_mul_f64 v[73:74], v[73:74], v[81:82]
	scratch_store_b64 off, v[73:74], off offset:48
.LBB35_288:
	s_or_b32 exec_lo, exec_lo, s3
	scratch_load_b64 v[73:74], off, off offset:40
	v_cmp_lt_u32_e64 s1, 5, v0
	s_waitcnt vmcnt(0)
	ds_store_b64 v76, v[73:74]
	s_waitcnt lgkmcnt(0)
	s_waitcnt_vscnt null, 0x0
	s_barrier
	buffer_gl0_inv
	s_and_saveexec_b32 s3, s1
	s_cbranch_execz .LBB35_298
; %bb.289:
	s_and_not1_b32 vcc_lo, exec_lo, s2
	s_cbranch_vccnz .LBB35_291
; %bb.290:
	scratch_load_b64 v[73:74], v77, off
	ds_load_b64 v[81:82], v76
	s_waitcnt vmcnt(0) lgkmcnt(0)
	v_mul_f64 v[73:74], v[73:74], v[81:82]
	s_cbranch_execz .LBB35_292
	s_branch .LBB35_293
.LBB35_291:
                                        ; implicit-def: $vgpr73_vgpr74
.LBB35_292:
	ds_load_b64 v[73:74], v76
.LBB35_293:
	s_and_saveexec_b32 s4, s0
	s_cbranch_execz .LBB35_297
; %bb.294:
	v_add_nc_u32_e32 v81, -6, v0
	s_movk_i32 s5, 0x150
	s_mov_b32 s0, 0
.LBB35_295:                             ; =>This Inner Loop Header: Depth=1
	scratch_load_b64 v[82:83], v80, off
	v_dual_mov_b32 v84, s5 :: v_dual_add_nc_u32 v81, -1, v81
	v_add_nc_u32_e32 v80, 8, v80
	s_add_i32 s5, s5, 8
	ds_load_b64 v[84:85], v84
	v_cmp_eq_u32_e32 vcc_lo, 0, v81
	s_or_b32 s0, vcc_lo, s0
	s_waitcnt vmcnt(0) lgkmcnt(0)
	v_fma_f64 v[73:74], v[82:83], v[84:85], v[73:74]
	s_and_not1_b32 exec_lo, exec_lo, s0
	s_cbranch_execnz .LBB35_295
; %bb.296:
	s_or_b32 exec_lo, exec_lo, s0
.LBB35_297:
	s_delay_alu instid0(SALU_CYCLE_1)
	s_or_b32 exec_lo, exec_lo, s4
	v_mov_b32_e32 v80, 0
	ds_load_b64 v[80:81], v80 offset:40
	s_waitcnt lgkmcnt(0)
	v_mul_f64 v[73:74], v[73:74], v[80:81]
	scratch_store_b64 off, v[73:74], off offset:40
.LBB35_298:
	s_or_b32 exec_lo, exec_lo, s3
	scratch_load_b64 v[73:74], off, off offset:32
	v_cmp_lt_u32_e64 s0, 4, v0
	s_waitcnt vmcnt(0)
	ds_store_b64 v76, v[73:74]
	s_waitcnt lgkmcnt(0)
	s_waitcnt_vscnt null, 0x0
	s_barrier
	buffer_gl0_inv
	s_and_saveexec_b32 s3, s0
	s_cbranch_execz .LBB35_308
; %bb.299:
	s_and_not1_b32 vcc_lo, exec_lo, s2
	s_cbranch_vccnz .LBB35_301
; %bb.300:
	scratch_load_b64 v[73:74], v77, off
	ds_load_b64 v[80:81], v76
	s_waitcnt vmcnt(0) lgkmcnt(0)
	v_mul_f64 v[73:74], v[73:74], v[80:81]
	s_cbranch_execz .LBB35_302
	s_branch .LBB35_303
.LBB35_301:
                                        ; implicit-def: $vgpr73_vgpr74
.LBB35_302:
	ds_load_b64 v[73:74], v76
.LBB35_303:
	s_and_saveexec_b32 s4, s1
	s_cbranch_execz .LBB35_307
; %bb.304:
	v_add_nc_u32_e64 v80, 0, 40
	v_add_nc_u32_e32 v81, -5, v0
	s_movk_i32 s5, 0x148
	s_mov_b32 s1, 0
.LBB35_305:                             ; =>This Inner Loop Header: Depth=1
	scratch_load_b64 v[82:83], v80, off
	v_dual_mov_b32 v84, s5 :: v_dual_add_nc_u32 v81, -1, v81
	v_add_nc_u32_e32 v80, 8, v80
	s_add_i32 s5, s5, 8
	ds_load_b64 v[84:85], v84
	v_cmp_eq_u32_e32 vcc_lo, 0, v81
	s_or_b32 s1, vcc_lo, s1
	s_waitcnt vmcnt(0) lgkmcnt(0)
	v_fma_f64 v[73:74], v[82:83], v[84:85], v[73:74]
	s_and_not1_b32 exec_lo, exec_lo, s1
	s_cbranch_execnz .LBB35_305
; %bb.306:
	s_or_b32 exec_lo, exec_lo, s1
.LBB35_307:
	s_delay_alu instid0(SALU_CYCLE_1)
	s_or_b32 exec_lo, exec_lo, s4
	v_mov_b32_e32 v80, 0
	ds_load_b64 v[80:81], v80 offset:32
	s_waitcnt lgkmcnt(0)
	v_mul_f64 v[73:74], v[73:74], v[80:81]
	scratch_store_b64 off, v[73:74], off offset:32
.LBB35_308:
	s_or_b32 exec_lo, exec_lo, s3
	scratch_load_b64 v[73:74], off, off offset:24
	v_cmp_lt_u32_e64 s1, 3, v0
	s_waitcnt vmcnt(0)
	ds_store_b64 v76, v[73:74]
	s_waitcnt lgkmcnt(0)
	s_waitcnt_vscnt null, 0x0
	s_barrier
	buffer_gl0_inv
	s_and_saveexec_b32 s3, s1
	s_cbranch_execz .LBB35_318
; %bb.309:
	s_and_not1_b32 vcc_lo, exec_lo, s2
	s_cbranch_vccnz .LBB35_311
; %bb.310:
	scratch_load_b64 v[73:74], v77, off
	ds_load_b64 v[80:81], v76
	s_waitcnt vmcnt(0) lgkmcnt(0)
	v_mul_f64 v[73:74], v[73:74], v[80:81]
	s_cbranch_execz .LBB35_312
	s_branch .LBB35_313
.LBB35_311:
                                        ; implicit-def: $vgpr73_vgpr74
.LBB35_312:
	ds_load_b64 v[73:74], v76
.LBB35_313:
	s_and_saveexec_b32 s4, s0
	s_cbranch_execz .LBB35_317
; %bb.314:
	v_add_nc_u32_e32 v80, -4, v0
	s_movk_i32 s5, 0x140
	s_mov_b32 s0, 0
.LBB35_315:                             ; =>This Inner Loop Header: Depth=1
	scratch_load_b64 v[81:82], v79, off
	v_dual_mov_b32 v83, s5 :: v_dual_add_nc_u32 v80, -1, v80
	v_add_nc_u32_e32 v79, 8, v79
	s_add_i32 s5, s5, 8
	ds_load_b64 v[83:84], v83
	v_cmp_eq_u32_e32 vcc_lo, 0, v80
	s_or_b32 s0, vcc_lo, s0
	s_waitcnt vmcnt(0) lgkmcnt(0)
	v_fma_f64 v[73:74], v[81:82], v[83:84], v[73:74]
	s_and_not1_b32 exec_lo, exec_lo, s0
	s_cbranch_execnz .LBB35_315
; %bb.316:
	s_or_b32 exec_lo, exec_lo, s0
.LBB35_317:
	s_delay_alu instid0(SALU_CYCLE_1)
	s_or_b32 exec_lo, exec_lo, s4
	v_mov_b32_e32 v79, 0
	ds_load_b64 v[79:80], v79 offset:24
	s_waitcnt lgkmcnt(0)
	v_mul_f64 v[73:74], v[73:74], v[79:80]
	scratch_store_b64 off, v[73:74], off offset:24
.LBB35_318:
	s_or_b32 exec_lo, exec_lo, s3
	scratch_load_b64 v[73:74], off, off offset:16
	v_cmp_lt_u32_e64 s0, 2, v0
	s_waitcnt vmcnt(0)
	ds_store_b64 v76, v[73:74]
	s_waitcnt lgkmcnt(0)
	s_waitcnt_vscnt null, 0x0
	s_barrier
	buffer_gl0_inv
	s_and_saveexec_b32 s3, s0
	s_cbranch_execz .LBB35_328
; %bb.319:
	s_and_not1_b32 vcc_lo, exec_lo, s2
	s_cbranch_vccnz .LBB35_321
; %bb.320:
	scratch_load_b64 v[73:74], v77, off
	ds_load_b64 v[79:80], v76
	s_waitcnt vmcnt(0) lgkmcnt(0)
	v_mul_f64 v[73:74], v[73:74], v[79:80]
	s_cbranch_execz .LBB35_322
	s_branch .LBB35_323
.LBB35_321:
                                        ; implicit-def: $vgpr73_vgpr74
.LBB35_322:
	ds_load_b64 v[73:74], v76
.LBB35_323:
	s_and_saveexec_b32 s4, s1
	s_cbranch_execz .LBB35_327
; %bb.324:
	v_add_nc_u32_e64 v79, 0, 24
	v_add_nc_u32_e32 v80, -3, v0
	s_movk_i32 s5, 0x138
	s_mov_b32 s1, 0
.LBB35_325:                             ; =>This Inner Loop Header: Depth=1
	scratch_load_b64 v[81:82], v79, off
	v_dual_mov_b32 v83, s5 :: v_dual_add_nc_u32 v80, -1, v80
	v_add_nc_u32_e32 v79, 8, v79
	s_add_i32 s5, s5, 8
	ds_load_b64 v[83:84], v83
	v_cmp_eq_u32_e32 vcc_lo, 0, v80
	s_or_b32 s1, vcc_lo, s1
	s_waitcnt vmcnt(0) lgkmcnt(0)
	v_fma_f64 v[73:74], v[81:82], v[83:84], v[73:74]
	s_and_not1_b32 exec_lo, exec_lo, s1
	s_cbranch_execnz .LBB35_325
; %bb.326:
	s_or_b32 exec_lo, exec_lo, s1
.LBB35_327:
	s_delay_alu instid0(SALU_CYCLE_1)
	s_or_b32 exec_lo, exec_lo, s4
	v_mov_b32_e32 v79, 0
	ds_load_b64 v[79:80], v79 offset:16
	s_waitcnt lgkmcnt(0)
	v_mul_f64 v[73:74], v[73:74], v[79:80]
	scratch_store_b64 off, v[73:74], off offset:16
.LBB35_328:
	s_or_b32 exec_lo, exec_lo, s3
	scratch_load_b64 v[73:74], off, off offset:8
	v_cmp_lt_u32_e64 s1, 1, v0
	s_waitcnt vmcnt(0)
	ds_store_b64 v76, v[73:74]
	s_waitcnt lgkmcnt(0)
	s_waitcnt_vscnt null, 0x0
	s_barrier
	buffer_gl0_inv
	s_and_saveexec_b32 s3, s1
	s_cbranch_execz .LBB35_338
; %bb.329:
	s_and_not1_b32 vcc_lo, exec_lo, s2
	s_cbranch_vccnz .LBB35_331
; %bb.330:
	scratch_load_b64 v[73:74], v77, off
	ds_load_b64 v[79:80], v76
	s_waitcnt vmcnt(0) lgkmcnt(0)
	v_mul_f64 v[73:74], v[73:74], v[79:80]
	s_cbranch_execz .LBB35_332
	s_branch .LBB35_333
.LBB35_331:
                                        ; implicit-def: $vgpr73_vgpr74
.LBB35_332:
	ds_load_b64 v[73:74], v76
.LBB35_333:
	s_and_saveexec_b32 s4, s0
	s_cbranch_execz .LBB35_337
; %bb.334:
	v_add_nc_u32_e32 v79, -2, v0
	s_movk_i32 s5, 0x130
	s_mov_b32 s0, 0
.LBB35_335:                             ; =>This Inner Loop Header: Depth=1
	scratch_load_b64 v[80:81], v78, off
	v_dual_mov_b32 v82, s5 :: v_dual_add_nc_u32 v79, -1, v79
	v_add_nc_u32_e32 v78, 8, v78
	s_add_i32 s5, s5, 8
	ds_load_b64 v[82:83], v82
	v_cmp_eq_u32_e32 vcc_lo, 0, v79
	s_or_b32 s0, vcc_lo, s0
	s_waitcnt vmcnt(0) lgkmcnt(0)
	v_fma_f64 v[73:74], v[80:81], v[82:83], v[73:74]
	s_and_not1_b32 exec_lo, exec_lo, s0
	s_cbranch_execnz .LBB35_335
; %bb.336:
	s_or_b32 exec_lo, exec_lo, s0
.LBB35_337:
	s_delay_alu instid0(SALU_CYCLE_1)
	s_or_b32 exec_lo, exec_lo, s4
	v_mov_b32_e32 v78, 0
	ds_load_b64 v[78:79], v78 offset:8
	s_waitcnt lgkmcnt(0)
	v_mul_f64 v[73:74], v[73:74], v[78:79]
	scratch_store_b64 off, v[73:74], off offset:8
.LBB35_338:
	s_or_b32 exec_lo, exec_lo, s3
	scratch_load_b64 v[73:74], off, off
	s_mov_b32 s0, 0
	s_mov_b32 s3, exec_lo
	s_waitcnt vmcnt(0)
	ds_store_b64 v76, v[73:74]
	s_waitcnt lgkmcnt(0)
	s_waitcnt_vscnt null, 0x0
	s_barrier
	buffer_gl0_inv
	v_cmpx_ne_u32_e32 0, v0
	s_cbranch_execz .LBB35_348
; %bb.339:
	s_and_not1_b32 vcc_lo, exec_lo, s2
	s_cbranch_vccnz .LBB35_341
; %bb.340:
	scratch_load_b64 v[73:74], v77, off
	ds_load_b64 v[78:79], v76
	s_waitcnt vmcnt(0) lgkmcnt(0)
	v_mul_f64 v[73:74], v[73:74], v[78:79]
	s_cbranch_execz .LBB35_342
	s_branch .LBB35_343
.LBB35_341:
                                        ; implicit-def: $vgpr73_vgpr74
.LBB35_342:
	ds_load_b64 v[73:74], v76
.LBB35_343:
	s_and_saveexec_b32 s4, s1
	s_cbranch_execz .LBB35_347
; %bb.344:
	v_or_b32_e64 v78, 0, 8
	v_add_nc_u32_e32 v79, -1, v0
	s_movk_i32 s5, 0x128
	s_mov_b32 s1, 0
.LBB35_345:                             ; =>This Inner Loop Header: Depth=1
	scratch_load_b64 v[80:81], v78, off
	v_dual_mov_b32 v82, s5 :: v_dual_add_nc_u32 v79, -1, v79
	v_add_nc_u32_e32 v78, 8, v78
	s_add_i32 s5, s5, 8
	ds_load_b64 v[82:83], v82
	v_cmp_eq_u32_e32 vcc_lo, 0, v79
	s_or_b32 s1, vcc_lo, s1
	s_waitcnt vmcnt(0) lgkmcnt(0)
	v_fma_f64 v[73:74], v[80:81], v[82:83], v[73:74]
	s_and_not1_b32 exec_lo, exec_lo, s1
	s_cbranch_execnz .LBB35_345
; %bb.346:
	s_or_b32 exec_lo, exec_lo, s1
.LBB35_347:
	s_delay_alu instid0(SALU_CYCLE_1)
	s_or_b32 exec_lo, exec_lo, s4
	v_mov_b32_e32 v78, 0
	ds_load_b64 v[78:79], v78
	s_waitcnt lgkmcnt(0)
	v_mul_f64 v[73:74], v[73:74], v[78:79]
	scratch_store_b64 off, v[73:74], off
.LBB35_348:
	s_or_b32 exec_lo, exec_lo, s3
.LBB35_349:
	s_delay_alu instid0(SALU_CYCLE_1)
	s_and_b32 vcc_lo, exec_lo, s0
	s_cbranch_vccz .LBB35_695
; %bb.350:
	scratch_load_b64 v[73:74], off, off offset:8
	v_cmp_eq_u32_e64 s0, 0, v0
	s_waitcnt vmcnt(0)
	ds_store_b64 v76, v[73:74]
	s_waitcnt lgkmcnt(0)
	s_waitcnt_vscnt null, 0x0
	s_barrier
	buffer_gl0_inv
	s_and_saveexec_b32 s1, s0
	s_cbranch_execz .LBB35_356
; %bb.351:
	s_and_b32 vcc_lo, exec_lo, s2
	s_cbranch_vccz .LBB35_353
; %bb.352:
	scratch_load_b64 v[73:74], v77, off
	ds_load_b64 v[78:79], v76
	s_waitcnt vmcnt(0) lgkmcnt(0)
	v_mul_f64 v[73:74], v[73:74], v[78:79]
	s_cbranch_execz .LBB35_354
	s_branch .LBB35_355
.LBB35_353:
                                        ; implicit-def: $vgpr73_vgpr74
.LBB35_354:
	ds_load_b64 v[73:74], v76
.LBB35_355:
	v_mov_b32_e32 v78, 0
	ds_load_b64 v[78:79], v78 offset:8
	s_waitcnt lgkmcnt(0)
	v_mul_f64 v[73:74], v[73:74], v[78:79]
	scratch_store_b64 off, v[73:74], off offset:8
.LBB35_356:
	s_or_b32 exec_lo, exec_lo, s1
	scratch_load_b64 v[73:74], off, off offset:16
	v_cndmask_b32_e64 v78, 0, 1, s2
	s_mov_b32 s1, exec_lo
	s_waitcnt vmcnt(0)
	ds_store_b64 v76, v[73:74]
	s_waitcnt lgkmcnt(0)
	s_waitcnt_vscnt null, 0x0
	s_barrier
	buffer_gl0_inv
	v_cmpx_gt_u32_e32 2, v0
	s_cbranch_execz .LBB35_364
; %bb.357:
	s_and_not1_b32 vcc_lo, exec_lo, s2
	s_cbranch_vccnz .LBB35_359
; %bb.358:
	scratch_load_b64 v[73:74], v77, off
	ds_load_b64 v[79:80], v76
	s_waitcnt vmcnt(0) lgkmcnt(0)
	v_mul_f64 v[73:74], v[73:74], v[79:80]
	s_cbranch_execz .LBB35_360
	s_branch .LBB35_361
.LBB35_359:
                                        ; implicit-def: $vgpr73_vgpr74
.LBB35_360:
	ds_load_b64 v[73:74], v76
.LBB35_361:
	s_and_saveexec_b32 s2, s0
	s_cbranch_execz .LBB35_363
; %bb.362:
	scratch_load_b64 v[79:80], v77, off offset:8
	ds_load_b64 v[81:82], v76 offset:8
	s_waitcnt vmcnt(0) lgkmcnt(0)
	v_fma_f64 v[73:74], v[79:80], v[81:82], v[73:74]
.LBB35_363:
	s_or_b32 exec_lo, exec_lo, s2
	v_mov_b32_e32 v79, 0
	ds_load_b64 v[79:80], v79 offset:16
	s_waitcnt lgkmcnt(0)
	v_mul_f64 v[73:74], v[73:74], v[79:80]
	scratch_store_b64 off, v[73:74], off offset:16
.LBB35_364:
	s_or_b32 exec_lo, exec_lo, s1
	scratch_load_b64 v[73:74], off, off offset:24
	s_mov_b32 s1, exec_lo
	s_waitcnt vmcnt(0)
	ds_store_b64 v76, v[73:74]
	s_waitcnt lgkmcnt(0)
	s_waitcnt_vscnt null, 0x0
	s_barrier
	buffer_gl0_inv
	v_cmpx_gt_u32_e32 3, v0
	s_cbranch_execz .LBB35_374
; %bb.365:
	v_cmp_ne_u32_e32 vcc_lo, 1, v78
	s_cbranch_vccnz .LBB35_367
; %bb.366:
	scratch_load_b64 v[73:74], v77, off
	ds_load_b64 v[79:80], v76
	s_waitcnt vmcnt(0) lgkmcnt(0)
	v_mul_f64 v[73:74], v[73:74], v[79:80]
	s_cbranch_execz .LBB35_368
	s_branch .LBB35_369
.LBB35_367:
                                        ; implicit-def: $vgpr73_vgpr74
.LBB35_368:
	ds_load_b64 v[73:74], v76
.LBB35_369:
	s_mov_b32 s2, exec_lo
	v_cmpx_ne_u32_e32 2, v0
	s_cbranch_execz .LBB35_373
; %bb.370:
	scratch_load_b64 v[79:80], v77, off offset:8
	ds_load_b64 v[81:82], v76 offset:8
	s_waitcnt vmcnt(0) lgkmcnt(0)
	v_fma_f64 v[73:74], v[79:80], v[81:82], v[73:74]
	s_and_saveexec_b32 s3, s0
	s_cbranch_execz .LBB35_372
; %bb.371:
	scratch_load_b64 v[79:80], off, off offset:16
	v_mov_b32_e32 v81, 0
	ds_load_b64 v[81:82], v81 offset:304
	s_waitcnt vmcnt(0) lgkmcnt(0)
	v_fma_f64 v[73:74], v[79:80], v[81:82], v[73:74]
.LBB35_372:
	s_or_b32 exec_lo, exec_lo, s3
.LBB35_373:
	s_delay_alu instid0(SALU_CYCLE_1)
	s_or_b32 exec_lo, exec_lo, s2
	v_mov_b32_e32 v79, 0
	ds_load_b64 v[79:80], v79 offset:24
	s_waitcnt lgkmcnt(0)
	v_mul_f64 v[73:74], v[73:74], v[79:80]
	scratch_store_b64 off, v[73:74], off offset:24
.LBB35_374:
	s_or_b32 exec_lo, exec_lo, s1
	scratch_load_b64 v[73:74], off, off offset:32
	s_mov_b32 s0, exec_lo
	s_waitcnt vmcnt(0)
	ds_store_b64 v76, v[73:74]
	s_waitcnt lgkmcnt(0)
	s_waitcnt_vscnt null, 0x0
	s_barrier
	buffer_gl0_inv
	v_cmpx_gt_u32_e32 4, v0
	s_cbranch_execz .LBB35_384
; %bb.375:
	v_cmp_ne_u32_e32 vcc_lo, 1, v78
	s_cbranch_vccnz .LBB35_377
; %bb.376:
	scratch_load_b64 v[73:74], v77, off
	ds_load_b64 v[79:80], v76
	s_waitcnt vmcnt(0) lgkmcnt(0)
	v_mul_f64 v[73:74], v[73:74], v[79:80]
	s_cbranch_execz .LBB35_378
	s_branch .LBB35_379
.LBB35_377:
                                        ; implicit-def: $vgpr73_vgpr74
.LBB35_378:
	ds_load_b64 v[73:74], v76
.LBB35_379:
	s_mov_b32 s1, exec_lo
	v_cmpx_ne_u32_e32 3, v0
	s_cbranch_execz .LBB35_383
; %bb.380:
	v_add_nc_u32_e32 v79, 0x128, v75
	v_add3_u32 v80, 0, v75, 8
	v_mov_b32_e32 v81, v0
	s_mov_b32 s2, 0
.LBB35_381:                             ; =>This Inner Loop Header: Depth=1
	scratch_load_b64 v[82:83], v80, off
	ds_load_b64 v[84:85], v79
	v_add_nc_u32_e32 v81, 1, v81
	v_add_nc_u32_e32 v79, 8, v79
	v_add_nc_u32_e32 v80, 8, v80
	s_delay_alu instid0(VALU_DEP_3)
	v_cmp_lt_u32_e32 vcc_lo, 2, v81
	s_or_b32 s2, vcc_lo, s2
	s_waitcnt vmcnt(0) lgkmcnt(0)
	v_fma_f64 v[73:74], v[82:83], v[84:85], v[73:74]
	s_and_not1_b32 exec_lo, exec_lo, s2
	s_cbranch_execnz .LBB35_381
; %bb.382:
	s_or_b32 exec_lo, exec_lo, s2
.LBB35_383:
	s_delay_alu instid0(SALU_CYCLE_1)
	s_or_b32 exec_lo, exec_lo, s1
	v_mov_b32_e32 v79, 0
	ds_load_b64 v[79:80], v79 offset:32
	s_waitcnt lgkmcnt(0)
	v_mul_f64 v[73:74], v[73:74], v[79:80]
	scratch_store_b64 off, v[73:74], off offset:32
.LBB35_384:
	s_or_b32 exec_lo, exec_lo, s0
	scratch_load_b64 v[73:74], off, off offset:40
	s_mov_b32 s0, exec_lo
	s_waitcnt vmcnt(0)
	ds_store_b64 v76, v[73:74]
	s_waitcnt lgkmcnt(0)
	s_waitcnt_vscnt null, 0x0
	s_barrier
	buffer_gl0_inv
	v_cmpx_gt_u32_e32 5, v0
	s_cbranch_execz .LBB35_394
; %bb.385:
	v_cmp_ne_u32_e32 vcc_lo, 1, v78
	s_cbranch_vccnz .LBB35_387
; %bb.386:
	scratch_load_b64 v[73:74], v77, off
	ds_load_b64 v[79:80], v76
	s_waitcnt vmcnt(0) lgkmcnt(0)
	v_mul_f64 v[73:74], v[73:74], v[79:80]
	s_cbranch_execz .LBB35_388
	s_branch .LBB35_389
.LBB35_387:
                                        ; implicit-def: $vgpr73_vgpr74
.LBB35_388:
	ds_load_b64 v[73:74], v76
.LBB35_389:
	s_mov_b32 s1, exec_lo
	v_cmpx_ne_u32_e32 4, v0
	s_cbranch_execz .LBB35_393
; %bb.390:
	v_add_nc_u32_e32 v79, 0x128, v75
	v_add3_u32 v80, 0, v75, 8
	v_mov_b32_e32 v81, v0
	s_mov_b32 s2, 0
.LBB35_391:                             ; =>This Inner Loop Header: Depth=1
	scratch_load_b64 v[82:83], v80, off
	ds_load_b64 v[84:85], v79
	v_add_nc_u32_e32 v81, 1, v81
	v_add_nc_u32_e32 v79, 8, v79
	v_add_nc_u32_e32 v80, 8, v80
	s_delay_alu instid0(VALU_DEP_3)
	v_cmp_lt_u32_e32 vcc_lo, 3, v81
	s_or_b32 s2, vcc_lo, s2
	s_waitcnt vmcnt(0) lgkmcnt(0)
	v_fma_f64 v[73:74], v[82:83], v[84:85], v[73:74]
	s_and_not1_b32 exec_lo, exec_lo, s2
	s_cbranch_execnz .LBB35_391
; %bb.392:
	s_or_b32 exec_lo, exec_lo, s2
.LBB35_393:
	s_delay_alu instid0(SALU_CYCLE_1)
	s_or_b32 exec_lo, exec_lo, s1
	v_mov_b32_e32 v79, 0
	ds_load_b64 v[79:80], v79 offset:40
	s_waitcnt lgkmcnt(0)
	v_mul_f64 v[73:74], v[73:74], v[79:80]
	scratch_store_b64 off, v[73:74], off offset:40
.LBB35_394:
	;; [unrolled: 58-line block ×30, first 2 shown]
	s_or_b32 exec_lo, exec_lo, s0
	scratch_load_b64 v[73:74], off, off offset:272
	v_cmp_gt_u32_e64 s0, 34, v0
	s_waitcnt vmcnt(0)
	ds_store_b64 v76, v[73:74]
	s_waitcnt lgkmcnt(0)
	s_waitcnt_vscnt null, 0x0
	s_barrier
	buffer_gl0_inv
	s_and_saveexec_b32 s1, s0
	s_cbranch_execz .LBB35_684
; %bb.675:
	v_cmp_ne_u32_e32 vcc_lo, 1, v78
	s_cbranch_vccnz .LBB35_677
; %bb.676:
	scratch_load_b64 v[73:74], v77, off
	ds_load_b64 v[79:80], v76
	s_waitcnt vmcnt(0) lgkmcnt(0)
	v_mul_f64 v[73:74], v[73:74], v[79:80]
	s_cbranch_execz .LBB35_678
	s_branch .LBB35_679
.LBB35_677:
                                        ; implicit-def: $vgpr73_vgpr74
.LBB35_678:
	ds_load_b64 v[73:74], v76
.LBB35_679:
	s_mov_b32 s2, exec_lo
	v_cmpx_ne_u32_e32 33, v0
	s_cbranch_execz .LBB35_683
; %bb.680:
	v_add_nc_u32_e32 v79, 0x128, v75
	v_add3_u32 v80, 0, v75, 8
	v_mov_b32_e32 v81, v0
	s_mov_b32 s3, 0
.LBB35_681:                             ; =>This Inner Loop Header: Depth=1
	scratch_load_b64 v[82:83], v80, off
	ds_load_b64 v[84:85], v79
	v_add_nc_u32_e32 v81, 1, v81
	v_add_nc_u32_e32 v79, 8, v79
	;; [unrolled: 1-line block ×3, first 2 shown]
	s_delay_alu instid0(VALU_DEP_3)
	v_cmp_lt_u32_e32 vcc_lo, 32, v81
	s_or_b32 s3, vcc_lo, s3
	s_waitcnt vmcnt(0) lgkmcnt(0)
	v_fma_f64 v[73:74], v[82:83], v[84:85], v[73:74]
	s_and_not1_b32 exec_lo, exec_lo, s3
	s_cbranch_execnz .LBB35_681
; %bb.682:
	s_or_b32 exec_lo, exec_lo, s3
.LBB35_683:
	s_delay_alu instid0(SALU_CYCLE_1)
	s_or_b32 exec_lo, exec_lo, s2
	v_mov_b32_e32 v79, 0
	ds_load_b64 v[79:80], v79 offset:272
	s_waitcnt lgkmcnt(0)
	v_mul_f64 v[73:74], v[73:74], v[79:80]
	scratch_store_b64 off, v[73:74], off offset:272
.LBB35_684:
	s_or_b32 exec_lo, exec_lo, s1
	scratch_load_b64 v[73:74], off, off offset:280
	s_mov_b32 s1, exec_lo
	s_waitcnt vmcnt(0)
	ds_store_b64 v76, v[73:74]
	s_waitcnt lgkmcnt(0)
	s_waitcnt_vscnt null, 0x0
	s_barrier
	buffer_gl0_inv
	v_cmpx_ne_u32_e32 35, v0
	s_cbranch_execz .LBB35_694
; %bb.685:
	v_cmp_ne_u32_e32 vcc_lo, 1, v78
	s_cbranch_vccnz .LBB35_687
; %bb.686:
	scratch_load_b64 v[73:74], v77, off
	ds_load_b64 v[77:78], v76
	s_waitcnt vmcnt(0) lgkmcnt(0)
	v_mul_f64 v[73:74], v[73:74], v[77:78]
	s_cbranch_execz .LBB35_688
	s_branch .LBB35_689
.LBB35_687:
                                        ; implicit-def: $vgpr73_vgpr74
.LBB35_688:
	ds_load_b64 v[73:74], v76
.LBB35_689:
	s_and_saveexec_b32 s2, s0
	s_cbranch_execz .LBB35_693
; %bb.690:
	v_add_nc_u32_e32 v76, 0x128, v75
	v_add3_u32 v75, 0, v75, 8
	s_mov_b32 s0, 0
.LBB35_691:                             ; =>This Inner Loop Header: Depth=1
	scratch_load_b64 v[77:78], v75, off
	ds_load_b64 v[79:80], v76
	v_add_nc_u32_e32 v0, 1, v0
	v_add_nc_u32_e32 v76, 8, v76
	;; [unrolled: 1-line block ×3, first 2 shown]
	s_delay_alu instid0(VALU_DEP_3)
	v_cmp_lt_u32_e32 vcc_lo, 33, v0
	s_or_b32 s0, vcc_lo, s0
	s_waitcnt vmcnt(0) lgkmcnt(0)
	v_fma_f64 v[73:74], v[77:78], v[79:80], v[73:74]
	s_and_not1_b32 exec_lo, exec_lo, s0
	s_cbranch_execnz .LBB35_691
; %bb.692:
	s_or_b32 exec_lo, exec_lo, s0
.LBB35_693:
	s_delay_alu instid0(SALU_CYCLE_1)
	s_or_b32 exec_lo, exec_lo, s2
	v_mov_b32_e32 v0, 0
	ds_load_b64 v[75:76], v0 offset:280
	s_waitcnt lgkmcnt(0)
	v_mul_f64 v[73:74], v[73:74], v[75:76]
	scratch_store_b64 off, v[73:74], off offset:280
.LBB35_694:
	s_or_b32 exec_lo, exec_lo, s1
.LBB35_695:
	s_clause 0xa
	scratch_load_b128 v[73:76], off, off
	scratch_load_b128 v[77:80], off, off offset:16
	scratch_load_b128 v[81:84], off, off offset:32
	;; [unrolled: 1-line block ×10, first 2 shown]
	s_waitcnt vmcnt(10)
	s_clause 0x1
	global_store_b64 v[5:6], v[73:74], off
	global_store_b64 v[11:12], v[75:76], off
	scratch_load_b128 v[73:76], off, off offset:176
	s_waitcnt vmcnt(10)
	global_store_b64 v[7:8], v[77:78], off
	scratch_load_b128 v[5:8], off, off offset:192
	global_store_b64 v[9:10], v[79:80], off
	s_clause 0x1
	scratch_load_b128 v[9:12], off, off offset:208
	scratch_load_b128 v[77:80], off, off offset:224
	s_waitcnt vmcnt(12)
	s_clause 0x1
	global_store_b64 v[15:16], v[81:82], off
	global_store_b64 v[19:20], v[83:84], off
	scratch_load_b128 v[81:84], off, off offset:240
	s_waitcnt vmcnt(12)
	global_store_b64 v[17:18], v[85:86], off
	scratch_load_b128 v[15:18], off, off offset:256
	global_store_b64 v[13:14], v[87:88], off
	scratch_load_b128 v[85:88], off, off offset:272
	s_waitcnt vmcnt(13)
	s_clause 0x1
	global_store_b64 v[21:22], v[89:90], off
	global_store_b64 v[23:24], v[91:92], off
	s_waitcnt vmcnt(12)
	s_clause 0x1
	global_store_b64 v[25:26], v[93:94], off
	global_store_b64 v[27:28], v[95:96], off
	;; [unrolled: 4-line block ×14, first 2 shown]
.LBB35_696:
	s_endpgm
	.section	.rodata,"a",@progbits
	.p2align	6, 0x0
	.amdhsa_kernel _ZN9rocsolver6v33100L18trti2_kernel_smallILi36EdPdEEv13rocblas_fill_17rocblas_diagonal_T1_iil
		.amdhsa_group_segment_fixed_size 576
		.amdhsa_private_segment_fixed_size 304
		.amdhsa_kernarg_size 32
		.amdhsa_user_sgpr_count 15
		.amdhsa_user_sgpr_dispatch_ptr 0
		.amdhsa_user_sgpr_queue_ptr 0
		.amdhsa_user_sgpr_kernarg_segment_ptr 1
		.amdhsa_user_sgpr_dispatch_id 0
		.amdhsa_user_sgpr_private_segment_size 0
		.amdhsa_wavefront_size32 1
		.amdhsa_uses_dynamic_stack 0
		.amdhsa_enable_private_segment 1
		.amdhsa_system_sgpr_workgroup_id_x 1
		.amdhsa_system_sgpr_workgroup_id_y 0
		.amdhsa_system_sgpr_workgroup_id_z 0
		.amdhsa_system_sgpr_workgroup_info 0
		.amdhsa_system_vgpr_workitem_id 0
		.amdhsa_next_free_vgpr 122
		.amdhsa_next_free_sgpr 16
		.amdhsa_reserve_vcc 1
		.amdhsa_float_round_mode_32 0
		.amdhsa_float_round_mode_16_64 0
		.amdhsa_float_denorm_mode_32 3
		.amdhsa_float_denorm_mode_16_64 3
		.amdhsa_dx10_clamp 1
		.amdhsa_ieee_mode 1
		.amdhsa_fp16_overflow 0
		.amdhsa_workgroup_processor_mode 1
		.amdhsa_memory_ordered 1
		.amdhsa_forward_progress 0
		.amdhsa_shared_vgpr_count 0
		.amdhsa_exception_fp_ieee_invalid_op 0
		.amdhsa_exception_fp_denorm_src 0
		.amdhsa_exception_fp_ieee_div_zero 0
		.amdhsa_exception_fp_ieee_overflow 0
		.amdhsa_exception_fp_ieee_underflow 0
		.amdhsa_exception_fp_ieee_inexact 0
		.amdhsa_exception_int_div_zero 0
	.end_amdhsa_kernel
	.section	.text._ZN9rocsolver6v33100L18trti2_kernel_smallILi36EdPdEEv13rocblas_fill_17rocblas_diagonal_T1_iil,"axG",@progbits,_ZN9rocsolver6v33100L18trti2_kernel_smallILi36EdPdEEv13rocblas_fill_17rocblas_diagonal_T1_iil,comdat
.Lfunc_end35:
	.size	_ZN9rocsolver6v33100L18trti2_kernel_smallILi36EdPdEEv13rocblas_fill_17rocblas_diagonal_T1_iil, .Lfunc_end35-_ZN9rocsolver6v33100L18trti2_kernel_smallILi36EdPdEEv13rocblas_fill_17rocblas_diagonal_T1_iil
                                        ; -- End function
	.section	.AMDGPU.csdata,"",@progbits
; Kernel info:
; codeLenInByte = 19520
; NumSgprs: 18
; NumVgprs: 122
; ScratchSize: 304
; MemoryBound: 0
; FloatMode: 240
; IeeeMode: 1
; LDSByteSize: 576 bytes/workgroup (compile time only)
; SGPRBlocks: 2
; VGPRBlocks: 15
; NumSGPRsForWavesPerEU: 18
; NumVGPRsForWavesPerEU: 122
; Occupancy: 10
; WaveLimiterHint : 0
; COMPUTE_PGM_RSRC2:SCRATCH_EN: 1
; COMPUTE_PGM_RSRC2:USER_SGPR: 15
; COMPUTE_PGM_RSRC2:TRAP_HANDLER: 0
; COMPUTE_PGM_RSRC2:TGID_X_EN: 1
; COMPUTE_PGM_RSRC2:TGID_Y_EN: 0
; COMPUTE_PGM_RSRC2:TGID_Z_EN: 0
; COMPUTE_PGM_RSRC2:TIDIG_COMP_CNT: 0
	.section	.text._ZN9rocsolver6v33100L18trti2_kernel_smallILi37EdPdEEv13rocblas_fill_17rocblas_diagonal_T1_iil,"axG",@progbits,_ZN9rocsolver6v33100L18trti2_kernel_smallILi37EdPdEEv13rocblas_fill_17rocblas_diagonal_T1_iil,comdat
	.globl	_ZN9rocsolver6v33100L18trti2_kernel_smallILi37EdPdEEv13rocblas_fill_17rocblas_diagonal_T1_iil ; -- Begin function _ZN9rocsolver6v33100L18trti2_kernel_smallILi37EdPdEEv13rocblas_fill_17rocblas_diagonal_T1_iil
	.p2align	8
	.type	_ZN9rocsolver6v33100L18trti2_kernel_smallILi37EdPdEEv13rocblas_fill_17rocblas_diagonal_T1_iil,@function
_ZN9rocsolver6v33100L18trti2_kernel_smallILi37EdPdEEv13rocblas_fill_17rocblas_diagonal_T1_iil: ; @_ZN9rocsolver6v33100L18trti2_kernel_smallILi37EdPdEEv13rocblas_fill_17rocblas_diagonal_T1_iil
; %bb.0:
	s_mov_b32 s2, exec_lo
	v_cmpx_gt_u32_e32 37, v0
	s_cbranch_execz .LBB36_716
; %bb.1:
	s_load_b256 s[0:7], s[0:1], 0x0
	s_ashr_i32 s10, s15, 31
	v_lshlrev_b32_e32 v87, 3, v0
	s_waitcnt lgkmcnt(0)
	v_add3_u32 v1, s5, s5, v0
	s_ashr_i32 s9, s4, 31
	s_mov_b32 s8, s4
	s_mul_i32 s4, s15, s7
	s_mul_hi_u32 s7, s15, s6
	v_add_nc_u32_e32 v3, s5, v1
	s_mul_i32 s11, s10, s6
	s_add_i32 s4, s7, s4
	s_mul_i32 s6, s15, s6
	s_add_i32 s7, s4, s11
	v_add_nc_u32_e32 v7, s5, v3
	s_lshl_b64 s[6:7], s[6:7], 3
	v_ashrrev_i32_e32 v2, 31, v1
	s_add_u32 s4, s2, s6
	s_addc_u32 s6, s3, s7
	s_lshl_b64 s[2:3], s[8:9], 3
	v_add_nc_u32_e32 v9, s5, v7
	s_add_u32 s2, s4, s2
	v_ashrrev_i32_e32 v4, 31, v3
	s_addc_u32 s3, s6, s3
	v_add_co_u32 v19, s4, s2, v87
	s_mov_b32 s10, s5
	s_ashr_i32 s11, s5, 31
	v_lshlrev_b64 v[5:6], 3, v[1:2]
	v_add_co_ci_u32_e64 v20, null, s3, 0, s4
	v_add_nc_u32_e32 v11, s5, v9
	s_lshl_b64 s[6:7], s[10:11], 3
	v_lshlrev_b64 v[3:4], 3, v[3:4]
	v_ashrrev_i32_e32 v8, 31, v7
	v_add_co_u32 v23, vcc_lo, v19, s6
	v_add_co_ci_u32_e32 v24, vcc_lo, s7, v20, vcc_lo
	v_add_nc_u32_e32 v25, s5, v11
	v_add_co_u32 v15, vcc_lo, s2, v5
	v_ashrrev_i32_e32 v10, 31, v9
	v_add_co_ci_u32_e32 v16, vcc_lo, s3, v6, vcc_lo
	v_lshlrev_b64 v[5:6], 3, v[7:8]
	v_add_co_u32 v13, vcc_lo, s2, v3
	v_ashrrev_i32_e32 v12, 31, v11
	v_add_nc_u32_e32 v27, s5, v25
	v_add_co_ci_u32_e32 v14, vcc_lo, s3, v4, vcc_lo
	v_lshlrev_b64 v[3:4], 3, v[9:10]
	v_ashrrev_i32_e32 v26, 31, v25
	v_add_co_u32 v17, vcc_lo, s2, v5
	v_lshlrev_b64 v[29:30], 3, v[11:12]
	v_add_nc_u32_e32 v33, s5, v27
	v_add_co_ci_u32_e32 v18, vcc_lo, s3, v6, vcc_lo
	v_add_co_u32 v21, vcc_lo, s2, v3
	v_lshlrev_b64 v[31:32], 3, v[25:26]
	v_add_co_ci_u32_e32 v22, vcc_lo, s3, v4, vcc_lo
	v_add_co_u32 v25, vcc_lo, s2, v29
	v_ashrrev_i32_e32 v34, 31, v33
	v_add_nc_u32_e32 v35, s5, v33
	v_add_co_ci_u32_e32 v26, vcc_lo, s3, v30, vcc_lo
	v_ashrrev_i32_e32 v28, 31, v27
	v_add_co_u32 v29, vcc_lo, s2, v31
	v_add_co_ci_u32_e32 v30, vcc_lo, s3, v32, vcc_lo
	v_lshlrev_b64 v[31:32], 3, v[33:34]
	v_add_nc_u32_e32 v33, s5, v35
	v_lshlrev_b64 v[27:28], 3, v[27:28]
	v_ashrrev_i32_e32 v36, 31, v35
	s_clause 0x4
	global_load_b64 v[1:2], v87, s[2:3]
	global_load_b64 v[3:4], v[23:24], off
	global_load_b64 v[5:6], v[15:16], off
	global_load_b64 v[7:8], v[13:14], off
	global_load_b64 v[9:10], v[17:18], off
	v_add_nc_u32_e32 v37, s5, v33
	v_ashrrev_i32_e32 v34, 31, v33
	v_add_co_u32 v27, vcc_lo, s2, v27
	v_lshlrev_b64 v[35:36], 3, v[35:36]
	s_delay_alu instid0(VALU_DEP_4)
	v_add_nc_u32_e32 v41, s5, v37
	v_add_co_ci_u32_e32 v28, vcc_lo, s3, v28, vcc_lo
	v_add_co_u32 v31, vcc_lo, s2, v31
	v_lshlrev_b64 v[39:40], 3, v[33:34]
	v_add_co_ci_u32_e32 v32, vcc_lo, s3, v32, vcc_lo
	v_add_co_u32 v33, vcc_lo, s2, v35
	v_ashrrev_i32_e32 v42, 31, v41
	v_add_nc_u32_e32 v43, s5, v41
	v_add_co_ci_u32_e32 v34, vcc_lo, s3, v36, vcc_lo
	v_ashrrev_i32_e32 v38, 31, v37
	v_add_co_u32 v35, vcc_lo, s2, v39
	v_add_co_ci_u32_e32 v36, vcc_lo, s3, v40, vcc_lo
	v_lshlrev_b64 v[39:40], 3, v[41:42]
	v_add_nc_u32_e32 v41, s5, v43
	v_lshlrev_b64 v[37:38], 3, v[37:38]
	v_ashrrev_i32_e32 v44, 31, v43
	global_load_b64 v[11:12], v[21:22], off
	s_cmpk_lg_i32 s1, 0x84
	v_add_nc_u32_e32 v45, s5, v41
	v_ashrrev_i32_e32 v42, 31, v41
	v_add_co_u32 v37, vcc_lo, s2, v37
	v_lshlrev_b64 v[43:44], 3, v[43:44]
	s_delay_alu instid0(VALU_DEP_4)
	v_add_nc_u32_e32 v49, s5, v45
	v_add_co_ci_u32_e32 v38, vcc_lo, s3, v38, vcc_lo
	v_add_co_u32 v39, vcc_lo, s2, v39
	v_lshlrev_b64 v[47:48], 3, v[41:42]
	v_ashrrev_i32_e32 v46, 31, v45
	v_add_co_ci_u32_e32 v40, vcc_lo, s3, v40, vcc_lo
	v_add_co_u32 v41, vcc_lo, s2, v43
	v_ashrrev_i32_e32 v50, 31, v49
	v_add_co_ci_u32_e32 v42, vcc_lo, s3, v44, vcc_lo
	v_lshlrev_b64 v[45:46], 3, v[45:46]
	v_add_co_u32 v43, vcc_lo, s2, v47
	v_add_co_ci_u32_e32 v44, vcc_lo, s3, v48, vcc_lo
	v_lshlrev_b64 v[47:48], 3, v[49:50]
	s_delay_alu instid0(VALU_DEP_4)
	v_add_co_u32 v45, vcc_lo, s2, v45
	v_add_co_ci_u32_e32 v46, vcc_lo, s3, v46, vcc_lo
	s_clause 0x7
	global_load_b64 v[88:89], v[25:26], off
	global_load_b64 v[90:91], v[29:30], off
	;; [unrolled: 1-line block ×8, first 2 shown]
	v_add_co_u32 v47, vcc_lo, s2, v47
	v_add_co_ci_u32_e32 v48, vcc_lo, s3, v48, vcc_lo
	s_clause 0x3
	global_load_b64 v[104:105], v[41:42], off
	global_load_b64 v[106:107], v[43:44], off
	;; [unrolled: 1-line block ×4, first 2 shown]
	v_add_nc_u32_e32 v49, s5, v49
	s_delay_alu instid0(VALU_DEP_1) | instskip(SKIP_1) | instid1(VALU_DEP_2)
	v_add_nc_u32_e32 v51, s5, v49
	v_ashrrev_i32_e32 v50, 31, v49
	v_add_nc_u32_e32 v53, s5, v51
	v_ashrrev_i32_e32 v52, 31, v51
	s_delay_alu instid0(VALU_DEP_3) | instskip(NEXT) | instid1(VALU_DEP_3)
	v_lshlrev_b64 v[49:50], 3, v[49:50]
	v_add_nc_u32_e32 v55, s5, v53
	v_ashrrev_i32_e32 v54, 31, v53
	s_delay_alu instid0(VALU_DEP_4) | instskip(NEXT) | instid1(VALU_DEP_4)
	v_lshlrev_b64 v[51:52], 3, v[51:52]
	v_add_co_u32 v49, vcc_lo, s2, v49
	s_delay_alu instid0(VALU_DEP_4) | instskip(SKIP_3) | instid1(VALU_DEP_4)
	v_add_nc_u32_e32 v57, s5, v55
	v_ashrrev_i32_e32 v56, 31, v55
	v_lshlrev_b64 v[53:54], 3, v[53:54]
	v_add_co_ci_u32_e32 v50, vcc_lo, s3, v50, vcc_lo
	v_add_nc_u32_e32 v59, s5, v57
	v_ashrrev_i32_e32 v58, 31, v57
	v_add_co_u32 v51, vcc_lo, s2, v51
	v_lshlrev_b64 v[55:56], 3, v[55:56]
	s_delay_alu instid0(VALU_DEP_4) | instskip(SKIP_3) | instid1(VALU_DEP_4)
	v_add_nc_u32_e32 v61, s5, v59
	v_ashrrev_i32_e32 v60, 31, v59
	v_add_co_ci_u32_e32 v52, vcc_lo, s3, v52, vcc_lo
	v_add_co_u32 v53, vcc_lo, s2, v53
	v_add_nc_u32_e32 v63, s5, v61
	v_lshlrev_b64 v[57:58], 3, v[57:58]
	v_ashrrev_i32_e32 v62, 31, v61
	v_add_co_ci_u32_e32 v54, vcc_lo, s3, v54, vcc_lo
	s_delay_alu instid0(VALU_DEP_4) | instskip(SKIP_3) | instid1(VALU_DEP_4)
	v_add_nc_u32_e32 v65, s5, v63
	v_add_co_u32 v55, vcc_lo, s2, v55
	v_lshlrev_b64 v[59:60], 3, v[59:60]
	v_ashrrev_i32_e32 v64, 31, v63
	v_add_nc_u32_e32 v67, s5, v65
	v_add_co_ci_u32_e32 v56, vcc_lo, s3, v56, vcc_lo
	v_add_co_u32 v57, vcc_lo, s2, v57
	s_delay_alu instid0(VALU_DEP_3) | instskip(SKIP_3) | instid1(VALU_DEP_4)
	v_add_nc_u32_e32 v69, s5, v67
	v_lshlrev_b64 v[61:62], 3, v[61:62]
	v_ashrrev_i32_e32 v66, 31, v65
	v_add_co_ci_u32_e32 v58, vcc_lo, s3, v58, vcc_lo
	v_add_nc_u32_e32 v71, s5, v69
	v_add_co_u32 v59, vcc_lo, s2, v59
	v_lshlrev_b64 v[63:64], 3, v[63:64]
	v_ashrrev_i32_e32 v68, 31, v67
	s_delay_alu instid0(VALU_DEP_4) | instskip(SKIP_2) | instid1(VALU_DEP_3)
	v_add_nc_u32_e32 v73, s5, v71
	v_add_co_ci_u32_e32 v60, vcc_lo, s3, v60, vcc_lo
	v_add_co_u32 v61, vcc_lo, s2, v61
	v_add_nc_u32_e32 v75, s5, v73
	v_lshlrev_b64 v[65:66], 3, v[65:66]
	v_ashrrev_i32_e32 v70, 31, v69
	v_add_co_ci_u32_e32 v62, vcc_lo, s3, v62, vcc_lo
	s_delay_alu instid0(VALU_DEP_4)
	v_add_nc_u32_e32 v77, s5, v75
	v_add_co_u32 v63, vcc_lo, s2, v63
	v_lshlrev_b64 v[67:68], 3, v[67:68]
	v_ashrrev_i32_e32 v72, 31, v71
	v_add_co_ci_u32_e32 v64, vcc_lo, s3, v64, vcc_lo
	v_add_nc_u32_e32 v79, s5, v77
	v_add_co_u32 v65, vcc_lo, s2, v65
	v_lshlrev_b64 v[69:70], 3, v[69:70]
	v_ashrrev_i32_e32 v74, 31, v73
	v_add_co_ci_u32_e32 v66, vcc_lo, s3, v66, vcc_lo
	v_add_co_u32 v67, vcc_lo, s2, v67
	v_lshlrev_b64 v[71:72], 3, v[71:72]
	v_ashrrev_i32_e32 v76, 31, v75
	v_add_nc_u32_e32 v81, s5, v79
	v_add_co_ci_u32_e32 v68, vcc_lo, s3, v68, vcc_lo
	v_add_co_u32 v69, vcc_lo, s2, v69
	v_lshlrev_b64 v[73:74], 3, v[73:74]
	v_ashrrev_i32_e32 v78, 31, v77
	v_add_co_ci_u32_e32 v70, vcc_lo, s3, v70, vcc_lo
	v_add_co_u32 v71, vcc_lo, s2, v71
	v_lshlrev_b64 v[75:76], 3, v[75:76]
	v_add_nc_u32_e32 v83, s5, v81
	v_ashrrev_i32_e32 v80, 31, v79
	v_add_co_ci_u32_e32 v72, vcc_lo, s3, v72, vcc_lo
	v_add_co_u32 v73, vcc_lo, s2, v73
	v_lshlrev_b64 v[77:78], 3, v[77:78]
	v_ashrrev_i32_e32 v82, 31, v81
	v_add_co_ci_u32_e32 v74, vcc_lo, s3, v74, vcc_lo
	v_add_nc_u32_e32 v85, s5, v83
	v_add_co_u32 v75, vcc_lo, s2, v75
	v_lshlrev_b64 v[79:80], 3, v[79:80]
	v_ashrrev_i32_e32 v84, 31, v83
	v_add_co_ci_u32_e32 v76, vcc_lo, s3, v76, vcc_lo
	v_add_co_u32 v77, vcc_lo, s2, v77
	v_lshlrev_b64 v[81:82], 3, v[81:82]
	v_ashrrev_i32_e32 v86, 31, v85
	v_add_co_ci_u32_e32 v78, vcc_lo, s3, v78, vcc_lo
	v_add_co_u32 v79, vcc_lo, s2, v79
	v_lshlrev_b64 v[83:84], 3, v[83:84]
	v_add_co_ci_u32_e32 v80, vcc_lo, s3, v80, vcc_lo
	v_add_co_u32 v81, vcc_lo, s2, v81
	v_lshlrev_b64 v[85:86], 3, v[85:86]
	v_add_co_ci_u32_e32 v82, vcc_lo, s3, v82, vcc_lo
	v_add_co_u32 v83, vcc_lo, s2, v83
	v_add_co_ci_u32_e32 v84, vcc_lo, s3, v84, vcc_lo
	s_delay_alu instid0(VALU_DEP_4)
	v_add_co_u32 v85, vcc_lo, s2, v85
	v_add_co_ci_u32_e32 v86, vcc_lo, s3, v86, vcc_lo
	s_cselect_b32 s3, -1, 0
	s_cmpk_eq_i32 s1, 0x84
	s_waitcnt vmcnt(16)
	scratch_store_b128 off, v[1:4], off
	s_clause 0x2
	global_load_b64 v[1:2], v[49:50], off
	global_load_b64 v[3:4], v[51:52], off
	global_load_b64 v[112:113], v[53:54], off
	s_waitcnt vmcnt(17)
	scratch_store_b128 off, v[5:8], off offset:16
	s_waitcnt vmcnt(15)
	scratch_store_b128 off, v[9:12], off offset:32
	s_clause 0x3
	global_load_b64 v[114:115], v[55:56], off
	global_load_b64 v[5:6], v[57:58], off
	global_load_b64 v[7:8], v[59:60], off
	global_load_b64 v[9:10], v[61:62], off
	s_waitcnt vmcnt(17)
	scratch_store_b128 off, v[88:91], off offset:48
	s_waitcnt vmcnt(15)
	scratch_store_b128 off, v[92:95], off offset:64
	s_clause 0x3
	global_load_b64 v[11:12], v[63:64], off
	;; [unrolled: 9-line block ×4, first 2 shown]
	global_load_b64 v[104:105], v[81:82], off
	global_load_b64 v[106:107], v[83:84], off
	;; [unrolled: 1-line block ×3, first 2 shown]
	s_waitcnt vmcnt(17)
	scratch_store_b128 off, v[1:4], off offset:144
	s_waitcnt vmcnt(15)
	scratch_store_b128 off, v[112:115], off offset:160
	s_waitcnt vmcnt(13)
	scratch_store_b128 off, v[5:8], off offset:176
	s_waitcnt vmcnt(11)
	scratch_store_b128 off, v[9:12], off offset:192
	s_waitcnt vmcnt(9)
	scratch_store_b128 off, v[88:91], off offset:208
	s_waitcnt vmcnt(7)
	scratch_store_b128 off, v[92:95], off offset:224
	s_waitcnt vmcnt(5)
	scratch_store_b128 off, v[96:99], off offset:240
	v_mov_b32_e32 v1, 0
	v_mov_b32_e32 v2, 0xbff00000
	s_waitcnt vmcnt(3)
	scratch_store_b128 off, v[100:103], off offset:256
	s_waitcnt vmcnt(1)
	scratch_store_b128 off, v[104:107], off offset:272
	s_waitcnt vmcnt(0)
	scratch_store_b64 off, v[108:109], off offset:288
	s_cbranch_scc1 .LBB36_3
; %bb.2:
	scratch_load_b64 v[1:2], v87, off
	s_waitcnt vmcnt(0)
	v_div_scale_f64 v[3:4], null, v[1:2], v[1:2], 1.0
	v_div_scale_f64 v[9:10], vcc_lo, 1.0, v[1:2], 1.0
	s_delay_alu instid0(VALU_DEP_2) | instskip(SKIP_2) | instid1(VALU_DEP_1)
	v_rcp_f64_e32 v[5:6], v[3:4]
	s_waitcnt_depctr 0xfff
	v_fma_f64 v[7:8], -v[3:4], v[5:6], 1.0
	v_fma_f64 v[5:6], v[5:6], v[7:8], v[5:6]
	s_delay_alu instid0(VALU_DEP_1) | instskip(NEXT) | instid1(VALU_DEP_1)
	v_fma_f64 v[7:8], -v[3:4], v[5:6], 1.0
	v_fma_f64 v[5:6], v[5:6], v[7:8], v[5:6]
	s_delay_alu instid0(VALU_DEP_1) | instskip(NEXT) | instid1(VALU_DEP_1)
	v_mul_f64 v[7:8], v[9:10], v[5:6]
	v_fma_f64 v[3:4], -v[3:4], v[7:8], v[9:10]
	s_delay_alu instid0(VALU_DEP_1) | instskip(NEXT) | instid1(VALU_DEP_1)
	v_div_fmas_f64 v[3:4], v[3:4], v[5:6], v[7:8]
	v_div_fixup_f64 v[1:2], v[3:4], v[1:2], 1.0
	scratch_store_b64 v87, v[1:2], off
	v_xor_b32_e32 v2, 0x80000000, v2
.LBB36_3:
	v_add_nc_u32_e32 v3, 0x130, v87
	v_add_nc_u32_e32 v4, 0, v87
	s_cmpk_eq_i32 s0, 0x79
	s_mov_b32 s0, -1
	ds_store_b64 v87, v[1:2]
	s_cbranch_scc1 .LBB36_359
; %bb.4:
	scratch_load_b64 v[1:2], off, off offset:280
	v_cmp_eq_u32_e64 s0, 36, v0
	s_movk_i32 s1, 0x50
	s_movk_i32 s2, 0x60
	;; [unrolled: 1-line block ×13, first 2 shown]
	s_waitcnt vmcnt(0)
	ds_store_b64 v3, v[1:2]
	s_waitcnt lgkmcnt(0)
	s_waitcnt_vscnt null, 0x0
	s_barrier
	buffer_gl0_inv
	s_and_saveexec_b32 s15, s0
	s_cbranch_execz .LBB36_10
; %bb.5:
	s_and_b32 vcc_lo, exec_lo, s3
	s_cbranch_vccz .LBB36_7
; %bb.6:
	scratch_load_b64 v[1:2], v4, off
	ds_load_b64 v[5:6], v3
	s_waitcnt vmcnt(0) lgkmcnt(0)
	v_mul_f64 v[1:2], v[1:2], v[5:6]
	s_cbranch_execz .LBB36_8
	s_branch .LBB36_9
.LBB36_7:
                                        ; implicit-def: $vgpr1_vgpr2
.LBB36_8:
	ds_load_b64 v[1:2], v3
.LBB36_9:
	v_mov_b32_e32 v5, 0
	ds_load_b64 v[5:6], v5 offset:280
	s_waitcnt lgkmcnt(0)
	v_mul_f64 v[1:2], v[1:2], v[5:6]
	scratch_store_b64 off, v[1:2], off offset:280
.LBB36_10:
	s_or_b32 exec_lo, exec_lo, s15
	scratch_load_b64 v[1:2], off, off offset:272
	v_add_nc_u32_e64 v5, 0, 16
	v_add_nc_u32_e64 v6, 0, 32
	;; [unrolled: 1-line block ×17, first 2 shown]
	v_cmp_lt_u32_e64 s2, 34, v0
	s_waitcnt vmcnt(0)
	ds_store_b64 v3, v[1:2]
	s_waitcnt lgkmcnt(0)
	s_waitcnt_vscnt null, 0x0
	s_barrier
	buffer_gl0_inv
	s_and_saveexec_b32 s1, s2
	s_cbranch_execz .LBB36_18
; %bb.11:
	s_and_not1_b32 vcc_lo, exec_lo, s3
	s_cbranch_vccnz .LBB36_13
; %bb.12:
	scratch_load_b64 v[1:2], v4, off
	ds_load_b64 v[97:98], v3
	s_waitcnt vmcnt(0) lgkmcnt(0)
	v_mul_f64 v[1:2], v[1:2], v[97:98]
	s_cbranch_execz .LBB36_14
	s_branch .LBB36_15
.LBB36_13:
                                        ; implicit-def: $vgpr1_vgpr2
.LBB36_14:
	ds_load_b64 v[1:2], v3
.LBB36_15:
	s_and_saveexec_b32 s4, s0
	s_cbranch_execz .LBB36_17
; %bb.16:
	scratch_load_b64 v[97:98], off, off offset:280
	v_mov_b32_e32 v99, 0
	ds_load_b64 v[99:100], v99 offset:584
	s_waitcnt vmcnt(0) lgkmcnt(0)
	v_fma_f64 v[1:2], v[97:98], v[99:100], v[1:2]
.LBB36_17:
	s_or_b32 exec_lo, exec_lo, s4
	v_mov_b32_e32 v97, 0
	ds_load_b64 v[97:98], v97 offset:272
	s_waitcnt lgkmcnt(0)
	v_mul_f64 v[1:2], v[1:2], v[97:98]
	scratch_store_b64 off, v[1:2], off offset:272
.LBB36_18:
	s_or_b32 exec_lo, exec_lo, s1
	scratch_load_b64 v[1:2], off, off offset:264
	v_cmp_lt_u32_e64 s1, 33, v0
	s_waitcnt vmcnt(0)
	ds_store_b64 v3, v[1:2]
	s_waitcnt lgkmcnt(0)
	s_waitcnt_vscnt null, 0x0
	s_barrier
	buffer_gl0_inv
	s_and_saveexec_b32 s0, s1
	s_cbranch_execz .LBB36_28
; %bb.19:
	s_and_not1_b32 vcc_lo, exec_lo, s3
	s_cbranch_vccnz .LBB36_21
; %bb.20:
	scratch_load_b64 v[1:2], v4, off
	ds_load_b64 v[97:98], v3
	s_waitcnt vmcnt(0) lgkmcnt(0)
	v_mul_f64 v[1:2], v[1:2], v[97:98]
	s_cbranch_execz .LBB36_22
	s_branch .LBB36_23
.LBB36_21:
                                        ; implicit-def: $vgpr1_vgpr2
.LBB36_22:
	ds_load_b64 v[1:2], v3
.LBB36_23:
	s_and_saveexec_b32 s4, s2
	s_cbranch_execz .LBB36_27
; %bb.24:
	v_subrev_nc_u32_e32 v97, 34, v0
	s_movk_i32 s5, 0x240
	s_mov_b32 s2, 0
.LBB36_25:                              ; =>This Inner Loop Header: Depth=1
	scratch_load_b64 v[98:99], v96, off
	v_dual_mov_b32 v100, s5 :: v_dual_add_nc_u32 v97, -1, v97
	v_add_nc_u32_e32 v96, 8, v96
	s_add_i32 s5, s5, 8
	ds_load_b64 v[100:101], v100
	v_cmp_eq_u32_e32 vcc_lo, 0, v97
	s_or_b32 s2, vcc_lo, s2
	s_waitcnt vmcnt(0) lgkmcnt(0)
	v_fma_f64 v[1:2], v[98:99], v[100:101], v[1:2]
	s_and_not1_b32 exec_lo, exec_lo, s2
	s_cbranch_execnz .LBB36_25
; %bb.26:
	s_or_b32 exec_lo, exec_lo, s2
.LBB36_27:
	s_delay_alu instid0(SALU_CYCLE_1)
	s_or_b32 exec_lo, exec_lo, s4
	v_mov_b32_e32 v96, 0
	ds_load_b64 v[96:97], v96 offset:264
	s_waitcnt lgkmcnt(0)
	v_mul_f64 v[1:2], v[1:2], v[96:97]
	scratch_store_b64 off, v[1:2], off offset:264
.LBB36_28:
	s_or_b32 exec_lo, exec_lo, s0
	scratch_load_b64 v[1:2], off, off offset:256
	v_cmp_lt_u32_e64 s0, 32, v0
	s_waitcnt vmcnt(0)
	ds_store_b64 v3, v[1:2]
	s_waitcnt lgkmcnt(0)
	s_waitcnt_vscnt null, 0x0
	s_barrier
	buffer_gl0_inv
	s_and_saveexec_b32 s2, s0
	s_cbranch_execz .LBB36_38
; %bb.29:
	s_and_not1_b32 vcc_lo, exec_lo, s3
	s_cbranch_vccnz .LBB36_31
; %bb.30:
	scratch_load_b64 v[1:2], v4, off
	ds_load_b64 v[96:97], v3
	s_waitcnt vmcnt(0) lgkmcnt(0)
	v_mul_f64 v[1:2], v[1:2], v[96:97]
	s_cbranch_execz .LBB36_32
	s_branch .LBB36_33
.LBB36_31:
                                        ; implicit-def: $vgpr1_vgpr2
.LBB36_32:
	ds_load_b64 v[1:2], v3
.LBB36_33:
	s_and_saveexec_b32 s4, s1
	s_cbranch_execz .LBB36_37
; %bb.34:
	v_mov_b32_e32 v96, 0
	v_subrev_nc_u32_e32 v97, 33, v0
	s_movk_i32 s5, 0x238
	s_mov_b32 s1, 0
	s_delay_alu instid0(VALU_DEP_2)
	v_add_nc_u32_e32 v96, 0x108, v96
.LBB36_35:                              ; =>This Inner Loop Header: Depth=1
	scratch_load_b64 v[98:99], v96, off
	v_dual_mov_b32 v100, s5 :: v_dual_add_nc_u32 v97, -1, v97
	v_add_nc_u32_e32 v96, 8, v96
	s_add_i32 s5, s5, 8
	ds_load_b64 v[100:101], v100
	v_cmp_eq_u32_e32 vcc_lo, 0, v97
	s_or_b32 s1, vcc_lo, s1
	s_waitcnt vmcnt(0) lgkmcnt(0)
	v_fma_f64 v[1:2], v[98:99], v[100:101], v[1:2]
	s_and_not1_b32 exec_lo, exec_lo, s1
	s_cbranch_execnz .LBB36_35
; %bb.36:
	s_or_b32 exec_lo, exec_lo, s1
.LBB36_37:
	s_delay_alu instid0(SALU_CYCLE_1)
	s_or_b32 exec_lo, exec_lo, s4
	v_mov_b32_e32 v96, 0
	ds_load_b64 v[96:97], v96 offset:256
	s_waitcnt lgkmcnt(0)
	v_mul_f64 v[1:2], v[1:2], v[96:97]
	scratch_store_b64 off, v[1:2], off offset:256
.LBB36_38:
	s_or_b32 exec_lo, exec_lo, s2
	scratch_load_b64 v[1:2], off, off offset:248
	v_cmp_lt_u32_e64 s1, 31, v0
	s_waitcnt vmcnt(0)
	ds_store_b64 v3, v[1:2]
	s_waitcnt lgkmcnt(0)
	s_waitcnt_vscnt null, 0x0
	s_barrier
	buffer_gl0_inv
	s_and_saveexec_b32 s2, s1
	s_cbranch_execz .LBB36_48
; %bb.39:
	s_and_not1_b32 vcc_lo, exec_lo, s3
	s_cbranch_vccnz .LBB36_41
; %bb.40:
	scratch_load_b64 v[1:2], v4, off
	ds_load_b64 v[96:97], v3
	s_waitcnt vmcnt(0) lgkmcnt(0)
	v_mul_f64 v[1:2], v[1:2], v[96:97]
	s_cbranch_execz .LBB36_42
	s_branch .LBB36_43
.LBB36_41:
                                        ; implicit-def: $vgpr1_vgpr2
.LBB36_42:
	ds_load_b64 v[1:2], v3
.LBB36_43:
	s_and_saveexec_b32 s4, s0
	s_cbranch_execz .LBB36_47
; %bb.44:
	v_subrev_nc_u32_e32 v96, 32, v0
	s_movk_i32 s5, 0x230
	s_mov_b32 s0, 0
.LBB36_45:                              ; =>This Inner Loop Header: Depth=1
	scratch_load_b64 v[97:98], v95, off
	v_dual_mov_b32 v99, s5 :: v_dual_add_nc_u32 v96, -1, v96
	v_add_nc_u32_e32 v95, 8, v95
	s_add_i32 s5, s5, 8
	ds_load_b64 v[99:100], v99
	v_cmp_eq_u32_e32 vcc_lo, 0, v96
	s_or_b32 s0, vcc_lo, s0
	s_waitcnt vmcnt(0) lgkmcnt(0)
	v_fma_f64 v[1:2], v[97:98], v[99:100], v[1:2]
	s_and_not1_b32 exec_lo, exec_lo, s0
	s_cbranch_execnz .LBB36_45
; %bb.46:
	s_or_b32 exec_lo, exec_lo, s0
.LBB36_47:
	s_delay_alu instid0(SALU_CYCLE_1)
	s_or_b32 exec_lo, exec_lo, s4
	v_mov_b32_e32 v95, 0
	ds_load_b64 v[95:96], v95 offset:248
	s_waitcnt lgkmcnt(0)
	v_mul_f64 v[1:2], v[1:2], v[95:96]
	scratch_store_b64 off, v[1:2], off offset:248
.LBB36_48:
	s_or_b32 exec_lo, exec_lo, s2
	scratch_load_b64 v[1:2], off, off offset:240
	v_cmp_lt_u32_e64 s0, 30, v0
	s_waitcnt vmcnt(0)
	ds_store_b64 v3, v[1:2]
	s_waitcnt lgkmcnt(0)
	s_waitcnt_vscnt null, 0x0
	s_barrier
	buffer_gl0_inv
	s_and_saveexec_b32 s2, s0
	s_cbranch_execz .LBB36_58
; %bb.49:
	s_and_not1_b32 vcc_lo, exec_lo, s3
	s_cbranch_vccnz .LBB36_51
; %bb.50:
	scratch_load_b64 v[1:2], v4, off
	ds_load_b64 v[95:96], v3
	s_waitcnt vmcnt(0) lgkmcnt(0)
	v_mul_f64 v[1:2], v[1:2], v[95:96]
	s_cbranch_execz .LBB36_52
	s_branch .LBB36_53
.LBB36_51:
                                        ; implicit-def: $vgpr1_vgpr2
.LBB36_52:
	ds_load_b64 v[1:2], v3
.LBB36_53:
	s_and_saveexec_b32 s4, s1
	s_cbranch_execz .LBB36_57
; %bb.54:
	v_mov_b32_e32 v95, 0
	v_subrev_nc_u32_e32 v96, 31, v0
	s_movk_i32 s5, 0x228
	s_mov_b32 s1, 0
	s_delay_alu instid0(VALU_DEP_2)
	v_add_nc_u32_e32 v95, 0xf8, v95
.LBB36_55:                              ; =>This Inner Loop Header: Depth=1
	scratch_load_b64 v[97:98], v95, off
	v_dual_mov_b32 v99, s5 :: v_dual_add_nc_u32 v96, -1, v96
	v_add_nc_u32_e32 v95, 8, v95
	s_add_i32 s5, s5, 8
	ds_load_b64 v[99:100], v99
	v_cmp_eq_u32_e32 vcc_lo, 0, v96
	s_or_b32 s1, vcc_lo, s1
	s_waitcnt vmcnt(0) lgkmcnt(0)
	v_fma_f64 v[1:2], v[97:98], v[99:100], v[1:2]
	s_and_not1_b32 exec_lo, exec_lo, s1
	s_cbranch_execnz .LBB36_55
; %bb.56:
	s_or_b32 exec_lo, exec_lo, s1
.LBB36_57:
	s_delay_alu instid0(SALU_CYCLE_1)
	s_or_b32 exec_lo, exec_lo, s4
	v_mov_b32_e32 v95, 0
	ds_load_b64 v[95:96], v95 offset:240
	s_waitcnt lgkmcnt(0)
	v_mul_f64 v[1:2], v[1:2], v[95:96]
	scratch_store_b64 off, v[1:2], off offset:240
.LBB36_58:
	s_or_b32 exec_lo, exec_lo, s2
	scratch_load_b64 v[1:2], off, off offset:232
	v_cmp_lt_u32_e64 s1, 29, v0
	s_waitcnt vmcnt(0)
	ds_store_b64 v3, v[1:2]
	s_waitcnt lgkmcnt(0)
	s_waitcnt_vscnt null, 0x0
	s_barrier
	buffer_gl0_inv
	s_and_saveexec_b32 s2, s1
	s_cbranch_execz .LBB36_68
; %bb.59:
	s_and_not1_b32 vcc_lo, exec_lo, s3
	s_cbranch_vccnz .LBB36_61
; %bb.60:
	scratch_load_b64 v[1:2], v4, off
	ds_load_b64 v[95:96], v3
	s_waitcnt vmcnt(0) lgkmcnt(0)
	v_mul_f64 v[1:2], v[1:2], v[95:96]
	s_cbranch_execz .LBB36_62
	s_branch .LBB36_63
.LBB36_61:
                                        ; implicit-def: $vgpr1_vgpr2
.LBB36_62:
	ds_load_b64 v[1:2], v3
.LBB36_63:
	s_and_saveexec_b32 s4, s0
	s_cbranch_execz .LBB36_67
; %bb.64:
	v_subrev_nc_u32_e32 v95, 30, v0
	s_movk_i32 s5, 0x220
	s_mov_b32 s0, 0
.LBB36_65:                              ; =>This Inner Loop Header: Depth=1
	scratch_load_b64 v[96:97], v94, off
	v_dual_mov_b32 v98, s5 :: v_dual_add_nc_u32 v95, -1, v95
	v_add_nc_u32_e32 v94, 8, v94
	s_add_i32 s5, s5, 8
	ds_load_b64 v[98:99], v98
	v_cmp_eq_u32_e32 vcc_lo, 0, v95
	s_or_b32 s0, vcc_lo, s0
	s_waitcnt vmcnt(0) lgkmcnt(0)
	v_fma_f64 v[1:2], v[96:97], v[98:99], v[1:2]
	s_and_not1_b32 exec_lo, exec_lo, s0
	s_cbranch_execnz .LBB36_65
; %bb.66:
	s_or_b32 exec_lo, exec_lo, s0
.LBB36_67:
	s_delay_alu instid0(SALU_CYCLE_1)
	s_or_b32 exec_lo, exec_lo, s4
	v_mov_b32_e32 v94, 0
	ds_load_b64 v[94:95], v94 offset:232
	s_waitcnt lgkmcnt(0)
	v_mul_f64 v[1:2], v[1:2], v[94:95]
	scratch_store_b64 off, v[1:2], off offset:232
.LBB36_68:
	s_or_b32 exec_lo, exec_lo, s2
	scratch_load_b64 v[1:2], off, off offset:224
	v_cmp_lt_u32_e64 s0, 28, v0
	s_waitcnt vmcnt(0)
	ds_store_b64 v3, v[1:2]
	s_waitcnt lgkmcnt(0)
	s_waitcnt_vscnt null, 0x0
	s_barrier
	buffer_gl0_inv
	s_and_saveexec_b32 s2, s0
	s_cbranch_execz .LBB36_78
; %bb.69:
	s_and_not1_b32 vcc_lo, exec_lo, s3
	s_cbranch_vccnz .LBB36_71
; %bb.70:
	scratch_load_b64 v[1:2], v4, off
	ds_load_b64 v[94:95], v3
	s_waitcnt vmcnt(0) lgkmcnt(0)
	v_mul_f64 v[1:2], v[1:2], v[94:95]
	s_cbranch_execz .LBB36_72
	s_branch .LBB36_73
.LBB36_71:
                                        ; implicit-def: $vgpr1_vgpr2
.LBB36_72:
	ds_load_b64 v[1:2], v3
.LBB36_73:
	s_and_saveexec_b32 s4, s1
	s_cbranch_execz .LBB36_77
; %bb.74:
	v_mov_b32_e32 v94, 0
	v_subrev_nc_u32_e32 v95, 29, v0
	s_movk_i32 s5, 0x218
	s_mov_b32 s1, 0
	s_delay_alu instid0(VALU_DEP_2)
	v_add_nc_u32_e32 v94, 0xe8, v94
.LBB36_75:                              ; =>This Inner Loop Header: Depth=1
	scratch_load_b64 v[96:97], v94, off
	v_dual_mov_b32 v98, s5 :: v_dual_add_nc_u32 v95, -1, v95
	v_add_nc_u32_e32 v94, 8, v94
	s_add_i32 s5, s5, 8
	ds_load_b64 v[98:99], v98
	v_cmp_eq_u32_e32 vcc_lo, 0, v95
	s_or_b32 s1, vcc_lo, s1
	s_waitcnt vmcnt(0) lgkmcnt(0)
	v_fma_f64 v[1:2], v[96:97], v[98:99], v[1:2]
	s_and_not1_b32 exec_lo, exec_lo, s1
	s_cbranch_execnz .LBB36_75
; %bb.76:
	s_or_b32 exec_lo, exec_lo, s1
.LBB36_77:
	s_delay_alu instid0(SALU_CYCLE_1)
	s_or_b32 exec_lo, exec_lo, s4
	v_mov_b32_e32 v94, 0
	ds_load_b64 v[94:95], v94 offset:224
	s_waitcnt lgkmcnt(0)
	v_mul_f64 v[1:2], v[1:2], v[94:95]
	scratch_store_b64 off, v[1:2], off offset:224
.LBB36_78:
	s_or_b32 exec_lo, exec_lo, s2
	scratch_load_b64 v[1:2], off, off offset:216
	v_cmp_lt_u32_e64 s1, 27, v0
	s_waitcnt vmcnt(0)
	ds_store_b64 v3, v[1:2]
	s_waitcnt lgkmcnt(0)
	s_waitcnt_vscnt null, 0x0
	s_barrier
	buffer_gl0_inv
	s_and_saveexec_b32 s2, s1
	s_cbranch_execz .LBB36_88
; %bb.79:
	s_and_not1_b32 vcc_lo, exec_lo, s3
	s_cbranch_vccnz .LBB36_81
; %bb.80:
	scratch_load_b64 v[1:2], v4, off
	ds_load_b64 v[94:95], v3
	s_waitcnt vmcnt(0) lgkmcnt(0)
	v_mul_f64 v[1:2], v[1:2], v[94:95]
	s_cbranch_execz .LBB36_82
	s_branch .LBB36_83
.LBB36_81:
                                        ; implicit-def: $vgpr1_vgpr2
.LBB36_82:
	ds_load_b64 v[1:2], v3
.LBB36_83:
	s_and_saveexec_b32 s4, s0
	s_cbranch_execz .LBB36_87
; %bb.84:
	v_subrev_nc_u32_e32 v94, 28, v0
	s_movk_i32 s5, 0x210
	s_mov_b32 s0, 0
.LBB36_85:                              ; =>This Inner Loop Header: Depth=1
	scratch_load_b64 v[95:96], v93, off
	v_dual_mov_b32 v97, s5 :: v_dual_add_nc_u32 v94, -1, v94
	v_add_nc_u32_e32 v93, 8, v93
	s_add_i32 s5, s5, 8
	ds_load_b64 v[97:98], v97
	v_cmp_eq_u32_e32 vcc_lo, 0, v94
	s_or_b32 s0, vcc_lo, s0
	s_waitcnt vmcnt(0) lgkmcnt(0)
	v_fma_f64 v[1:2], v[95:96], v[97:98], v[1:2]
	s_and_not1_b32 exec_lo, exec_lo, s0
	s_cbranch_execnz .LBB36_85
; %bb.86:
	s_or_b32 exec_lo, exec_lo, s0
.LBB36_87:
	s_delay_alu instid0(SALU_CYCLE_1)
	s_or_b32 exec_lo, exec_lo, s4
	v_mov_b32_e32 v93, 0
	ds_load_b64 v[93:94], v93 offset:216
	s_waitcnt lgkmcnt(0)
	v_mul_f64 v[1:2], v[1:2], v[93:94]
	scratch_store_b64 off, v[1:2], off offset:216
.LBB36_88:
	s_or_b32 exec_lo, exec_lo, s2
	scratch_load_b64 v[1:2], off, off offset:208
	v_cmp_lt_u32_e64 s0, 26, v0
	s_waitcnt vmcnt(0)
	ds_store_b64 v3, v[1:2]
	s_waitcnt lgkmcnt(0)
	s_waitcnt_vscnt null, 0x0
	s_barrier
	buffer_gl0_inv
	s_and_saveexec_b32 s2, s0
	s_cbranch_execz .LBB36_98
; %bb.89:
	s_and_not1_b32 vcc_lo, exec_lo, s3
	s_cbranch_vccnz .LBB36_91
; %bb.90:
	scratch_load_b64 v[1:2], v4, off
	ds_load_b64 v[93:94], v3
	s_waitcnt vmcnt(0) lgkmcnt(0)
	v_mul_f64 v[1:2], v[1:2], v[93:94]
	s_cbranch_execz .LBB36_92
	s_branch .LBB36_93
.LBB36_91:
                                        ; implicit-def: $vgpr1_vgpr2
.LBB36_92:
	ds_load_b64 v[1:2], v3
.LBB36_93:
	s_and_saveexec_b32 s4, s1
	s_cbranch_execz .LBB36_97
; %bb.94:
	v_mov_b32_e32 v93, 0
	v_subrev_nc_u32_e32 v94, 27, v0
	s_movk_i32 s5, 0x208
	s_mov_b32 s1, 0
	s_delay_alu instid0(VALU_DEP_2)
	v_add_nc_u32_e32 v93, 0xd8, v93
.LBB36_95:                              ; =>This Inner Loop Header: Depth=1
	scratch_load_b64 v[95:96], v93, off
	v_dual_mov_b32 v97, s5 :: v_dual_add_nc_u32 v94, -1, v94
	v_add_nc_u32_e32 v93, 8, v93
	s_add_i32 s5, s5, 8
	ds_load_b64 v[97:98], v97
	v_cmp_eq_u32_e32 vcc_lo, 0, v94
	s_or_b32 s1, vcc_lo, s1
	s_waitcnt vmcnt(0) lgkmcnt(0)
	v_fma_f64 v[1:2], v[95:96], v[97:98], v[1:2]
	s_and_not1_b32 exec_lo, exec_lo, s1
	s_cbranch_execnz .LBB36_95
; %bb.96:
	s_or_b32 exec_lo, exec_lo, s1
.LBB36_97:
	s_delay_alu instid0(SALU_CYCLE_1)
	s_or_b32 exec_lo, exec_lo, s4
	v_mov_b32_e32 v93, 0
	ds_load_b64 v[93:94], v93 offset:208
	s_waitcnt lgkmcnt(0)
	v_mul_f64 v[1:2], v[1:2], v[93:94]
	scratch_store_b64 off, v[1:2], off offset:208
.LBB36_98:
	s_or_b32 exec_lo, exec_lo, s2
	scratch_load_b64 v[1:2], off, off offset:200
	v_cmp_lt_u32_e64 s1, 25, v0
	s_waitcnt vmcnt(0)
	ds_store_b64 v3, v[1:2]
	s_waitcnt lgkmcnt(0)
	s_waitcnt_vscnt null, 0x0
	s_barrier
	buffer_gl0_inv
	s_and_saveexec_b32 s2, s1
	s_cbranch_execz .LBB36_108
; %bb.99:
	s_and_not1_b32 vcc_lo, exec_lo, s3
	s_cbranch_vccnz .LBB36_101
; %bb.100:
	scratch_load_b64 v[1:2], v4, off
	ds_load_b64 v[93:94], v3
	s_waitcnt vmcnt(0) lgkmcnt(0)
	v_mul_f64 v[1:2], v[1:2], v[93:94]
	s_cbranch_execz .LBB36_102
	s_branch .LBB36_103
.LBB36_101:
                                        ; implicit-def: $vgpr1_vgpr2
.LBB36_102:
	ds_load_b64 v[1:2], v3
.LBB36_103:
	s_and_saveexec_b32 s4, s0
	s_cbranch_execz .LBB36_107
; %bb.104:
	v_subrev_nc_u32_e32 v93, 26, v0
	s_movk_i32 s5, 0x200
	s_mov_b32 s0, 0
.LBB36_105:                             ; =>This Inner Loop Header: Depth=1
	scratch_load_b64 v[94:95], v92, off
	v_dual_mov_b32 v96, s5 :: v_dual_add_nc_u32 v93, -1, v93
	v_add_nc_u32_e32 v92, 8, v92
	s_add_i32 s5, s5, 8
	ds_load_b64 v[96:97], v96
	v_cmp_eq_u32_e32 vcc_lo, 0, v93
	s_or_b32 s0, vcc_lo, s0
	s_waitcnt vmcnt(0) lgkmcnt(0)
	v_fma_f64 v[1:2], v[94:95], v[96:97], v[1:2]
	s_and_not1_b32 exec_lo, exec_lo, s0
	s_cbranch_execnz .LBB36_105
; %bb.106:
	s_or_b32 exec_lo, exec_lo, s0
.LBB36_107:
	s_delay_alu instid0(SALU_CYCLE_1)
	s_or_b32 exec_lo, exec_lo, s4
	v_mov_b32_e32 v92, 0
	ds_load_b64 v[92:93], v92 offset:200
	s_waitcnt lgkmcnt(0)
	v_mul_f64 v[1:2], v[1:2], v[92:93]
	scratch_store_b64 off, v[1:2], off offset:200
.LBB36_108:
	s_or_b32 exec_lo, exec_lo, s2
	scratch_load_b64 v[1:2], off, off offset:192
	v_cmp_lt_u32_e64 s0, 24, v0
	s_waitcnt vmcnt(0)
	ds_store_b64 v3, v[1:2]
	s_waitcnt lgkmcnt(0)
	s_waitcnt_vscnt null, 0x0
	s_barrier
	buffer_gl0_inv
	s_and_saveexec_b32 s2, s0
	s_cbranch_execz .LBB36_118
; %bb.109:
	s_and_not1_b32 vcc_lo, exec_lo, s3
	s_cbranch_vccnz .LBB36_111
; %bb.110:
	scratch_load_b64 v[1:2], v4, off
	ds_load_b64 v[92:93], v3
	s_waitcnt vmcnt(0) lgkmcnt(0)
	v_mul_f64 v[1:2], v[1:2], v[92:93]
	s_cbranch_execz .LBB36_112
	s_branch .LBB36_113
.LBB36_111:
                                        ; implicit-def: $vgpr1_vgpr2
.LBB36_112:
	ds_load_b64 v[1:2], v3
.LBB36_113:
	s_and_saveexec_b32 s4, s1
	s_cbranch_execz .LBB36_117
; %bb.114:
	v_mov_b32_e32 v92, 0
	v_subrev_nc_u32_e32 v93, 25, v0
	s_movk_i32 s5, 0x1f8
	s_mov_b32 s1, 0
	s_delay_alu instid0(VALU_DEP_2)
	v_add_nc_u32_e32 v92, 0xc8, v92
.LBB36_115:                             ; =>This Inner Loop Header: Depth=1
	scratch_load_b64 v[94:95], v92, off
	v_dual_mov_b32 v96, s5 :: v_dual_add_nc_u32 v93, -1, v93
	v_add_nc_u32_e32 v92, 8, v92
	s_add_i32 s5, s5, 8
	ds_load_b64 v[96:97], v96
	v_cmp_eq_u32_e32 vcc_lo, 0, v93
	s_or_b32 s1, vcc_lo, s1
	s_waitcnt vmcnt(0) lgkmcnt(0)
	v_fma_f64 v[1:2], v[94:95], v[96:97], v[1:2]
	s_and_not1_b32 exec_lo, exec_lo, s1
	s_cbranch_execnz .LBB36_115
; %bb.116:
	s_or_b32 exec_lo, exec_lo, s1
.LBB36_117:
	s_delay_alu instid0(SALU_CYCLE_1)
	s_or_b32 exec_lo, exec_lo, s4
	v_mov_b32_e32 v92, 0
	ds_load_b64 v[92:93], v92 offset:192
	s_waitcnt lgkmcnt(0)
	v_mul_f64 v[1:2], v[1:2], v[92:93]
	scratch_store_b64 off, v[1:2], off offset:192
.LBB36_118:
	s_or_b32 exec_lo, exec_lo, s2
	scratch_load_b64 v[1:2], off, off offset:184
	v_cmp_lt_u32_e64 s1, 23, v0
	s_waitcnt vmcnt(0)
	ds_store_b64 v3, v[1:2]
	s_waitcnt lgkmcnt(0)
	s_waitcnt_vscnt null, 0x0
	s_barrier
	buffer_gl0_inv
	s_and_saveexec_b32 s2, s1
	s_cbranch_execz .LBB36_128
; %bb.119:
	s_and_not1_b32 vcc_lo, exec_lo, s3
	s_cbranch_vccnz .LBB36_121
; %bb.120:
	scratch_load_b64 v[1:2], v4, off
	ds_load_b64 v[92:93], v3
	s_waitcnt vmcnt(0) lgkmcnt(0)
	v_mul_f64 v[1:2], v[1:2], v[92:93]
	s_cbranch_execz .LBB36_122
	s_branch .LBB36_123
.LBB36_121:
                                        ; implicit-def: $vgpr1_vgpr2
.LBB36_122:
	ds_load_b64 v[1:2], v3
.LBB36_123:
	s_and_saveexec_b32 s4, s0
	s_cbranch_execz .LBB36_127
; %bb.124:
	v_subrev_nc_u32_e32 v92, 24, v0
	s_movk_i32 s5, 0x1f0
	s_mov_b32 s0, 0
.LBB36_125:                             ; =>This Inner Loop Header: Depth=1
	scratch_load_b64 v[93:94], v91, off
	v_dual_mov_b32 v95, s5 :: v_dual_add_nc_u32 v92, -1, v92
	v_add_nc_u32_e32 v91, 8, v91
	s_add_i32 s5, s5, 8
	ds_load_b64 v[95:96], v95
	v_cmp_eq_u32_e32 vcc_lo, 0, v92
	s_or_b32 s0, vcc_lo, s0
	s_waitcnt vmcnt(0) lgkmcnt(0)
	v_fma_f64 v[1:2], v[93:94], v[95:96], v[1:2]
	s_and_not1_b32 exec_lo, exec_lo, s0
	s_cbranch_execnz .LBB36_125
; %bb.126:
	s_or_b32 exec_lo, exec_lo, s0
.LBB36_127:
	s_delay_alu instid0(SALU_CYCLE_1)
	s_or_b32 exec_lo, exec_lo, s4
	v_mov_b32_e32 v91, 0
	ds_load_b64 v[91:92], v91 offset:184
	s_waitcnt lgkmcnt(0)
	v_mul_f64 v[1:2], v[1:2], v[91:92]
	scratch_store_b64 off, v[1:2], off offset:184
.LBB36_128:
	s_or_b32 exec_lo, exec_lo, s2
	scratch_load_b64 v[1:2], off, off offset:176
	v_cmp_lt_u32_e64 s0, 22, v0
	s_waitcnt vmcnt(0)
	ds_store_b64 v3, v[1:2]
	s_waitcnt lgkmcnt(0)
	s_waitcnt_vscnt null, 0x0
	s_barrier
	buffer_gl0_inv
	s_and_saveexec_b32 s2, s0
	s_cbranch_execz .LBB36_138
; %bb.129:
	s_and_not1_b32 vcc_lo, exec_lo, s3
	s_cbranch_vccnz .LBB36_131
; %bb.130:
	scratch_load_b64 v[1:2], v4, off
	ds_load_b64 v[91:92], v3
	s_waitcnt vmcnt(0) lgkmcnt(0)
	v_mul_f64 v[1:2], v[1:2], v[91:92]
	s_cbranch_execz .LBB36_132
	s_branch .LBB36_133
.LBB36_131:
                                        ; implicit-def: $vgpr1_vgpr2
.LBB36_132:
	ds_load_b64 v[1:2], v3
.LBB36_133:
	s_and_saveexec_b32 s4, s1
	s_cbranch_execz .LBB36_137
; %bb.134:
	v_mov_b32_e32 v91, 0
	v_subrev_nc_u32_e32 v92, 23, v0
	s_movk_i32 s5, 0x1e8
	s_mov_b32 s1, 0
	s_delay_alu instid0(VALU_DEP_2)
	v_add_nc_u32_e32 v91, 0xb8, v91
.LBB36_135:                             ; =>This Inner Loop Header: Depth=1
	scratch_load_b64 v[93:94], v91, off
	v_dual_mov_b32 v95, s5 :: v_dual_add_nc_u32 v92, -1, v92
	v_add_nc_u32_e32 v91, 8, v91
	s_add_i32 s5, s5, 8
	ds_load_b64 v[95:96], v95
	v_cmp_eq_u32_e32 vcc_lo, 0, v92
	s_or_b32 s1, vcc_lo, s1
	s_waitcnt vmcnt(0) lgkmcnt(0)
	v_fma_f64 v[1:2], v[93:94], v[95:96], v[1:2]
	s_and_not1_b32 exec_lo, exec_lo, s1
	s_cbranch_execnz .LBB36_135
; %bb.136:
	s_or_b32 exec_lo, exec_lo, s1
.LBB36_137:
	s_delay_alu instid0(SALU_CYCLE_1)
	s_or_b32 exec_lo, exec_lo, s4
	v_mov_b32_e32 v91, 0
	ds_load_b64 v[91:92], v91 offset:176
	s_waitcnt lgkmcnt(0)
	v_mul_f64 v[1:2], v[1:2], v[91:92]
	scratch_store_b64 off, v[1:2], off offset:176
.LBB36_138:
	s_or_b32 exec_lo, exec_lo, s2
	scratch_load_b64 v[1:2], off, off offset:168
	v_cmp_lt_u32_e64 s1, 21, v0
	s_waitcnt vmcnt(0)
	ds_store_b64 v3, v[1:2]
	s_waitcnt lgkmcnt(0)
	s_waitcnt_vscnt null, 0x0
	s_barrier
	buffer_gl0_inv
	s_and_saveexec_b32 s2, s1
	s_cbranch_execz .LBB36_148
; %bb.139:
	s_and_not1_b32 vcc_lo, exec_lo, s3
	s_cbranch_vccnz .LBB36_141
; %bb.140:
	scratch_load_b64 v[1:2], v4, off
	ds_load_b64 v[91:92], v3
	s_waitcnt vmcnt(0) lgkmcnt(0)
	v_mul_f64 v[1:2], v[1:2], v[91:92]
	s_cbranch_execz .LBB36_142
	s_branch .LBB36_143
.LBB36_141:
                                        ; implicit-def: $vgpr1_vgpr2
.LBB36_142:
	ds_load_b64 v[1:2], v3
.LBB36_143:
	s_and_saveexec_b32 s4, s0
	s_cbranch_execz .LBB36_147
; %bb.144:
	v_subrev_nc_u32_e32 v91, 22, v0
	s_movk_i32 s5, 0x1e0
	s_mov_b32 s0, 0
.LBB36_145:                             ; =>This Inner Loop Header: Depth=1
	scratch_load_b64 v[92:93], v90, off
	v_dual_mov_b32 v94, s5 :: v_dual_add_nc_u32 v91, -1, v91
	v_add_nc_u32_e32 v90, 8, v90
	s_add_i32 s5, s5, 8
	ds_load_b64 v[94:95], v94
	v_cmp_eq_u32_e32 vcc_lo, 0, v91
	s_or_b32 s0, vcc_lo, s0
	s_waitcnt vmcnt(0) lgkmcnt(0)
	v_fma_f64 v[1:2], v[92:93], v[94:95], v[1:2]
	s_and_not1_b32 exec_lo, exec_lo, s0
	s_cbranch_execnz .LBB36_145
; %bb.146:
	s_or_b32 exec_lo, exec_lo, s0
.LBB36_147:
	s_delay_alu instid0(SALU_CYCLE_1)
	s_or_b32 exec_lo, exec_lo, s4
	v_mov_b32_e32 v90, 0
	ds_load_b64 v[90:91], v90 offset:168
	s_waitcnt lgkmcnt(0)
	v_mul_f64 v[1:2], v[1:2], v[90:91]
	scratch_store_b64 off, v[1:2], off offset:168
.LBB36_148:
	s_or_b32 exec_lo, exec_lo, s2
	scratch_load_b64 v[1:2], off, off offset:160
	v_cmp_lt_u32_e64 s0, 20, v0
	s_waitcnt vmcnt(0)
	ds_store_b64 v3, v[1:2]
	s_waitcnt lgkmcnt(0)
	s_waitcnt_vscnt null, 0x0
	s_barrier
	buffer_gl0_inv
	s_and_saveexec_b32 s2, s0
	s_cbranch_execz .LBB36_158
; %bb.149:
	s_and_not1_b32 vcc_lo, exec_lo, s3
	s_cbranch_vccnz .LBB36_151
; %bb.150:
	scratch_load_b64 v[1:2], v4, off
	ds_load_b64 v[90:91], v3
	s_waitcnt vmcnt(0) lgkmcnt(0)
	v_mul_f64 v[1:2], v[1:2], v[90:91]
	s_cbranch_execz .LBB36_152
	s_branch .LBB36_153
.LBB36_151:
                                        ; implicit-def: $vgpr1_vgpr2
.LBB36_152:
	ds_load_b64 v[1:2], v3
.LBB36_153:
	s_and_saveexec_b32 s4, s1
	s_cbranch_execz .LBB36_157
; %bb.154:
	v_mov_b32_e32 v90, 0
	v_subrev_nc_u32_e32 v91, 21, v0
	s_movk_i32 s5, 0x1d8
	s_mov_b32 s1, 0
	s_delay_alu instid0(VALU_DEP_2)
	v_add_nc_u32_e32 v90, 0xa8, v90
.LBB36_155:                             ; =>This Inner Loop Header: Depth=1
	scratch_load_b64 v[92:93], v90, off
	v_dual_mov_b32 v94, s5 :: v_dual_add_nc_u32 v91, -1, v91
	v_add_nc_u32_e32 v90, 8, v90
	s_add_i32 s5, s5, 8
	ds_load_b64 v[94:95], v94
	v_cmp_eq_u32_e32 vcc_lo, 0, v91
	s_or_b32 s1, vcc_lo, s1
	s_waitcnt vmcnt(0) lgkmcnt(0)
	v_fma_f64 v[1:2], v[92:93], v[94:95], v[1:2]
	s_and_not1_b32 exec_lo, exec_lo, s1
	s_cbranch_execnz .LBB36_155
; %bb.156:
	s_or_b32 exec_lo, exec_lo, s1
.LBB36_157:
	s_delay_alu instid0(SALU_CYCLE_1)
	s_or_b32 exec_lo, exec_lo, s4
	v_mov_b32_e32 v90, 0
	ds_load_b64 v[90:91], v90 offset:160
	s_waitcnt lgkmcnt(0)
	v_mul_f64 v[1:2], v[1:2], v[90:91]
	scratch_store_b64 off, v[1:2], off offset:160
.LBB36_158:
	s_or_b32 exec_lo, exec_lo, s2
	scratch_load_b64 v[1:2], off, off offset:152
	v_cmp_lt_u32_e64 s1, 19, v0
	s_waitcnt vmcnt(0)
	ds_store_b64 v3, v[1:2]
	s_waitcnt lgkmcnt(0)
	s_waitcnt_vscnt null, 0x0
	s_barrier
	buffer_gl0_inv
	s_and_saveexec_b32 s2, s1
	s_cbranch_execz .LBB36_168
; %bb.159:
	s_and_not1_b32 vcc_lo, exec_lo, s3
	s_cbranch_vccnz .LBB36_161
; %bb.160:
	scratch_load_b64 v[1:2], v4, off
	ds_load_b64 v[90:91], v3
	s_waitcnt vmcnt(0) lgkmcnt(0)
	v_mul_f64 v[1:2], v[1:2], v[90:91]
	s_cbranch_execz .LBB36_162
	s_branch .LBB36_163
.LBB36_161:
                                        ; implicit-def: $vgpr1_vgpr2
.LBB36_162:
	ds_load_b64 v[1:2], v3
.LBB36_163:
	s_and_saveexec_b32 s4, s0
	s_cbranch_execz .LBB36_167
; %bb.164:
	v_subrev_nc_u32_e32 v90, 20, v0
	s_movk_i32 s5, 0x1d0
	s_mov_b32 s0, 0
.LBB36_165:                             ; =>This Inner Loop Header: Depth=1
	scratch_load_b64 v[91:92], v89, off
	v_dual_mov_b32 v93, s5 :: v_dual_add_nc_u32 v90, -1, v90
	v_add_nc_u32_e32 v89, 8, v89
	s_add_i32 s5, s5, 8
	ds_load_b64 v[93:94], v93
	v_cmp_eq_u32_e32 vcc_lo, 0, v90
	s_or_b32 s0, vcc_lo, s0
	s_waitcnt vmcnt(0) lgkmcnt(0)
	v_fma_f64 v[1:2], v[91:92], v[93:94], v[1:2]
	s_and_not1_b32 exec_lo, exec_lo, s0
	s_cbranch_execnz .LBB36_165
; %bb.166:
	s_or_b32 exec_lo, exec_lo, s0
.LBB36_167:
	s_delay_alu instid0(SALU_CYCLE_1)
	s_or_b32 exec_lo, exec_lo, s4
	v_mov_b32_e32 v89, 0
	ds_load_b64 v[89:90], v89 offset:152
	s_waitcnt lgkmcnt(0)
	v_mul_f64 v[1:2], v[1:2], v[89:90]
	scratch_store_b64 off, v[1:2], off offset:152
.LBB36_168:
	s_or_b32 exec_lo, exec_lo, s2
	scratch_load_b64 v[1:2], off, off offset:144
	v_cmp_lt_u32_e64 s0, 18, v0
	s_waitcnt vmcnt(0)
	ds_store_b64 v3, v[1:2]
	s_waitcnt lgkmcnt(0)
	s_waitcnt_vscnt null, 0x0
	s_barrier
	buffer_gl0_inv
	s_and_saveexec_b32 s2, s0
	s_cbranch_execz .LBB36_178
; %bb.169:
	s_and_not1_b32 vcc_lo, exec_lo, s3
	s_cbranch_vccnz .LBB36_171
; %bb.170:
	scratch_load_b64 v[1:2], v4, off
	ds_load_b64 v[89:90], v3
	s_waitcnt vmcnt(0) lgkmcnt(0)
	v_mul_f64 v[1:2], v[1:2], v[89:90]
	s_cbranch_execz .LBB36_172
	s_branch .LBB36_173
.LBB36_171:
                                        ; implicit-def: $vgpr1_vgpr2
.LBB36_172:
	ds_load_b64 v[1:2], v3
.LBB36_173:
	s_and_saveexec_b32 s4, s1
	s_cbranch_execz .LBB36_177
; %bb.174:
	v_mov_b32_e32 v89, 0
	v_subrev_nc_u32_e32 v90, 19, v0
	s_movk_i32 s5, 0x1c8
	s_mov_b32 s1, 0
	s_delay_alu instid0(VALU_DEP_2)
	v_add_nc_u32_e32 v89, 0x98, v89
.LBB36_175:                             ; =>This Inner Loop Header: Depth=1
	scratch_load_b64 v[91:92], v89, off
	v_dual_mov_b32 v93, s5 :: v_dual_add_nc_u32 v90, -1, v90
	v_add_nc_u32_e32 v89, 8, v89
	s_add_i32 s5, s5, 8
	ds_load_b64 v[93:94], v93
	v_cmp_eq_u32_e32 vcc_lo, 0, v90
	s_or_b32 s1, vcc_lo, s1
	s_waitcnt vmcnt(0) lgkmcnt(0)
	v_fma_f64 v[1:2], v[91:92], v[93:94], v[1:2]
	s_and_not1_b32 exec_lo, exec_lo, s1
	s_cbranch_execnz .LBB36_175
; %bb.176:
	s_or_b32 exec_lo, exec_lo, s1
.LBB36_177:
	s_delay_alu instid0(SALU_CYCLE_1)
	s_or_b32 exec_lo, exec_lo, s4
	v_mov_b32_e32 v89, 0
	ds_load_b64 v[89:90], v89 offset:144
	s_waitcnt lgkmcnt(0)
	v_mul_f64 v[1:2], v[1:2], v[89:90]
	scratch_store_b64 off, v[1:2], off offset:144
.LBB36_178:
	s_or_b32 exec_lo, exec_lo, s2
	scratch_load_b64 v[1:2], off, off offset:136
	v_cmp_lt_u32_e64 s1, 17, v0
	s_waitcnt vmcnt(0)
	ds_store_b64 v3, v[1:2]
	s_waitcnt lgkmcnt(0)
	s_waitcnt_vscnt null, 0x0
	s_barrier
	buffer_gl0_inv
	s_and_saveexec_b32 s2, s1
	s_cbranch_execz .LBB36_188
; %bb.179:
	s_and_not1_b32 vcc_lo, exec_lo, s3
	s_cbranch_vccnz .LBB36_181
; %bb.180:
	scratch_load_b64 v[1:2], v4, off
	ds_load_b64 v[89:90], v3
	s_waitcnt vmcnt(0) lgkmcnt(0)
	v_mul_f64 v[1:2], v[1:2], v[89:90]
	s_cbranch_execz .LBB36_182
	s_branch .LBB36_183
.LBB36_181:
                                        ; implicit-def: $vgpr1_vgpr2
.LBB36_182:
	ds_load_b64 v[1:2], v3
.LBB36_183:
	s_and_saveexec_b32 s4, s0
	s_cbranch_execz .LBB36_187
; %bb.184:
	v_subrev_nc_u32_e32 v89, 18, v0
	s_movk_i32 s5, 0x1c0
	s_mov_b32 s0, 0
.LBB36_185:                             ; =>This Inner Loop Header: Depth=1
	scratch_load_b64 v[90:91], v88, off
	v_dual_mov_b32 v92, s5 :: v_dual_add_nc_u32 v89, -1, v89
	v_add_nc_u32_e32 v88, 8, v88
	s_add_i32 s5, s5, 8
	ds_load_b64 v[92:93], v92
	v_cmp_eq_u32_e32 vcc_lo, 0, v89
	s_or_b32 s0, vcc_lo, s0
	s_waitcnt vmcnt(0) lgkmcnt(0)
	v_fma_f64 v[1:2], v[90:91], v[92:93], v[1:2]
	s_and_not1_b32 exec_lo, exec_lo, s0
	s_cbranch_execnz .LBB36_185
; %bb.186:
	s_or_b32 exec_lo, exec_lo, s0
.LBB36_187:
	s_delay_alu instid0(SALU_CYCLE_1)
	s_or_b32 exec_lo, exec_lo, s4
	v_mov_b32_e32 v88, 0
	ds_load_b64 v[88:89], v88 offset:136
	s_waitcnt lgkmcnt(0)
	v_mul_f64 v[1:2], v[1:2], v[88:89]
	scratch_store_b64 off, v[1:2], off offset:136
.LBB36_188:
	s_or_b32 exec_lo, exec_lo, s2
	scratch_load_b64 v[1:2], off, off offset:128
	v_cmp_lt_u32_e64 s0, 16, v0
	s_waitcnt vmcnt(0)
	ds_store_b64 v3, v[1:2]
	s_waitcnt lgkmcnt(0)
	s_waitcnt_vscnt null, 0x0
	s_barrier
	buffer_gl0_inv
	s_and_saveexec_b32 s2, s0
	s_cbranch_execz .LBB36_198
; %bb.189:
	s_and_not1_b32 vcc_lo, exec_lo, s3
	s_cbranch_vccnz .LBB36_191
; %bb.190:
	scratch_load_b64 v[1:2], v4, off
	ds_load_b64 v[88:89], v3
	s_waitcnt vmcnt(0) lgkmcnt(0)
	v_mul_f64 v[1:2], v[1:2], v[88:89]
	s_cbranch_execz .LBB36_192
	s_branch .LBB36_193
.LBB36_191:
                                        ; implicit-def: $vgpr1_vgpr2
.LBB36_192:
	ds_load_b64 v[1:2], v3
.LBB36_193:
	s_and_saveexec_b32 s4, s1
	s_cbranch_execz .LBB36_197
; %bb.194:
	v_mov_b32_e32 v88, 0
	v_subrev_nc_u32_e32 v89, 17, v0
	s_movk_i32 s5, 0x1b8
	s_mov_b32 s1, 0
	s_delay_alu instid0(VALU_DEP_2)
	v_add_nc_u32_e32 v88, 0x88, v88
.LBB36_195:                             ; =>This Inner Loop Header: Depth=1
	scratch_load_b64 v[90:91], v88, off
	v_dual_mov_b32 v92, s5 :: v_dual_add_nc_u32 v89, -1, v89
	v_add_nc_u32_e32 v88, 8, v88
	s_add_i32 s5, s5, 8
	ds_load_b64 v[92:93], v92
	v_cmp_eq_u32_e32 vcc_lo, 0, v89
	s_or_b32 s1, vcc_lo, s1
	s_waitcnt vmcnt(0) lgkmcnt(0)
	v_fma_f64 v[1:2], v[90:91], v[92:93], v[1:2]
	s_and_not1_b32 exec_lo, exec_lo, s1
	s_cbranch_execnz .LBB36_195
; %bb.196:
	s_or_b32 exec_lo, exec_lo, s1
.LBB36_197:
	s_delay_alu instid0(SALU_CYCLE_1)
	s_or_b32 exec_lo, exec_lo, s4
	v_mov_b32_e32 v88, 0
	ds_load_b64 v[88:89], v88 offset:128
	s_waitcnt lgkmcnt(0)
	v_mul_f64 v[1:2], v[1:2], v[88:89]
	scratch_store_b64 off, v[1:2], off offset:128
.LBB36_198:
	s_or_b32 exec_lo, exec_lo, s2
	scratch_load_b64 v[1:2], off, off offset:120
	v_cmp_lt_u32_e64 s1, 15, v0
	s_waitcnt vmcnt(0)
	ds_store_b64 v3, v[1:2]
	s_waitcnt lgkmcnt(0)
	s_waitcnt_vscnt null, 0x0
	s_barrier
	buffer_gl0_inv
	s_and_saveexec_b32 s2, s1
	s_cbranch_execz .LBB36_208
; %bb.199:
	s_and_not1_b32 vcc_lo, exec_lo, s3
	s_cbranch_vccnz .LBB36_201
; %bb.200:
	scratch_load_b64 v[1:2], v4, off
	ds_load_b64 v[88:89], v3
	s_waitcnt vmcnt(0) lgkmcnt(0)
	v_mul_f64 v[1:2], v[1:2], v[88:89]
	s_cbranch_execz .LBB36_202
	s_branch .LBB36_203
.LBB36_201:
                                        ; implicit-def: $vgpr1_vgpr2
.LBB36_202:
	ds_load_b64 v[1:2], v3
.LBB36_203:
	s_and_saveexec_b32 s4, s0
	s_cbranch_execz .LBB36_207
; %bb.204:
	v_add_nc_u32_e32 v88, -16, v0
	s_movk_i32 s5, 0x1b0
	s_mov_b32 s0, 0
.LBB36_205:                             ; =>This Inner Loop Header: Depth=1
	scratch_load_b64 v[89:90], v12, off
	v_dual_mov_b32 v91, s5 :: v_dual_add_nc_u32 v88, -1, v88
	v_add_nc_u32_e32 v12, 8, v12
	s_add_i32 s5, s5, 8
	ds_load_b64 v[91:92], v91
	v_cmp_eq_u32_e32 vcc_lo, 0, v88
	s_or_b32 s0, vcc_lo, s0
	s_waitcnt vmcnt(0) lgkmcnt(0)
	v_fma_f64 v[1:2], v[89:90], v[91:92], v[1:2]
	s_and_not1_b32 exec_lo, exec_lo, s0
	s_cbranch_execnz .LBB36_205
; %bb.206:
	s_or_b32 exec_lo, exec_lo, s0
.LBB36_207:
	s_delay_alu instid0(SALU_CYCLE_1)
	s_or_b32 exec_lo, exec_lo, s4
	v_mov_b32_e32 v12, 0
	ds_load_b64 v[88:89], v12 offset:120
	s_waitcnt lgkmcnt(0)
	v_mul_f64 v[1:2], v[1:2], v[88:89]
	scratch_store_b64 off, v[1:2], off offset:120
.LBB36_208:
	s_or_b32 exec_lo, exec_lo, s2
	scratch_load_b64 v[1:2], off, off offset:112
	v_cmp_lt_u32_e64 s0, 14, v0
	s_waitcnt vmcnt(0)
	ds_store_b64 v3, v[1:2]
	s_waitcnt lgkmcnt(0)
	s_waitcnt_vscnt null, 0x0
	s_barrier
	buffer_gl0_inv
	s_and_saveexec_b32 s2, s0
	s_cbranch_execz .LBB36_218
; %bb.209:
	s_and_not1_b32 vcc_lo, exec_lo, s3
	s_cbranch_vccnz .LBB36_211
; %bb.210:
	scratch_load_b64 v[1:2], v4, off
	ds_load_b64 v[88:89], v3
	s_waitcnt vmcnt(0) lgkmcnt(0)
	v_mul_f64 v[1:2], v[1:2], v[88:89]
	s_cbranch_execz .LBB36_212
	s_branch .LBB36_213
.LBB36_211:
                                        ; implicit-def: $vgpr1_vgpr2
.LBB36_212:
	ds_load_b64 v[1:2], v3
.LBB36_213:
	s_and_saveexec_b32 s4, s1
	s_cbranch_execz .LBB36_217
; %bb.214:
	v_mov_b32_e32 v12, 0
	v_add_nc_u32_e32 v88, -15, v0
	s_movk_i32 s5, 0x1a8
	s_mov_b32 s1, 0
	s_delay_alu instid0(VALU_DEP_2)
	v_add_nc_u32_e32 v12, 0x78, v12
.LBB36_215:                             ; =>This Inner Loop Header: Depth=1
	scratch_load_b64 v[89:90], v12, off
	v_dual_mov_b32 v91, s5 :: v_dual_add_nc_u32 v88, -1, v88
	v_add_nc_u32_e32 v12, 8, v12
	s_add_i32 s5, s5, 8
	ds_load_b64 v[91:92], v91
	v_cmp_eq_u32_e32 vcc_lo, 0, v88
	s_or_b32 s1, vcc_lo, s1
	s_waitcnt vmcnt(0) lgkmcnt(0)
	v_fma_f64 v[1:2], v[89:90], v[91:92], v[1:2]
	s_and_not1_b32 exec_lo, exec_lo, s1
	s_cbranch_execnz .LBB36_215
; %bb.216:
	s_or_b32 exec_lo, exec_lo, s1
.LBB36_217:
	s_delay_alu instid0(SALU_CYCLE_1)
	s_or_b32 exec_lo, exec_lo, s4
	v_mov_b32_e32 v12, 0
	ds_load_b64 v[88:89], v12 offset:112
	s_waitcnt lgkmcnt(0)
	v_mul_f64 v[1:2], v[1:2], v[88:89]
	scratch_store_b64 off, v[1:2], off offset:112
.LBB36_218:
	s_or_b32 exec_lo, exec_lo, s2
	scratch_load_b64 v[1:2], off, off offset:104
	v_cmp_lt_u32_e64 s1, 13, v0
	s_waitcnt vmcnt(0)
	ds_store_b64 v3, v[1:2]
	s_waitcnt lgkmcnt(0)
	s_waitcnt_vscnt null, 0x0
	s_barrier
	buffer_gl0_inv
	s_and_saveexec_b32 s2, s1
	s_cbranch_execz .LBB36_228
; %bb.219:
	s_and_not1_b32 vcc_lo, exec_lo, s3
	s_cbranch_vccnz .LBB36_221
; %bb.220:
	scratch_load_b64 v[1:2], v4, off
	ds_load_b64 v[88:89], v3
	s_waitcnt vmcnt(0) lgkmcnt(0)
	v_mul_f64 v[1:2], v[1:2], v[88:89]
	s_cbranch_execz .LBB36_222
	s_branch .LBB36_223
.LBB36_221:
                                        ; implicit-def: $vgpr1_vgpr2
.LBB36_222:
	ds_load_b64 v[1:2], v3
.LBB36_223:
	s_and_saveexec_b32 s4, s0
	s_cbranch_execz .LBB36_227
; %bb.224:
	v_add_nc_u32_e32 v12, -14, v0
	s_movk_i32 s5, 0x1a0
	s_mov_b32 s0, 0
.LBB36_225:                             ; =>This Inner Loop Header: Depth=1
	scratch_load_b64 v[88:89], v11, off
	v_dual_mov_b32 v90, s5 :: v_dual_add_nc_u32 v11, 8, v11
	v_add_nc_u32_e32 v12, -1, v12
	s_add_i32 s5, s5, 8
	ds_load_b64 v[90:91], v90
	v_cmp_eq_u32_e32 vcc_lo, 0, v12
	s_or_b32 s0, vcc_lo, s0
	s_waitcnt vmcnt(0) lgkmcnt(0)
	v_fma_f64 v[1:2], v[88:89], v[90:91], v[1:2]
	s_and_not1_b32 exec_lo, exec_lo, s0
	s_cbranch_execnz .LBB36_225
; %bb.226:
	s_or_b32 exec_lo, exec_lo, s0
.LBB36_227:
	s_delay_alu instid0(SALU_CYCLE_1)
	s_or_b32 exec_lo, exec_lo, s4
	v_mov_b32_e32 v11, 0
	ds_load_b64 v[11:12], v11 offset:104
	s_waitcnt lgkmcnt(0)
	v_mul_f64 v[1:2], v[1:2], v[11:12]
	scratch_store_b64 off, v[1:2], off offset:104
.LBB36_228:
	s_or_b32 exec_lo, exec_lo, s2
	scratch_load_b64 v[1:2], off, off offset:96
	v_cmp_lt_u32_e64 s0, 12, v0
	s_waitcnt vmcnt(0)
	ds_store_b64 v3, v[1:2]
	s_waitcnt lgkmcnt(0)
	s_waitcnt_vscnt null, 0x0
	s_barrier
	buffer_gl0_inv
	s_and_saveexec_b32 s2, s0
	s_cbranch_execz .LBB36_238
; %bb.229:
	s_and_not1_b32 vcc_lo, exec_lo, s3
	s_cbranch_vccnz .LBB36_231
; %bb.230:
	scratch_load_b64 v[1:2], v4, off
	ds_load_b64 v[11:12], v3
	s_waitcnt vmcnt(0) lgkmcnt(0)
	v_mul_f64 v[1:2], v[1:2], v[11:12]
	s_cbranch_execz .LBB36_232
	s_branch .LBB36_233
.LBB36_231:
                                        ; implicit-def: $vgpr1_vgpr2
.LBB36_232:
	ds_load_b64 v[1:2], v3
.LBB36_233:
	s_and_saveexec_b32 s4, s1
	s_cbranch_execz .LBB36_237
; %bb.234:
	v_dual_mov_b32 v11, 0 :: v_dual_add_nc_u32 v12, -13, v0
	s_movk_i32 s5, 0x198
	s_mov_b32 s1, 0
	s_delay_alu instid0(VALU_DEP_1)
	v_add_nc_u32_e32 v11, 0x68, v11
.LBB36_235:                             ; =>This Inner Loop Header: Depth=1
	scratch_load_b64 v[88:89], v11, off
	v_dual_mov_b32 v90, s5 :: v_dual_add_nc_u32 v11, 8, v11
	v_add_nc_u32_e32 v12, -1, v12
	s_add_i32 s5, s5, 8
	ds_load_b64 v[90:91], v90
	v_cmp_eq_u32_e32 vcc_lo, 0, v12
	s_or_b32 s1, vcc_lo, s1
	s_waitcnt vmcnt(0) lgkmcnt(0)
	v_fma_f64 v[1:2], v[88:89], v[90:91], v[1:2]
	s_and_not1_b32 exec_lo, exec_lo, s1
	s_cbranch_execnz .LBB36_235
; %bb.236:
	s_or_b32 exec_lo, exec_lo, s1
.LBB36_237:
	s_delay_alu instid0(SALU_CYCLE_1)
	s_or_b32 exec_lo, exec_lo, s4
	v_mov_b32_e32 v11, 0
	ds_load_b64 v[11:12], v11 offset:96
	s_waitcnt lgkmcnt(0)
	v_mul_f64 v[1:2], v[1:2], v[11:12]
	scratch_store_b64 off, v[1:2], off offset:96
.LBB36_238:
	s_or_b32 exec_lo, exec_lo, s2
	scratch_load_b64 v[1:2], off, off offset:88
	v_cmp_lt_u32_e64 s1, 11, v0
	s_waitcnt vmcnt(0)
	ds_store_b64 v3, v[1:2]
	s_waitcnt lgkmcnt(0)
	s_waitcnt_vscnt null, 0x0
	s_barrier
	buffer_gl0_inv
	s_and_saveexec_b32 s2, s1
	s_cbranch_execz .LBB36_248
; %bb.239:
	s_and_not1_b32 vcc_lo, exec_lo, s3
	s_cbranch_vccnz .LBB36_241
; %bb.240:
	scratch_load_b64 v[1:2], v4, off
	ds_load_b64 v[11:12], v3
	s_waitcnt vmcnt(0) lgkmcnt(0)
	v_mul_f64 v[1:2], v[1:2], v[11:12]
	s_cbranch_execz .LBB36_242
	s_branch .LBB36_243
.LBB36_241:
                                        ; implicit-def: $vgpr1_vgpr2
.LBB36_242:
	ds_load_b64 v[1:2], v3
.LBB36_243:
	s_and_saveexec_b32 s4, s0
	s_cbranch_execz .LBB36_247
; %bb.244:
	v_add_nc_u32_e32 v11, -12, v0
	s_movk_i32 s5, 0x190
	s_mov_b32 s0, 0
.LBB36_245:                             ; =>This Inner Loop Header: Depth=1
	scratch_load_b64 v[88:89], v10, off
	v_dual_mov_b32 v12, s5 :: v_dual_add_nc_u32 v11, -1, v11
	v_add_nc_u32_e32 v10, 8, v10
	s_add_i32 s5, s5, 8
	ds_load_b64 v[90:91], v12
	v_cmp_eq_u32_e32 vcc_lo, 0, v11
	s_or_b32 s0, vcc_lo, s0
	s_waitcnt vmcnt(0) lgkmcnt(0)
	v_fma_f64 v[1:2], v[88:89], v[90:91], v[1:2]
	s_and_not1_b32 exec_lo, exec_lo, s0
	s_cbranch_execnz .LBB36_245
; %bb.246:
	s_or_b32 exec_lo, exec_lo, s0
.LBB36_247:
	s_delay_alu instid0(SALU_CYCLE_1)
	s_or_b32 exec_lo, exec_lo, s4
	v_mov_b32_e32 v10, 0
	ds_load_b64 v[10:11], v10 offset:88
	s_waitcnt lgkmcnt(0)
	v_mul_f64 v[1:2], v[1:2], v[10:11]
	scratch_store_b64 off, v[1:2], off offset:88
.LBB36_248:
	s_or_b32 exec_lo, exec_lo, s2
	scratch_load_b64 v[1:2], off, off offset:80
	v_cmp_lt_u32_e64 s0, 10, v0
	s_waitcnt vmcnt(0)
	ds_store_b64 v3, v[1:2]
	s_waitcnt lgkmcnt(0)
	s_waitcnt_vscnt null, 0x0
	s_barrier
	buffer_gl0_inv
	s_and_saveexec_b32 s2, s0
	s_cbranch_execz .LBB36_258
; %bb.249:
	s_and_not1_b32 vcc_lo, exec_lo, s3
	s_cbranch_vccnz .LBB36_251
; %bb.250:
	scratch_load_b64 v[1:2], v4, off
	ds_load_b64 v[10:11], v3
	s_waitcnt vmcnt(0) lgkmcnt(0)
	v_mul_f64 v[1:2], v[1:2], v[10:11]
	s_cbranch_execz .LBB36_252
	s_branch .LBB36_253
.LBB36_251:
                                        ; implicit-def: $vgpr1_vgpr2
.LBB36_252:
	ds_load_b64 v[1:2], v3
.LBB36_253:
	s_and_saveexec_b32 s4, s1
	s_cbranch_execz .LBB36_257
; %bb.254:
	v_dual_mov_b32 v10, 0 :: v_dual_add_nc_u32 v11, -11, v0
	s_movk_i32 s5, 0x188
	s_mov_b32 s1, 0
	s_delay_alu instid0(VALU_DEP_1)
	v_add_nc_u32_e32 v10, 0x58, v10
.LBB36_255:                             ; =>This Inner Loop Header: Depth=1
	scratch_load_b64 v[88:89], v10, off
	v_dual_mov_b32 v12, s5 :: v_dual_add_nc_u32 v11, -1, v11
	v_add_nc_u32_e32 v10, 8, v10
	s_add_i32 s5, s5, 8
	ds_load_b64 v[90:91], v12
	v_cmp_eq_u32_e32 vcc_lo, 0, v11
	s_or_b32 s1, vcc_lo, s1
	s_waitcnt vmcnt(0) lgkmcnt(0)
	v_fma_f64 v[1:2], v[88:89], v[90:91], v[1:2]
	s_and_not1_b32 exec_lo, exec_lo, s1
	s_cbranch_execnz .LBB36_255
; %bb.256:
	s_or_b32 exec_lo, exec_lo, s1
.LBB36_257:
	s_delay_alu instid0(SALU_CYCLE_1)
	s_or_b32 exec_lo, exec_lo, s4
	v_mov_b32_e32 v10, 0
	ds_load_b64 v[10:11], v10 offset:80
	s_waitcnt lgkmcnt(0)
	v_mul_f64 v[1:2], v[1:2], v[10:11]
	scratch_store_b64 off, v[1:2], off offset:80
.LBB36_258:
	s_or_b32 exec_lo, exec_lo, s2
	scratch_load_b64 v[1:2], off, off offset:72
	v_cmp_lt_u32_e64 s1, 9, v0
	s_waitcnt vmcnt(0)
	ds_store_b64 v3, v[1:2]
	s_waitcnt lgkmcnt(0)
	s_waitcnt_vscnt null, 0x0
	s_barrier
	buffer_gl0_inv
	s_and_saveexec_b32 s2, s1
	s_cbranch_execz .LBB36_268
; %bb.259:
	s_and_not1_b32 vcc_lo, exec_lo, s3
	s_cbranch_vccnz .LBB36_261
; %bb.260:
	scratch_load_b64 v[1:2], v4, off
	ds_load_b64 v[10:11], v3
	s_waitcnt vmcnt(0) lgkmcnt(0)
	v_mul_f64 v[1:2], v[1:2], v[10:11]
	s_cbranch_execz .LBB36_262
	s_branch .LBB36_263
.LBB36_261:
                                        ; implicit-def: $vgpr1_vgpr2
.LBB36_262:
	ds_load_b64 v[1:2], v3
.LBB36_263:
	s_and_saveexec_b32 s4, s0
	s_cbranch_execz .LBB36_267
; %bb.264:
	v_add_nc_u32_e32 v10, -10, v0
	s_movk_i32 s5, 0x180
	s_mov_b32 s0, 0
.LBB36_265:                             ; =>This Inner Loop Header: Depth=1
	scratch_load_b64 v[11:12], v9, off
	v_dual_mov_b32 v88, s5 :: v_dual_add_nc_u32 v9, 8, v9
	v_add_nc_u32_e32 v10, -1, v10
	s_add_i32 s5, s5, 8
	ds_load_b64 v[88:89], v88
	v_cmp_eq_u32_e32 vcc_lo, 0, v10
	s_or_b32 s0, vcc_lo, s0
	s_waitcnt vmcnt(0) lgkmcnt(0)
	v_fma_f64 v[1:2], v[11:12], v[88:89], v[1:2]
	s_and_not1_b32 exec_lo, exec_lo, s0
	s_cbranch_execnz .LBB36_265
; %bb.266:
	s_or_b32 exec_lo, exec_lo, s0
.LBB36_267:
	s_delay_alu instid0(SALU_CYCLE_1)
	s_or_b32 exec_lo, exec_lo, s4
	v_mov_b32_e32 v9, 0
	ds_load_b64 v[9:10], v9 offset:72
	s_waitcnt lgkmcnt(0)
	v_mul_f64 v[1:2], v[1:2], v[9:10]
	scratch_store_b64 off, v[1:2], off offset:72
.LBB36_268:
	s_or_b32 exec_lo, exec_lo, s2
	scratch_load_b64 v[1:2], off, off offset:64
	v_cmp_lt_u32_e64 s0, 8, v0
	s_waitcnt vmcnt(0)
	ds_store_b64 v3, v[1:2]
	s_waitcnt lgkmcnt(0)
	s_waitcnt_vscnt null, 0x0
	s_barrier
	buffer_gl0_inv
	s_and_saveexec_b32 s2, s0
	s_cbranch_execz .LBB36_278
; %bb.269:
	s_and_not1_b32 vcc_lo, exec_lo, s3
	s_cbranch_vccnz .LBB36_271
; %bb.270:
	scratch_load_b64 v[1:2], v4, off
	ds_load_b64 v[9:10], v3
	s_waitcnt vmcnt(0) lgkmcnt(0)
	v_mul_f64 v[1:2], v[1:2], v[9:10]
	s_cbranch_execz .LBB36_272
	s_branch .LBB36_273
.LBB36_271:
                                        ; implicit-def: $vgpr1_vgpr2
.LBB36_272:
	ds_load_b64 v[1:2], v3
.LBB36_273:
	s_and_saveexec_b32 s4, s1
	s_cbranch_execz .LBB36_277
; %bb.274:
	v_dual_mov_b32 v9, 0 :: v_dual_add_nc_u32 v10, -9, v0
	s_movk_i32 s5, 0x178
	s_mov_b32 s1, 0
	s_delay_alu instid0(VALU_DEP_1)
	v_add_nc_u32_e32 v9, 0x48, v9
.LBB36_275:                             ; =>This Inner Loop Header: Depth=1
	scratch_load_b64 v[11:12], v9, off
	v_dual_mov_b32 v88, s5 :: v_dual_add_nc_u32 v9, 8, v9
	v_add_nc_u32_e32 v10, -1, v10
	s_add_i32 s5, s5, 8
	ds_load_b64 v[88:89], v88
	v_cmp_eq_u32_e32 vcc_lo, 0, v10
	s_or_b32 s1, vcc_lo, s1
	s_waitcnt vmcnt(0) lgkmcnt(0)
	v_fma_f64 v[1:2], v[11:12], v[88:89], v[1:2]
	s_and_not1_b32 exec_lo, exec_lo, s1
	s_cbranch_execnz .LBB36_275
; %bb.276:
	s_or_b32 exec_lo, exec_lo, s1
.LBB36_277:
	s_delay_alu instid0(SALU_CYCLE_1)
	s_or_b32 exec_lo, exec_lo, s4
	v_mov_b32_e32 v9, 0
	ds_load_b64 v[9:10], v9 offset:64
	s_waitcnt lgkmcnt(0)
	v_mul_f64 v[1:2], v[1:2], v[9:10]
	scratch_store_b64 off, v[1:2], off offset:64
.LBB36_278:
	s_or_b32 exec_lo, exec_lo, s2
	scratch_load_b64 v[1:2], off, off offset:56
	v_cmp_lt_u32_e64 s1, 7, v0
	s_waitcnt vmcnt(0)
	ds_store_b64 v3, v[1:2]
	s_waitcnt lgkmcnt(0)
	s_waitcnt_vscnt null, 0x0
	s_barrier
	buffer_gl0_inv
	s_and_saveexec_b32 s2, s1
	s_cbranch_execz .LBB36_288
; %bb.279:
	s_and_not1_b32 vcc_lo, exec_lo, s3
	s_cbranch_vccnz .LBB36_281
; %bb.280:
	scratch_load_b64 v[1:2], v4, off
	ds_load_b64 v[9:10], v3
	s_waitcnt vmcnt(0) lgkmcnt(0)
	v_mul_f64 v[1:2], v[1:2], v[9:10]
	s_cbranch_execz .LBB36_282
	s_branch .LBB36_283
.LBB36_281:
                                        ; implicit-def: $vgpr1_vgpr2
.LBB36_282:
	ds_load_b64 v[1:2], v3
.LBB36_283:
	s_and_saveexec_b32 s4, s0
	s_cbranch_execz .LBB36_287
; %bb.284:
	v_add_nc_u32_e32 v9, -8, v0
	s_movk_i32 s5, 0x170
	s_mov_b32 s0, 0
.LBB36_285:                             ; =>This Inner Loop Header: Depth=1
	scratch_load_b64 v[10:11], v8, off
	v_dual_mov_b32 v12, s5 :: v_dual_add_nc_u32 v9, -1, v9
	v_add_nc_u32_e32 v8, 8, v8
	s_add_i32 s5, s5, 8
	ds_load_b64 v[88:89], v12
	v_cmp_eq_u32_e32 vcc_lo, 0, v9
	s_or_b32 s0, vcc_lo, s0
	s_waitcnt vmcnt(0) lgkmcnt(0)
	v_fma_f64 v[1:2], v[10:11], v[88:89], v[1:2]
	s_and_not1_b32 exec_lo, exec_lo, s0
	s_cbranch_execnz .LBB36_285
; %bb.286:
	s_or_b32 exec_lo, exec_lo, s0
.LBB36_287:
	s_delay_alu instid0(SALU_CYCLE_1)
	s_or_b32 exec_lo, exec_lo, s4
	v_mov_b32_e32 v8, 0
	ds_load_b64 v[8:9], v8 offset:56
	s_waitcnt lgkmcnt(0)
	v_mul_f64 v[1:2], v[1:2], v[8:9]
	scratch_store_b64 off, v[1:2], off offset:56
.LBB36_288:
	s_or_b32 exec_lo, exec_lo, s2
	scratch_load_b64 v[1:2], off, off offset:48
	v_cmp_lt_u32_e64 s0, 6, v0
	s_waitcnt vmcnt(0)
	ds_store_b64 v3, v[1:2]
	s_waitcnt lgkmcnt(0)
	s_waitcnt_vscnt null, 0x0
	s_barrier
	buffer_gl0_inv
	s_and_saveexec_b32 s2, s0
	s_cbranch_execz .LBB36_298
; %bb.289:
	s_and_not1_b32 vcc_lo, exec_lo, s3
	s_cbranch_vccnz .LBB36_291
; %bb.290:
	scratch_load_b64 v[1:2], v4, off
	ds_load_b64 v[8:9], v3
	s_waitcnt vmcnt(0) lgkmcnt(0)
	v_mul_f64 v[1:2], v[1:2], v[8:9]
	s_cbranch_execz .LBB36_292
	s_branch .LBB36_293
.LBB36_291:
                                        ; implicit-def: $vgpr1_vgpr2
.LBB36_292:
	ds_load_b64 v[1:2], v3
.LBB36_293:
	s_and_saveexec_b32 s4, s1
	s_cbranch_execz .LBB36_297
; %bb.294:
	v_add_nc_u32_e64 v8, 0, 56
	v_add_nc_u32_e32 v9, -7, v0
	s_movk_i32 s5, 0x168
	s_mov_b32 s1, 0
.LBB36_295:                             ; =>This Inner Loop Header: Depth=1
	scratch_load_b64 v[10:11], v8, off
	v_dual_mov_b32 v12, s5 :: v_dual_add_nc_u32 v9, -1, v9
	v_add_nc_u32_e32 v8, 8, v8
	s_add_i32 s5, s5, 8
	ds_load_b64 v[88:89], v12
	v_cmp_eq_u32_e32 vcc_lo, 0, v9
	s_or_b32 s1, vcc_lo, s1
	s_waitcnt vmcnt(0) lgkmcnt(0)
	v_fma_f64 v[1:2], v[10:11], v[88:89], v[1:2]
	s_and_not1_b32 exec_lo, exec_lo, s1
	s_cbranch_execnz .LBB36_295
; %bb.296:
	s_or_b32 exec_lo, exec_lo, s1
.LBB36_297:
	s_delay_alu instid0(SALU_CYCLE_1)
	s_or_b32 exec_lo, exec_lo, s4
	v_mov_b32_e32 v8, 0
	ds_load_b64 v[8:9], v8 offset:48
	s_waitcnt lgkmcnt(0)
	v_mul_f64 v[1:2], v[1:2], v[8:9]
	scratch_store_b64 off, v[1:2], off offset:48
.LBB36_298:
	s_or_b32 exec_lo, exec_lo, s2
	scratch_load_b64 v[1:2], off, off offset:40
	v_cmp_lt_u32_e64 s1, 5, v0
	s_waitcnt vmcnt(0)
	ds_store_b64 v3, v[1:2]
	s_waitcnt lgkmcnt(0)
	s_waitcnt_vscnt null, 0x0
	s_barrier
	buffer_gl0_inv
	s_and_saveexec_b32 s2, s1
	s_cbranch_execz .LBB36_308
; %bb.299:
	s_and_not1_b32 vcc_lo, exec_lo, s3
	s_cbranch_vccnz .LBB36_301
; %bb.300:
	scratch_load_b64 v[1:2], v4, off
	ds_load_b64 v[8:9], v3
	s_waitcnt vmcnt(0) lgkmcnt(0)
	v_mul_f64 v[1:2], v[1:2], v[8:9]
	s_cbranch_execz .LBB36_302
	s_branch .LBB36_303
.LBB36_301:
                                        ; implicit-def: $vgpr1_vgpr2
.LBB36_302:
	ds_load_b64 v[1:2], v3
.LBB36_303:
	s_and_saveexec_b32 s4, s0
	s_cbranch_execz .LBB36_307
; %bb.304:
	v_add_nc_u32_e32 v8, -6, v0
	s_movk_i32 s5, 0x160
	s_mov_b32 s0, 0
.LBB36_305:                             ; =>This Inner Loop Header: Depth=1
	scratch_load_b64 v[9:10], v7, off
	v_dual_mov_b32 v11, s5 :: v_dual_add_nc_u32 v8, -1, v8
	v_add_nc_u32_e32 v7, 8, v7
	s_add_i32 s5, s5, 8
	ds_load_b64 v[11:12], v11
	v_cmp_eq_u32_e32 vcc_lo, 0, v8
	s_or_b32 s0, vcc_lo, s0
	s_waitcnt vmcnt(0) lgkmcnt(0)
	v_fma_f64 v[1:2], v[9:10], v[11:12], v[1:2]
	s_and_not1_b32 exec_lo, exec_lo, s0
	s_cbranch_execnz .LBB36_305
; %bb.306:
	s_or_b32 exec_lo, exec_lo, s0
.LBB36_307:
	s_delay_alu instid0(SALU_CYCLE_1)
	s_or_b32 exec_lo, exec_lo, s4
	v_mov_b32_e32 v7, 0
	ds_load_b64 v[7:8], v7 offset:40
	s_waitcnt lgkmcnt(0)
	v_mul_f64 v[1:2], v[1:2], v[7:8]
	scratch_store_b64 off, v[1:2], off offset:40
.LBB36_308:
	s_or_b32 exec_lo, exec_lo, s2
	scratch_load_b64 v[1:2], off, off offset:32
	v_cmp_lt_u32_e64 s0, 4, v0
	s_waitcnt vmcnt(0)
	ds_store_b64 v3, v[1:2]
	s_waitcnt lgkmcnt(0)
	s_waitcnt_vscnt null, 0x0
	s_barrier
	buffer_gl0_inv
	s_and_saveexec_b32 s2, s0
	s_cbranch_execz .LBB36_318
; %bb.309:
	s_and_not1_b32 vcc_lo, exec_lo, s3
	s_cbranch_vccnz .LBB36_311
; %bb.310:
	scratch_load_b64 v[1:2], v4, off
	ds_load_b64 v[7:8], v3
	s_waitcnt vmcnt(0) lgkmcnt(0)
	v_mul_f64 v[1:2], v[1:2], v[7:8]
	s_cbranch_execz .LBB36_312
	s_branch .LBB36_313
.LBB36_311:
                                        ; implicit-def: $vgpr1_vgpr2
.LBB36_312:
	ds_load_b64 v[1:2], v3
.LBB36_313:
	s_and_saveexec_b32 s4, s1
	s_cbranch_execz .LBB36_317
; %bb.314:
	v_add_nc_u32_e64 v7, 0, 40
	v_add_nc_u32_e32 v8, -5, v0
	s_movk_i32 s5, 0x158
	s_mov_b32 s1, 0
.LBB36_315:                             ; =>This Inner Loop Header: Depth=1
	scratch_load_b64 v[9:10], v7, off
	v_dual_mov_b32 v11, s5 :: v_dual_add_nc_u32 v8, -1, v8
	v_add_nc_u32_e32 v7, 8, v7
	s_add_i32 s5, s5, 8
	ds_load_b64 v[11:12], v11
	v_cmp_eq_u32_e32 vcc_lo, 0, v8
	s_or_b32 s1, vcc_lo, s1
	s_waitcnt vmcnt(0) lgkmcnt(0)
	v_fma_f64 v[1:2], v[9:10], v[11:12], v[1:2]
	s_and_not1_b32 exec_lo, exec_lo, s1
	s_cbranch_execnz .LBB36_315
; %bb.316:
	s_or_b32 exec_lo, exec_lo, s1
.LBB36_317:
	s_delay_alu instid0(SALU_CYCLE_1)
	s_or_b32 exec_lo, exec_lo, s4
	v_mov_b32_e32 v7, 0
	ds_load_b64 v[7:8], v7 offset:32
	s_waitcnt lgkmcnt(0)
	v_mul_f64 v[1:2], v[1:2], v[7:8]
	scratch_store_b64 off, v[1:2], off offset:32
.LBB36_318:
	s_or_b32 exec_lo, exec_lo, s2
	scratch_load_b64 v[1:2], off, off offset:24
	v_cmp_lt_u32_e64 s1, 3, v0
	s_waitcnt vmcnt(0)
	ds_store_b64 v3, v[1:2]
	s_waitcnt lgkmcnt(0)
	s_waitcnt_vscnt null, 0x0
	s_barrier
	buffer_gl0_inv
	s_and_saveexec_b32 s2, s1
	s_cbranch_execz .LBB36_328
; %bb.319:
	s_and_not1_b32 vcc_lo, exec_lo, s3
	s_cbranch_vccnz .LBB36_321
; %bb.320:
	scratch_load_b64 v[1:2], v4, off
	ds_load_b64 v[7:8], v3
	s_waitcnt vmcnt(0) lgkmcnt(0)
	v_mul_f64 v[1:2], v[1:2], v[7:8]
	s_cbranch_execz .LBB36_322
	s_branch .LBB36_323
.LBB36_321:
                                        ; implicit-def: $vgpr1_vgpr2
.LBB36_322:
	ds_load_b64 v[1:2], v3
.LBB36_323:
	s_and_saveexec_b32 s4, s0
	s_cbranch_execz .LBB36_327
; %bb.324:
	v_add_nc_u32_e32 v7, -4, v0
	s_movk_i32 s5, 0x150
	s_mov_b32 s0, 0
.LBB36_325:                             ; =>This Inner Loop Header: Depth=1
	scratch_load_b64 v[8:9], v6, off
	v_dual_mov_b32 v10, s5 :: v_dual_add_nc_u32 v7, -1, v7
	v_add_nc_u32_e32 v6, 8, v6
	s_add_i32 s5, s5, 8
	ds_load_b64 v[10:11], v10
	v_cmp_eq_u32_e32 vcc_lo, 0, v7
	s_or_b32 s0, vcc_lo, s0
	s_waitcnt vmcnt(0) lgkmcnt(0)
	v_fma_f64 v[1:2], v[8:9], v[10:11], v[1:2]
	s_and_not1_b32 exec_lo, exec_lo, s0
	s_cbranch_execnz .LBB36_325
; %bb.326:
	s_or_b32 exec_lo, exec_lo, s0
.LBB36_327:
	s_delay_alu instid0(SALU_CYCLE_1)
	s_or_b32 exec_lo, exec_lo, s4
	v_mov_b32_e32 v6, 0
	ds_load_b64 v[6:7], v6 offset:24
	s_waitcnt lgkmcnt(0)
	v_mul_f64 v[1:2], v[1:2], v[6:7]
	scratch_store_b64 off, v[1:2], off offset:24
.LBB36_328:
	s_or_b32 exec_lo, exec_lo, s2
	scratch_load_b64 v[1:2], off, off offset:16
	v_cmp_lt_u32_e64 s0, 2, v0
	s_waitcnt vmcnt(0)
	ds_store_b64 v3, v[1:2]
	s_waitcnt lgkmcnt(0)
	s_waitcnt_vscnt null, 0x0
	s_barrier
	buffer_gl0_inv
	s_and_saveexec_b32 s2, s0
	s_cbranch_execz .LBB36_338
; %bb.329:
	s_and_not1_b32 vcc_lo, exec_lo, s3
	s_cbranch_vccnz .LBB36_331
; %bb.330:
	scratch_load_b64 v[1:2], v4, off
	ds_load_b64 v[6:7], v3
	s_waitcnt vmcnt(0) lgkmcnt(0)
	v_mul_f64 v[1:2], v[1:2], v[6:7]
	s_cbranch_execz .LBB36_332
	s_branch .LBB36_333
.LBB36_331:
                                        ; implicit-def: $vgpr1_vgpr2
.LBB36_332:
	ds_load_b64 v[1:2], v3
.LBB36_333:
	s_and_saveexec_b32 s4, s1
	s_cbranch_execz .LBB36_337
; %bb.334:
	v_add_nc_u32_e64 v6, 0, 24
	v_add_nc_u32_e32 v7, -3, v0
	s_movk_i32 s5, 0x148
	s_mov_b32 s1, 0
.LBB36_335:                             ; =>This Inner Loop Header: Depth=1
	scratch_load_b64 v[8:9], v6, off
	v_dual_mov_b32 v10, s5 :: v_dual_add_nc_u32 v7, -1, v7
	v_add_nc_u32_e32 v6, 8, v6
	s_add_i32 s5, s5, 8
	ds_load_b64 v[10:11], v10
	v_cmp_eq_u32_e32 vcc_lo, 0, v7
	s_or_b32 s1, vcc_lo, s1
	s_waitcnt vmcnt(0) lgkmcnt(0)
	v_fma_f64 v[1:2], v[8:9], v[10:11], v[1:2]
	s_and_not1_b32 exec_lo, exec_lo, s1
	s_cbranch_execnz .LBB36_335
; %bb.336:
	s_or_b32 exec_lo, exec_lo, s1
.LBB36_337:
	s_delay_alu instid0(SALU_CYCLE_1)
	s_or_b32 exec_lo, exec_lo, s4
	v_mov_b32_e32 v6, 0
	ds_load_b64 v[6:7], v6 offset:16
	s_waitcnt lgkmcnt(0)
	v_mul_f64 v[1:2], v[1:2], v[6:7]
	scratch_store_b64 off, v[1:2], off offset:16
.LBB36_338:
	s_or_b32 exec_lo, exec_lo, s2
	scratch_load_b64 v[1:2], off, off offset:8
	v_cmp_lt_u32_e64 s1, 1, v0
	s_waitcnt vmcnt(0)
	ds_store_b64 v3, v[1:2]
	s_waitcnt lgkmcnt(0)
	s_waitcnt_vscnt null, 0x0
	s_barrier
	buffer_gl0_inv
	s_and_saveexec_b32 s2, s1
	s_cbranch_execz .LBB36_348
; %bb.339:
	s_and_not1_b32 vcc_lo, exec_lo, s3
	s_cbranch_vccnz .LBB36_341
; %bb.340:
	scratch_load_b64 v[1:2], v4, off
	ds_load_b64 v[6:7], v3
	s_waitcnt vmcnt(0) lgkmcnt(0)
	v_mul_f64 v[1:2], v[1:2], v[6:7]
	s_cbranch_execz .LBB36_342
	s_branch .LBB36_343
.LBB36_341:
                                        ; implicit-def: $vgpr1_vgpr2
.LBB36_342:
	ds_load_b64 v[1:2], v3
.LBB36_343:
	s_and_saveexec_b32 s4, s0
	s_cbranch_execz .LBB36_347
; %bb.344:
	v_add_nc_u32_e32 v6, -2, v0
	s_movk_i32 s5, 0x140
	s_mov_b32 s0, 0
.LBB36_345:                             ; =>This Inner Loop Header: Depth=1
	scratch_load_b64 v[7:8], v5, off
	v_dual_mov_b32 v9, s5 :: v_dual_add_nc_u32 v6, -1, v6
	v_add_nc_u32_e32 v5, 8, v5
	s_add_i32 s5, s5, 8
	ds_load_b64 v[9:10], v9
	v_cmp_eq_u32_e32 vcc_lo, 0, v6
	s_or_b32 s0, vcc_lo, s0
	s_waitcnt vmcnt(0) lgkmcnt(0)
	v_fma_f64 v[1:2], v[7:8], v[9:10], v[1:2]
	s_and_not1_b32 exec_lo, exec_lo, s0
	s_cbranch_execnz .LBB36_345
; %bb.346:
	s_or_b32 exec_lo, exec_lo, s0
.LBB36_347:
	s_delay_alu instid0(SALU_CYCLE_1)
	s_or_b32 exec_lo, exec_lo, s4
	v_mov_b32_e32 v5, 0
	ds_load_b64 v[5:6], v5 offset:8
	s_waitcnt lgkmcnt(0)
	v_mul_f64 v[1:2], v[1:2], v[5:6]
	scratch_store_b64 off, v[1:2], off offset:8
.LBB36_348:
	s_or_b32 exec_lo, exec_lo, s2
	scratch_load_b64 v[1:2], off, off
	s_mov_b32 s0, 0
	s_mov_b32 s2, exec_lo
	s_waitcnt vmcnt(0)
	ds_store_b64 v3, v[1:2]
	s_waitcnt lgkmcnt(0)
	s_waitcnt_vscnt null, 0x0
	s_barrier
	buffer_gl0_inv
	v_cmpx_ne_u32_e32 0, v0
	s_cbranch_execz .LBB36_358
; %bb.349:
	s_and_not1_b32 vcc_lo, exec_lo, s3
	s_cbranch_vccnz .LBB36_351
; %bb.350:
	scratch_load_b64 v[1:2], v4, off
	ds_load_b64 v[5:6], v3
	s_waitcnt vmcnt(0) lgkmcnt(0)
	v_mul_f64 v[1:2], v[1:2], v[5:6]
	s_cbranch_execz .LBB36_352
	s_branch .LBB36_353
.LBB36_351:
                                        ; implicit-def: $vgpr1_vgpr2
.LBB36_352:
	ds_load_b64 v[1:2], v3
.LBB36_353:
	s_and_saveexec_b32 s4, s1
	s_cbranch_execz .LBB36_357
; %bb.354:
	v_or_b32_e64 v5, 0, 8
	v_add_nc_u32_e32 v6, -1, v0
	s_movk_i32 s5, 0x138
	s_mov_b32 s1, 0
.LBB36_355:                             ; =>This Inner Loop Header: Depth=1
	scratch_load_b64 v[7:8], v5, off
	v_dual_mov_b32 v9, s5 :: v_dual_add_nc_u32 v6, -1, v6
	v_add_nc_u32_e32 v5, 8, v5
	s_add_i32 s5, s5, 8
	ds_load_b64 v[9:10], v9
	v_cmp_eq_u32_e32 vcc_lo, 0, v6
	s_or_b32 s1, vcc_lo, s1
	s_waitcnt vmcnt(0) lgkmcnt(0)
	v_fma_f64 v[1:2], v[7:8], v[9:10], v[1:2]
	s_and_not1_b32 exec_lo, exec_lo, s1
	s_cbranch_execnz .LBB36_355
; %bb.356:
	s_or_b32 exec_lo, exec_lo, s1
.LBB36_357:
	s_delay_alu instid0(SALU_CYCLE_1)
	s_or_b32 exec_lo, exec_lo, s4
	v_mov_b32_e32 v5, 0
	ds_load_b64 v[5:6], v5
	s_waitcnt lgkmcnt(0)
	v_mul_f64 v[1:2], v[1:2], v[5:6]
	scratch_store_b64 off, v[1:2], off
.LBB36_358:
	s_or_b32 exec_lo, exec_lo, s2
.LBB36_359:
	s_delay_alu instid0(SALU_CYCLE_1)
	s_and_b32 vcc_lo, exec_lo, s0
	s_cbranch_vccz .LBB36_715
; %bb.360:
	scratch_load_b64 v[1:2], off, off offset:8
	v_cmp_eq_u32_e64 s0, 0, v0
	s_waitcnt vmcnt(0)
	ds_store_b64 v3, v[1:2]
	s_waitcnt lgkmcnt(0)
	s_waitcnt_vscnt null, 0x0
	s_barrier
	buffer_gl0_inv
	s_and_saveexec_b32 s1, s0
	s_cbranch_execz .LBB36_366
; %bb.361:
	s_and_b32 vcc_lo, exec_lo, s3
	s_cbranch_vccz .LBB36_363
; %bb.362:
	scratch_load_b64 v[1:2], v4, off
	ds_load_b64 v[5:6], v3
	s_waitcnt vmcnt(0) lgkmcnt(0)
	v_mul_f64 v[1:2], v[1:2], v[5:6]
	s_cbranch_execz .LBB36_364
	s_branch .LBB36_365
.LBB36_363:
                                        ; implicit-def: $vgpr1_vgpr2
.LBB36_364:
	ds_load_b64 v[1:2], v3
.LBB36_365:
	v_mov_b32_e32 v5, 0
	ds_load_b64 v[5:6], v5 offset:8
	s_waitcnt lgkmcnt(0)
	v_mul_f64 v[1:2], v[1:2], v[5:6]
	scratch_store_b64 off, v[1:2], off offset:8
.LBB36_366:
	s_or_b32 exec_lo, exec_lo, s1
	scratch_load_b64 v[1:2], off, off offset:16
	v_cndmask_b32_e64 v5, 0, 1, s3
	s_mov_b32 s1, exec_lo
	s_waitcnt vmcnt(0)
	ds_store_b64 v3, v[1:2]
	s_waitcnt lgkmcnt(0)
	s_waitcnt_vscnt null, 0x0
	s_barrier
	buffer_gl0_inv
	v_cmpx_gt_u32_e32 2, v0
	s_cbranch_execz .LBB36_374
; %bb.367:
	s_and_not1_b32 vcc_lo, exec_lo, s3
	s_cbranch_vccnz .LBB36_369
; %bb.368:
	scratch_load_b64 v[1:2], v4, off
	ds_load_b64 v[6:7], v3
	s_waitcnt vmcnt(0) lgkmcnt(0)
	v_mul_f64 v[1:2], v[1:2], v[6:7]
	s_cbranch_execz .LBB36_370
	s_branch .LBB36_371
.LBB36_369:
                                        ; implicit-def: $vgpr1_vgpr2
.LBB36_370:
	ds_load_b64 v[1:2], v3
.LBB36_371:
	s_and_saveexec_b32 s2, s0
	s_cbranch_execz .LBB36_373
; %bb.372:
	scratch_load_b64 v[6:7], v4, off offset:8
	ds_load_b64 v[8:9], v3 offset:8
	s_waitcnt vmcnt(0) lgkmcnt(0)
	v_fma_f64 v[1:2], v[6:7], v[8:9], v[1:2]
.LBB36_373:
	s_or_b32 exec_lo, exec_lo, s2
	v_mov_b32_e32 v6, 0
	ds_load_b64 v[6:7], v6 offset:16
	s_waitcnt lgkmcnt(0)
	v_mul_f64 v[1:2], v[1:2], v[6:7]
	scratch_store_b64 off, v[1:2], off offset:16
.LBB36_374:
	s_or_b32 exec_lo, exec_lo, s1
	scratch_load_b64 v[1:2], off, off offset:24
	s_mov_b32 s1, exec_lo
	s_waitcnt vmcnt(0)
	ds_store_b64 v3, v[1:2]
	s_waitcnt lgkmcnt(0)
	s_waitcnt_vscnt null, 0x0
	s_barrier
	buffer_gl0_inv
	v_cmpx_gt_u32_e32 3, v0
	s_cbranch_execz .LBB36_384
; %bb.375:
	v_cmp_ne_u32_e32 vcc_lo, 1, v5
	s_cbranch_vccnz .LBB36_377
; %bb.376:
	scratch_load_b64 v[1:2], v4, off
	ds_load_b64 v[6:7], v3
	s_waitcnt vmcnt(0) lgkmcnt(0)
	v_mul_f64 v[1:2], v[1:2], v[6:7]
	s_cbranch_execz .LBB36_378
	s_branch .LBB36_379
.LBB36_377:
                                        ; implicit-def: $vgpr1_vgpr2
.LBB36_378:
	ds_load_b64 v[1:2], v3
.LBB36_379:
	s_mov_b32 s2, exec_lo
	v_cmpx_ne_u32_e32 2, v0
	s_cbranch_execz .LBB36_383
; %bb.380:
	scratch_load_b64 v[6:7], v4, off offset:8
	ds_load_b64 v[8:9], v3 offset:8
	s_waitcnt vmcnt(0) lgkmcnt(0)
	v_fma_f64 v[1:2], v[6:7], v[8:9], v[1:2]
	s_and_saveexec_b32 s3, s0
	s_cbranch_execz .LBB36_382
; %bb.381:
	scratch_load_b64 v[6:7], off, off offset:16
	v_mov_b32_e32 v8, 0
	ds_load_b64 v[8:9], v8 offset:320
	s_waitcnt vmcnt(0) lgkmcnt(0)
	v_fma_f64 v[1:2], v[6:7], v[8:9], v[1:2]
.LBB36_382:
	s_or_b32 exec_lo, exec_lo, s3
.LBB36_383:
	s_delay_alu instid0(SALU_CYCLE_1)
	s_or_b32 exec_lo, exec_lo, s2
	v_mov_b32_e32 v6, 0
	ds_load_b64 v[6:7], v6 offset:24
	s_waitcnt lgkmcnt(0)
	v_mul_f64 v[1:2], v[1:2], v[6:7]
	scratch_store_b64 off, v[1:2], off offset:24
.LBB36_384:
	s_or_b32 exec_lo, exec_lo, s1
	scratch_load_b64 v[1:2], off, off offset:32
	s_mov_b32 s0, exec_lo
	s_waitcnt vmcnt(0)
	ds_store_b64 v3, v[1:2]
	s_waitcnt lgkmcnt(0)
	s_waitcnt_vscnt null, 0x0
	s_barrier
	buffer_gl0_inv
	v_cmpx_gt_u32_e32 4, v0
	s_cbranch_execz .LBB36_394
; %bb.385:
	v_cmp_ne_u32_e32 vcc_lo, 1, v5
	s_cbranch_vccnz .LBB36_387
; %bb.386:
	scratch_load_b64 v[1:2], v4, off
	ds_load_b64 v[6:7], v3
	s_waitcnt vmcnt(0) lgkmcnt(0)
	v_mul_f64 v[1:2], v[1:2], v[6:7]
	s_cbranch_execz .LBB36_388
	s_branch .LBB36_389
.LBB36_387:
                                        ; implicit-def: $vgpr1_vgpr2
.LBB36_388:
	ds_load_b64 v[1:2], v3
.LBB36_389:
	s_mov_b32 s1, exec_lo
	v_cmpx_ne_u32_e32 3, v0
	s_cbranch_execz .LBB36_393
; %bb.390:
	v_add_nc_u32_e32 v6, 0x138, v87
	v_add3_u32 v7, 0, v87, 8
	v_mov_b32_e32 v8, v0
	s_mov_b32 s2, 0
.LBB36_391:                             ; =>This Inner Loop Header: Depth=1
	scratch_load_b64 v[9:10], v7, off
	ds_load_b64 v[11:12], v6
	v_add_nc_u32_e32 v8, 1, v8
	v_add_nc_u32_e32 v6, 8, v6
	v_add_nc_u32_e32 v7, 8, v7
	s_delay_alu instid0(VALU_DEP_3)
	v_cmp_lt_u32_e32 vcc_lo, 2, v8
	s_or_b32 s2, vcc_lo, s2
	s_waitcnt vmcnt(0) lgkmcnt(0)
	v_fma_f64 v[1:2], v[9:10], v[11:12], v[1:2]
	s_and_not1_b32 exec_lo, exec_lo, s2
	s_cbranch_execnz .LBB36_391
; %bb.392:
	s_or_b32 exec_lo, exec_lo, s2
.LBB36_393:
	s_delay_alu instid0(SALU_CYCLE_1)
	s_or_b32 exec_lo, exec_lo, s1
	v_mov_b32_e32 v6, 0
	ds_load_b64 v[6:7], v6 offset:32
	s_waitcnt lgkmcnt(0)
	v_mul_f64 v[1:2], v[1:2], v[6:7]
	scratch_store_b64 off, v[1:2], off offset:32
.LBB36_394:
	s_or_b32 exec_lo, exec_lo, s0
	scratch_load_b64 v[1:2], off, off offset:40
	s_mov_b32 s0, exec_lo
	s_waitcnt vmcnt(0)
	ds_store_b64 v3, v[1:2]
	s_waitcnt lgkmcnt(0)
	s_waitcnt_vscnt null, 0x0
	s_barrier
	buffer_gl0_inv
	v_cmpx_gt_u32_e32 5, v0
	s_cbranch_execz .LBB36_404
; %bb.395:
	v_cmp_ne_u32_e32 vcc_lo, 1, v5
	s_cbranch_vccnz .LBB36_397
; %bb.396:
	scratch_load_b64 v[1:2], v4, off
	ds_load_b64 v[6:7], v3
	s_waitcnt vmcnt(0) lgkmcnt(0)
	v_mul_f64 v[1:2], v[1:2], v[6:7]
	s_cbranch_execz .LBB36_398
	s_branch .LBB36_399
.LBB36_397:
                                        ; implicit-def: $vgpr1_vgpr2
.LBB36_398:
	ds_load_b64 v[1:2], v3
.LBB36_399:
	s_mov_b32 s1, exec_lo
	v_cmpx_ne_u32_e32 4, v0
	s_cbranch_execz .LBB36_403
; %bb.400:
	v_add_nc_u32_e32 v6, 0x138, v87
	v_add3_u32 v7, 0, v87, 8
	v_mov_b32_e32 v8, v0
	s_mov_b32 s2, 0
.LBB36_401:                             ; =>This Inner Loop Header: Depth=1
	scratch_load_b64 v[9:10], v7, off
	ds_load_b64 v[11:12], v6
	v_add_nc_u32_e32 v8, 1, v8
	v_add_nc_u32_e32 v6, 8, v6
	v_add_nc_u32_e32 v7, 8, v7
	s_delay_alu instid0(VALU_DEP_3)
	v_cmp_lt_u32_e32 vcc_lo, 3, v8
	s_or_b32 s2, vcc_lo, s2
	s_waitcnt vmcnt(0) lgkmcnt(0)
	v_fma_f64 v[1:2], v[9:10], v[11:12], v[1:2]
	s_and_not1_b32 exec_lo, exec_lo, s2
	s_cbranch_execnz .LBB36_401
; %bb.402:
	s_or_b32 exec_lo, exec_lo, s2
.LBB36_403:
	s_delay_alu instid0(SALU_CYCLE_1)
	s_or_b32 exec_lo, exec_lo, s1
	v_mov_b32_e32 v6, 0
	ds_load_b64 v[6:7], v6 offset:40
	s_waitcnt lgkmcnt(0)
	v_mul_f64 v[1:2], v[1:2], v[6:7]
	scratch_store_b64 off, v[1:2], off offset:40
.LBB36_404:
	;; [unrolled: 58-line block ×31, first 2 shown]
	s_or_b32 exec_lo, exec_lo, s0
	scratch_load_b64 v[1:2], off, off offset:280
	v_cmp_gt_u32_e64 s0, 35, v0
	s_waitcnt vmcnt(0)
	ds_store_b64 v3, v[1:2]
	s_waitcnt lgkmcnt(0)
	s_waitcnt_vscnt null, 0x0
	s_barrier
	buffer_gl0_inv
	s_and_saveexec_b32 s1, s0
	s_cbranch_execz .LBB36_704
; %bb.695:
	v_cmp_ne_u32_e32 vcc_lo, 1, v5
	s_cbranch_vccnz .LBB36_697
; %bb.696:
	scratch_load_b64 v[1:2], v4, off
	ds_load_b64 v[6:7], v3
	s_waitcnt vmcnt(0) lgkmcnt(0)
	v_mul_f64 v[1:2], v[1:2], v[6:7]
	s_cbranch_execz .LBB36_698
	s_branch .LBB36_699
.LBB36_697:
                                        ; implicit-def: $vgpr1_vgpr2
.LBB36_698:
	ds_load_b64 v[1:2], v3
.LBB36_699:
	s_mov_b32 s2, exec_lo
	v_cmpx_ne_u32_e32 34, v0
	s_cbranch_execz .LBB36_703
; %bb.700:
	v_add_nc_u32_e32 v6, 0x138, v87
	v_add3_u32 v7, 0, v87, 8
	v_mov_b32_e32 v8, v0
	s_mov_b32 s3, 0
.LBB36_701:                             ; =>This Inner Loop Header: Depth=1
	scratch_load_b64 v[9:10], v7, off
	ds_load_b64 v[11:12], v6
	v_add_nc_u32_e32 v8, 1, v8
	v_add_nc_u32_e32 v6, 8, v6
	;; [unrolled: 1-line block ×3, first 2 shown]
	s_delay_alu instid0(VALU_DEP_3)
	v_cmp_lt_u32_e32 vcc_lo, 33, v8
	s_or_b32 s3, vcc_lo, s3
	s_waitcnt vmcnt(0) lgkmcnt(0)
	v_fma_f64 v[1:2], v[9:10], v[11:12], v[1:2]
	s_and_not1_b32 exec_lo, exec_lo, s3
	s_cbranch_execnz .LBB36_701
; %bb.702:
	s_or_b32 exec_lo, exec_lo, s3
.LBB36_703:
	s_delay_alu instid0(SALU_CYCLE_1)
	s_or_b32 exec_lo, exec_lo, s2
	v_mov_b32_e32 v6, 0
	ds_load_b64 v[6:7], v6 offset:280
	s_waitcnt lgkmcnt(0)
	v_mul_f64 v[1:2], v[1:2], v[6:7]
	scratch_store_b64 off, v[1:2], off offset:280
.LBB36_704:
	s_or_b32 exec_lo, exec_lo, s1
	scratch_load_b64 v[1:2], off, off offset:288
	s_mov_b32 s1, exec_lo
	s_waitcnt vmcnt(0)
	ds_store_b64 v3, v[1:2]
	s_waitcnt lgkmcnt(0)
	s_waitcnt_vscnt null, 0x0
	s_barrier
	buffer_gl0_inv
	v_cmpx_ne_u32_e32 36, v0
	s_cbranch_execz .LBB36_714
; %bb.705:
	v_cmp_ne_u32_e32 vcc_lo, 1, v5
	s_cbranch_vccnz .LBB36_707
; %bb.706:
	scratch_load_b64 v[1:2], v4, off
	ds_load_b64 v[4:5], v3
	s_waitcnt vmcnt(0) lgkmcnt(0)
	v_mul_f64 v[1:2], v[1:2], v[4:5]
	s_cbranch_execz .LBB36_708
	s_branch .LBB36_709
.LBB36_707:
                                        ; implicit-def: $vgpr1_vgpr2
.LBB36_708:
	ds_load_b64 v[1:2], v3
.LBB36_709:
	s_and_saveexec_b32 s2, s0
	s_cbranch_execz .LBB36_713
; %bb.710:
	v_add_nc_u32_e32 v3, 0x138, v87
	v_add3_u32 v4, 0, v87, 8
	s_mov_b32 s0, 0
.LBB36_711:                             ; =>This Inner Loop Header: Depth=1
	scratch_load_b64 v[5:6], v4, off
	ds_load_b64 v[7:8], v3
	v_add_nc_u32_e32 v0, 1, v0
	v_add_nc_u32_e32 v3, 8, v3
	;; [unrolled: 1-line block ×3, first 2 shown]
	s_delay_alu instid0(VALU_DEP_3)
	v_cmp_lt_u32_e32 vcc_lo, 34, v0
	s_or_b32 s0, vcc_lo, s0
	s_waitcnt vmcnt(0) lgkmcnt(0)
	v_fma_f64 v[1:2], v[5:6], v[7:8], v[1:2]
	s_and_not1_b32 exec_lo, exec_lo, s0
	s_cbranch_execnz .LBB36_711
; %bb.712:
	s_or_b32 exec_lo, exec_lo, s0
.LBB36_713:
	s_delay_alu instid0(SALU_CYCLE_1)
	s_or_b32 exec_lo, exec_lo, s2
	v_mov_b32_e32 v0, 0
	ds_load_b64 v[3:4], v0 offset:288
	s_waitcnt lgkmcnt(0)
	v_mul_f64 v[0:1], v[1:2], v[3:4]
	scratch_store_b64 off, v[0:1], off offset:288
.LBB36_714:
	s_or_b32 exec_lo, exec_lo, s1
.LBB36_715:
	s_clause 0xb
	scratch_load_b128 v[0:3], off, off
	scratch_load_b128 v[4:7], off, off offset:16
	scratch_load_b128 v[8:11], off, off offset:32
	;; [unrolled: 1-line block ×11, first 2 shown]
	s_waitcnt vmcnt(11)
	s_clause 0x1
	global_store_b64 v[19:20], v[0:1], off
	global_store_b64 v[23:24], v[2:3], off
	s_waitcnt vmcnt(10)
	s_clause 0x1
	global_store_b64 v[15:16], v[4:5], off
	global_store_b64 v[13:14], v[6:7], off
	scratch_load_b128 v[4:7], off, off offset:208
	s_waitcnt vmcnt(10)
	s_clause 0x1
	global_store_b64 v[17:18], v[8:9], off
	global_store_b64 v[21:22], v[10:11], off
	s_waitcnt vmcnt(9)
	s_clause 0x1
	global_store_b64 v[25:26], v[87:88], off
	global_store_b64 v[29:30], v[89:90], off
	s_clause 0x5
	scratch_load_b128 v[0:3], off, off offset:176
	scratch_load_b128 v[12:15], off, off offset:224
	;; [unrolled: 1-line block ×5, first 2 shown]
	scratch_load_b64 v[24:25], off, off offset:288
	s_waitcnt vmcnt(14)
	s_clause 0x1
	global_store_b64 v[27:28], v[91:92], off
	global_store_b64 v[31:32], v[93:94], off
	s_waitcnt vmcnt(13)
	s_clause 0x1
	global_store_b64 v[33:34], v[95:96], off
	global_store_b64 v[35:36], v[97:98], off
	;; [unrolled: 4-line block ×8, first 2 shown]
	global_store_b64 v[61:62], v[119:120], off
	global_store_b64 v[63:64], v[121:122], off
	;; [unrolled: 1-line block ×4, first 2 shown]
	s_waitcnt vmcnt(4)
	s_clause 0x1
	global_store_b64 v[69:70], v[12:13], off
	global_store_b64 v[71:72], v[14:15], off
	s_waitcnt vmcnt(3)
	s_clause 0x1
	global_store_b64 v[73:74], v[8:9], off
	global_store_b64 v[75:76], v[10:11], off
	;; [unrolled: 4-line block ×4, first 2 shown]
	s_waitcnt vmcnt(0)
	global_store_b64 v[85:86], v[24:25], off
.LBB36_716:
	s_endpgm
	.section	.rodata,"a",@progbits
	.p2align	6, 0x0
	.amdhsa_kernel _ZN9rocsolver6v33100L18trti2_kernel_smallILi37EdPdEEv13rocblas_fill_17rocblas_diagonal_T1_iil
		.amdhsa_group_segment_fixed_size 600
		.amdhsa_private_segment_fixed_size 304
		.amdhsa_kernarg_size 32
		.amdhsa_user_sgpr_count 15
		.amdhsa_user_sgpr_dispatch_ptr 0
		.amdhsa_user_sgpr_queue_ptr 0
		.amdhsa_user_sgpr_kernarg_segment_ptr 1
		.amdhsa_user_sgpr_dispatch_id 0
		.amdhsa_user_sgpr_private_segment_size 0
		.amdhsa_wavefront_size32 1
		.amdhsa_uses_dynamic_stack 0
		.amdhsa_enable_private_segment 1
		.amdhsa_system_sgpr_workgroup_id_x 1
		.amdhsa_system_sgpr_workgroup_id_y 0
		.amdhsa_system_sgpr_workgroup_id_z 0
		.amdhsa_system_sgpr_workgroup_info 0
		.amdhsa_system_vgpr_workitem_id 0
		.amdhsa_next_free_vgpr 123
		.amdhsa_next_free_sgpr 16
		.amdhsa_reserve_vcc 1
		.amdhsa_float_round_mode_32 0
		.amdhsa_float_round_mode_16_64 0
		.amdhsa_float_denorm_mode_32 3
		.amdhsa_float_denorm_mode_16_64 3
		.amdhsa_dx10_clamp 1
		.amdhsa_ieee_mode 1
		.amdhsa_fp16_overflow 0
		.amdhsa_workgroup_processor_mode 1
		.amdhsa_memory_ordered 1
		.amdhsa_forward_progress 0
		.amdhsa_shared_vgpr_count 0
		.amdhsa_exception_fp_ieee_invalid_op 0
		.amdhsa_exception_fp_denorm_src 0
		.amdhsa_exception_fp_ieee_div_zero 0
		.amdhsa_exception_fp_ieee_overflow 0
		.amdhsa_exception_fp_ieee_underflow 0
		.amdhsa_exception_fp_ieee_inexact 0
		.amdhsa_exception_int_div_zero 0
	.end_amdhsa_kernel
	.section	.text._ZN9rocsolver6v33100L18trti2_kernel_smallILi37EdPdEEv13rocblas_fill_17rocblas_diagonal_T1_iil,"axG",@progbits,_ZN9rocsolver6v33100L18trti2_kernel_smallILi37EdPdEEv13rocblas_fill_17rocblas_diagonal_T1_iil,comdat
.Lfunc_end36:
	.size	_ZN9rocsolver6v33100L18trti2_kernel_smallILi37EdPdEEv13rocblas_fill_17rocblas_diagonal_T1_iil, .Lfunc_end36-_ZN9rocsolver6v33100L18trti2_kernel_smallILi37EdPdEEv13rocblas_fill_17rocblas_diagonal_T1_iil
                                        ; -- End function
	.section	.AMDGPU.csdata,"",@progbits
; Kernel info:
; codeLenInByte = 20044
; NumSgprs: 18
; NumVgprs: 123
; ScratchSize: 304
; MemoryBound: 0
; FloatMode: 240
; IeeeMode: 1
; LDSByteSize: 600 bytes/workgroup (compile time only)
; SGPRBlocks: 2
; VGPRBlocks: 15
; NumSGPRsForWavesPerEU: 18
; NumVGPRsForWavesPerEU: 123
; Occupancy: 10
; WaveLimiterHint : 0
; COMPUTE_PGM_RSRC2:SCRATCH_EN: 1
; COMPUTE_PGM_RSRC2:USER_SGPR: 15
; COMPUTE_PGM_RSRC2:TRAP_HANDLER: 0
; COMPUTE_PGM_RSRC2:TGID_X_EN: 1
; COMPUTE_PGM_RSRC2:TGID_Y_EN: 0
; COMPUTE_PGM_RSRC2:TGID_Z_EN: 0
; COMPUTE_PGM_RSRC2:TIDIG_COMP_CNT: 0
	.section	.text._ZN9rocsolver6v33100L18trti2_kernel_smallILi38EdPdEEv13rocblas_fill_17rocblas_diagonal_T1_iil,"axG",@progbits,_ZN9rocsolver6v33100L18trti2_kernel_smallILi38EdPdEEv13rocblas_fill_17rocblas_diagonal_T1_iil,comdat
	.globl	_ZN9rocsolver6v33100L18trti2_kernel_smallILi38EdPdEEv13rocblas_fill_17rocblas_diagonal_T1_iil ; -- Begin function _ZN9rocsolver6v33100L18trti2_kernel_smallILi38EdPdEEv13rocblas_fill_17rocblas_diagonal_T1_iil
	.p2align	8
	.type	_ZN9rocsolver6v33100L18trti2_kernel_smallILi38EdPdEEv13rocblas_fill_17rocblas_diagonal_T1_iil,@function
_ZN9rocsolver6v33100L18trti2_kernel_smallILi38EdPdEEv13rocblas_fill_17rocblas_diagonal_T1_iil: ; @_ZN9rocsolver6v33100L18trti2_kernel_smallILi38EdPdEEv13rocblas_fill_17rocblas_diagonal_T1_iil
; %bb.0:
	s_mov_b32 s2, exec_lo
	v_cmpx_gt_u32_e32 38, v0
	s_cbranch_execz .LBB37_736
; %bb.1:
	s_load_b256 s[0:7], s[0:1], 0x0
	s_ashr_i32 s8, s15, 31
	v_lshlrev_b32_e32 v79, 3, v0
	s_waitcnt lgkmcnt(0)
	s_mul_i32 s7, s15, s7
	s_mul_hi_u32 s9, s15, s6
	s_mul_i32 s8, s8, s6
	s_add_i32 s7, s9, s7
	s_mul_i32 s6, s15, s6
	s_add_i32 s7, s7, s8
	s_ashr_i32 s9, s4, 31
	s_lshl_b64 s[6:7], s[6:7], 3
	s_mov_b32 s8, s4
	s_add_u32 s4, s2, s6
	s_addc_u32 s7, s3, s7
	s_lshl_b64 s[2:3], s[8:9], 3
	v_add3_u32 v5, s5, s5, v0
	s_add_u32 s2, s4, s2
	s_addc_u32 s3, s7, s3
	v_add_co_u32 v9, s4, s2, v79
	s_mov_b32 s6, s5
	s_ashr_i32 s7, s5, 31
	v_add_co_ci_u32_e64 v10, null, s3, 0, s4
	s_lshl_b64 s[6:7], s[6:7], 3
	v_add_nc_u32_e32 v17, s5, v5
	v_add_co_u32 v11, vcc_lo, v9, s6
	v_ashrrev_i32_e32 v6, 31, v5
	v_add_co_ci_u32_e32 v12, vcc_lo, s7, v10, vcc_lo
	s_delay_alu instid0(VALU_DEP_4)
	v_ashrrev_i32_e32 v18, 31, v17
	s_clause 0x1
	global_load_b64 v[1:2], v79, s[2:3]
	global_load_b64 v[3:4], v[11:12], off
	v_lshlrev_b64 v[5:6], 3, v[5:6]
	s_cmpk_lg_i32 s1, 0x84
	v_lshlrev_b64 v[7:8], 3, v[17:18]
	v_add_nc_u32_e32 v17, s5, v17
	s_delay_alu instid0(VALU_DEP_3) | instskip(NEXT) | instid1(VALU_DEP_4)
	v_add_co_u32 v13, vcc_lo, s2, v5
	v_add_co_ci_u32_e32 v14, vcc_lo, s3, v6, vcc_lo
	s_delay_alu instid0(VALU_DEP_4)
	v_add_co_u32 v15, vcc_lo, s2, v7
	v_add_co_ci_u32_e32 v16, vcc_lo, s3, v8, vcc_lo
	s_clause 0x1
	global_load_b64 v[5:6], v[13:14], off
	global_load_b64 v[7:8], v[15:16], off
	v_add_nc_u32_e32 v19, s5, v17
	v_ashrrev_i32_e32 v18, 31, v17
	s_delay_alu instid0(VALU_DEP_2) | instskip(SKIP_1) | instid1(VALU_DEP_3)
	v_add_nc_u32_e32 v21, s5, v19
	v_ashrrev_i32_e32 v20, 31, v19
	v_lshlrev_b64 v[17:18], 3, v[17:18]
	s_delay_alu instid0(VALU_DEP_3) | instskip(NEXT) | instid1(VALU_DEP_3)
	v_add_nc_u32_e32 v23, s5, v21
	v_lshlrev_b64 v[19:20], 3, v[19:20]
	v_ashrrev_i32_e32 v22, 31, v21
	s_delay_alu instid0(VALU_DEP_4) | instskip(NEXT) | instid1(VALU_DEP_4)
	v_add_co_u32 v25, vcc_lo, s2, v17
	v_add_nc_u32_e32 v29, s5, v23
	v_ashrrev_i32_e32 v24, 31, v23
	v_add_co_ci_u32_e32 v26, vcc_lo, s3, v18, vcc_lo
	v_lshlrev_b64 v[17:18], 3, v[21:22]
	s_delay_alu instid0(VALU_DEP_4) | instskip(SKIP_2) | instid1(VALU_DEP_3)
	v_add_nc_u32_e32 v31, s5, v29
	v_add_co_u32 v27, vcc_lo, s2, v19
	v_add_co_ci_u32_e32 v28, vcc_lo, s3, v20, vcc_lo
	v_add_nc_u32_e32 v33, s5, v31
	v_lshlrev_b64 v[19:20], 3, v[23:24]
	v_ashrrev_i32_e32 v30, 31, v29
	v_add_co_u32 v21, vcc_lo, s2, v17
	s_delay_alu instid0(VALU_DEP_4) | instskip(SKIP_3) | instid1(VALU_DEP_4)
	v_add_nc_u32_e32 v35, s5, v33
	v_ashrrev_i32_e32 v32, 31, v31
	v_add_co_ci_u32_e32 v22, vcc_lo, s3, v18, vcc_lo
	v_lshlrev_b64 v[17:18], 3, v[29:30]
	v_add_nc_u32_e32 v37, s5, v35
	v_add_co_u32 v29, vcc_lo, s2, v19
	v_ashrrev_i32_e32 v34, 31, v33
	v_add_co_ci_u32_e32 v30, vcc_lo, s3, v20, vcc_lo
	s_delay_alu instid0(VALU_DEP_4)
	v_add_nc_u32_e32 v39, s5, v37
	v_lshlrev_b64 v[19:20], 3, v[31:32]
	v_ashrrev_i32_e32 v36, 31, v35
	s_clause 0x1
	global_load_b64 v[47:48], v[25:26], off
	global_load_b64 v[49:50], v[27:28], off
	v_add_nc_u32_e32 v41, s5, v39
	v_add_co_u32 v17, vcc_lo, s2, v17
	v_lshlrev_b64 v[23:24], 3, v[33:34]
	v_ashrrev_i32_e32 v38, 31, v37
	s_delay_alu instid0(VALU_DEP_4) | instskip(SKIP_2) | instid1(VALU_DEP_3)
	v_add_nc_u32_e32 v43, s5, v41
	v_add_co_ci_u32_e32 v18, vcc_lo, s3, v18, vcc_lo
	v_add_co_u32 v19, vcc_lo, s2, v19
	v_add_nc_u32_e32 v45, s5, v43
	v_lshlrev_b64 v[31:32], 3, v[35:36]
	v_ashrrev_i32_e32 v40, 31, v39
	v_add_co_ci_u32_e32 v20, vcc_lo, s3, v20, vcc_lo
	s_delay_alu instid0(VALU_DEP_4) | instskip(SKIP_3) | instid1(VALU_DEP_4)
	v_add_nc_u32_e32 v51, s5, v45
	v_add_co_u32 v23, vcc_lo, s2, v23
	v_lshlrev_b64 v[33:34], 3, v[37:38]
	v_ashrrev_i32_e32 v42, 31, v41
	v_add_nc_u32_e32 v77, s5, v51
	v_add_co_ci_u32_e32 v24, vcc_lo, s3, v24, vcc_lo
	v_ashrrev_i32_e32 v44, 31, v43
	v_add_co_u32 v31, vcc_lo, s2, v31
	s_delay_alu instid0(VALU_DEP_4)
	v_add_nc_u32_e32 v80, s5, v77
	v_lshlrev_b64 v[35:36], 3, v[39:40]
	v_add_co_ci_u32_e32 v32, vcc_lo, s3, v32, vcc_lo
	s_clause 0x2
	global_load_b64 v[53:54], v[21:22], off
	global_load_b64 v[55:56], v[29:30], off
	;; [unrolled: 1-line block ×3, first 2 shown]
	v_add_nc_u32_e32 v88, s5, v80
	v_add_co_u32 v33, vcc_lo, s2, v33
	v_lshlrev_b64 v[37:38], 3, v[41:42]
	global_load_b64 v[59:60], v[19:20], off
	v_add_nc_u32_e32 v90, s5, v88
	v_lshlrev_b64 v[41:42], 3, v[43:44]
	v_add_co_ci_u32_e32 v34, vcc_lo, s3, v34, vcc_lo
	v_add_co_u32 v35, vcc_lo, s2, v35
	s_delay_alu instid0(VALU_DEP_4) | instskip(SKIP_3) | instid1(VALU_DEP_4)
	v_add_nc_u32_e32 v92, s5, v90
	v_ashrrev_i32_e32 v46, 31, v45
	v_add_co_ci_u32_e32 v36, vcc_lo, s3, v36, vcc_lo
	v_add_co_u32 v39, vcc_lo, s2, v37
	v_add_nc_u32_e32 v94, s5, v92
	v_ashrrev_i32_e32 v52, 31, v51
	v_add_co_ci_u32_e32 v40, vcc_lo, s3, v38, vcc_lo
	v_lshlrev_b64 v[37:38], 3, v[45:46]
	s_delay_alu instid0(VALU_DEP_4)
	v_add_nc_u32_e32 v96, s5, v94
	v_add_co_u32 v41, vcc_lo, s2, v41
	v_lshlrev_b64 v[45:46], 3, v[51:52]
	s_clause 0x2
	global_load_b64 v[61:62], v[23:24], off
	global_load_b64 v[63:64], v[31:32], off
	;; [unrolled: 1-line block ×3, first 2 shown]
	v_add_nc_u32_e32 v98, s5, v96
	global_load_b64 v[67:68], v[35:36], off
	v_add_co_ci_u32_e32 v42, vcc_lo, s3, v42, vcc_lo
	v_ashrrev_i32_e32 v78, 31, v77
	v_add_nc_u32_e32 v100, s5, v98
	v_ashrrev_i32_e32 v81, 31, v80
	v_ashrrev_i32_e32 v89, 31, v88
	v_ashrrev_i32_e32 v91, 31, v90
	v_ashrrev_i32_e32 v93, 31, v92
	v_add_nc_u32_e32 v102, s5, v100
	v_ashrrev_i32_e32 v95, 31, v94
	v_ashrrev_i32_e32 v97, 31, v96
	;; [unrolled: 1-line block ×4, first 2 shown]
	v_add_nc_u32_e32 v104, s5, v102
	v_ashrrev_i32_e32 v103, 31, v102
	s_delay_alu instid0(VALU_DEP_2) | instskip(SKIP_1) | instid1(VALU_DEP_2)
	v_add_nc_u32_e32 v106, s5, v104
	v_ashrrev_i32_e32 v105, 31, v104
	v_add_nc_u32_e32 v108, s5, v106
	v_ashrrev_i32_e32 v107, 31, v106
	s_delay_alu instid0(VALU_DEP_2) | instskip(SKIP_1) | instid1(VALU_DEP_2)
	v_add_nc_u32_e32 v110, s5, v108
	v_ashrrev_i32_e32 v109, 31, v108
	;; [unrolled: 5-line block ×5, first 2 shown]
	v_ashrrev_i32_e32 v44, 31, v43
	s_delay_alu instid0(VALU_DEP_1) | instskip(SKIP_2) | instid1(VALU_DEP_3)
	v_lshlrev_b64 v[51:52], 3, v[43:44]
	v_add_co_u32 v43, vcc_lo, s2, v37
	v_add_co_ci_u32_e32 v44, vcc_lo, s3, v38, vcc_lo
	v_add_co_u32 v37, vcc_lo, s2, v51
	s_delay_alu instid0(VALU_DEP_4)
	v_add_co_ci_u32_e32 v38, vcc_lo, s3, v52, vcc_lo
	v_add_co_u32 v45, vcc_lo, s2, v45
	v_add_co_ci_u32_e32 v46, vcc_lo, s3, v46, vcc_lo
	global_load_b64 v[82:83], v[37:38], off
	v_lshlrev_b64 v[51:52], 3, v[92:93]
	s_waitcnt vmcnt(13)
	scratch_store_b128 off, v[1:4], off
	v_lshlrev_b64 v[1:2], 3, v[77:78]
	s_clause 0x3
	global_load_b64 v[69:70], v[39:40], off
	global_load_b64 v[71:72], v[41:42], off
	;; [unrolled: 1-line block ×4, first 2 shown]
	v_lshlrev_b64 v[3:4], 3, v[80:81]
	v_lshlrev_b64 v[77:78], 3, v[98:99]
	v_lshlrev_b64 v[80:81], 3, v[100:101]
	v_add_co_u32 v1, vcc_lo, s2, v1
	v_add_co_ci_u32_e32 v2, vcc_lo, s3, v2, vcc_lo
	v_add_co_u32 v3, vcc_lo, s2, v3
	v_add_co_ci_u32_e32 v4, vcc_lo, s3, v4, vcc_lo
	s_waitcnt vmcnt(15)
	scratch_store_b128 off, v[5:8], off offset:16
	s_clause 0x1
	global_load_b64 v[84:85], v[1:2], off
	global_load_b64 v[86:87], v[3:4], off
	v_lshlrev_b64 v[5:6], 3, v[88:89]
	v_lshlrev_b64 v[7:8], 3, v[90:91]
	s_delay_alu instid0(VALU_DEP_2) | instskip(NEXT) | instid1(VALU_DEP_3)
	v_add_co_u32 v5, vcc_lo, s2, v5
	v_add_co_ci_u32_e32 v6, vcc_lo, s3, v6, vcc_lo
	s_delay_alu instid0(VALU_DEP_3) | instskip(NEXT) | instid1(VALU_DEP_4)
	v_add_co_u32 v7, vcc_lo, s2, v7
	v_add_co_ci_u32_e32 v8, vcc_lo, s3, v8, vcc_lo
	global_load_b64 v[88:89], v[5:6], off
	s_waitcnt vmcnt(16)
	scratch_store_b128 off, v[47:50], off offset:32
	v_lshlrev_b64 v[49:50], 3, v[94:95]
	v_add_co_u32 v47, vcc_lo, s2, v51
	v_add_co_ci_u32_e32 v48, vcc_lo, s3, v52, vcc_lo
	v_lshlrev_b64 v[51:52], 3, v[96:97]
	s_delay_alu instid0(VALU_DEP_4)
	v_add_co_u32 v49, vcc_lo, s2, v49
	v_add_co_ci_u32_e32 v50, vcc_lo, s3, v50, vcc_lo
	s_waitcnt vmcnt(14)
	scratch_store_b128 off, v[53:56], off offset:48
	s_waitcnt vmcnt(12)
	scratch_store_b128 off, v[57:60], off offset:64
	v_add_co_u32 v51, vcc_lo, s2, v51
	v_add_co_ci_u32_e32 v52, vcc_lo, s3, v52, vcc_lo
	v_add_co_u32 v53, vcc_lo, s2, v77
	v_lshlrev_b64 v[57:58], 3, v[102:103]
	v_add_co_ci_u32_e32 v54, vcc_lo, s3, v78, vcc_lo
	v_add_co_u32 v55, vcc_lo, s2, v80
	v_lshlrev_b64 v[59:60], 3, v[104:105]
	;; [unrolled: 3-line block ×4, first 2 shown]
	v_add_co_ci_u32_e32 v60, vcc_lo, s3, v60, vcc_lo
	s_clause 0x3
	global_load_b64 v[90:91], v[7:8], off
	global_load_b64 v[92:93], v[47:48], off
	;; [unrolled: 1-line block ×4, first 2 shown]
	s_waitcnt vmcnt(14)
	scratch_store_b128 off, v[61:64], off offset:80
	s_waitcnt vmcnt(12)
	scratch_store_b128 off, v[65:68], off offset:96
	v_add_co_u32 v61, vcc_lo, s2, v77
	v_lshlrev_b64 v[65:66], 3, v[110:111]
	v_add_co_ci_u32_e32 v62, vcc_lo, s3, v78, vcc_lo
	v_add_co_u32 v63, vcc_lo, s2, v80
	v_lshlrev_b64 v[67:68], 3, v[112:113]
	v_add_co_ci_u32_e32 v64, vcc_lo, s3, v81, vcc_lo
	;; [unrolled: 3-line block ×4, first 2 shown]
	s_clause 0x3
	global_load_b64 v[98:99], v[53:54], off
	global_load_b64 v[100:101], v[55:56], off
	;; [unrolled: 1-line block ×4, first 2 shown]
	s_waitcnt vmcnt(13)
	scratch_store_b128 off, v[69:72], off offset:112
	s_waitcnt vmcnt(11)
	scratch_store_b128 off, v[73:76], off offset:128
	v_add_co_u32 v71, vcc_lo, s2, v77
	v_lshlrev_b64 v[69:70], 3, v[118:119]
	v_add_co_ci_u32_e32 v72, vcc_lo, s3, v78, vcc_lo
	v_add_co_u32 v73, vcc_lo, s2, v80
	v_lshlrev_b64 v[77:78], 3, v[120:121]
	v_add_co_ci_u32_e32 v74, vcc_lo, s3, v81, vcc_lo
	v_add_co_u32 v75, vcc_lo, s2, v69
	v_add_co_ci_u32_e32 v76, vcc_lo, s3, v70, vcc_lo
	s_delay_alu instid0(VALU_DEP_4)
	v_add_co_u32 v69, vcc_lo, s2, v77
	v_add_co_ci_u32_e32 v70, vcc_lo, s3, v78, vcc_lo
	s_clause 0x3
	global_load_b64 v[106:107], v[61:62], off
	global_load_b64 v[108:109], v[63:64], off
	;; [unrolled: 1-line block ×4, first 2 shown]
	s_waitcnt vmcnt(13)
	scratch_store_b128 off, v[84:87], off offset:144
	s_clause 0x3
	global_load_b64 v[114:115], v[71:72], off
	global_load_b64 v[84:85], v[73:74], off
	;; [unrolled: 1-line block ×4, first 2 shown]
	v_mov_b32_e32 v77, 0
	v_mov_b32_e32 v78, 0xbff00000
	s_cselect_b32 s2, -1, 0
	s_cmpk_eq_i32 s1, 0x84
	s_waitcnt vmcnt(15)
	scratch_store_b128 off, v[88:91], off offset:160
	s_waitcnt vmcnt(13)
	scratch_store_b128 off, v[92:95], off offset:176
	;; [unrolled: 2-line block ×9, first 2 shown]
	s_cbranch_scc1 .LBB37_3
; %bb.2:
	scratch_load_b64 v[77:78], v79, off
	s_waitcnt vmcnt(0)
	v_div_scale_f64 v[80:81], null, v[77:78], v[77:78], 1.0
	v_div_scale_f64 v[86:87], vcc_lo, 1.0, v[77:78], 1.0
	s_delay_alu instid0(VALU_DEP_2) | instskip(SKIP_2) | instid1(VALU_DEP_1)
	v_rcp_f64_e32 v[82:83], v[80:81]
	s_waitcnt_depctr 0xfff
	v_fma_f64 v[84:85], -v[80:81], v[82:83], 1.0
	v_fma_f64 v[82:83], v[82:83], v[84:85], v[82:83]
	s_delay_alu instid0(VALU_DEP_1) | instskip(NEXT) | instid1(VALU_DEP_1)
	v_fma_f64 v[84:85], -v[80:81], v[82:83], 1.0
	v_fma_f64 v[82:83], v[82:83], v[84:85], v[82:83]
	s_delay_alu instid0(VALU_DEP_1) | instskip(NEXT) | instid1(VALU_DEP_1)
	v_mul_f64 v[84:85], v[86:87], v[82:83]
	v_fma_f64 v[80:81], -v[80:81], v[84:85], v[86:87]
	s_delay_alu instid0(VALU_DEP_1) | instskip(NEXT) | instid1(VALU_DEP_1)
	v_div_fmas_f64 v[80:81], v[80:81], v[82:83], v[84:85]
	v_div_fixup_f64 v[77:78], v[80:81], v[77:78], 1.0
	scratch_store_b64 v79, v[77:78], off
	v_xor_b32_e32 v78, 0x80000000, v78
.LBB37_3:
	v_add_nc_u32_e32 v80, 0x130, v79
	v_add_nc_u32_e32 v81, 0, v79
	s_cmpk_eq_i32 s0, 0x79
	s_mov_b32 s0, -1
	ds_store_b64 v79, v[77:78]
	s_cbranch_scc1 .LBB37_369
; %bb.4:
	scratch_load_b64 v[77:78], off, off offset:288
	v_cmp_eq_u32_e64 s0, 37, v0
	s_movk_i32 s1, 0x50
	s_movk_i32 s3, 0x60
	;; [unrolled: 1-line block ×13, first 2 shown]
	s_waitcnt vmcnt(0)
	ds_store_b64 v80, v[77:78]
	s_waitcnt lgkmcnt(0)
	s_waitcnt_vscnt null, 0x0
	s_barrier
	buffer_gl0_inv
	s_and_saveexec_b32 s15, s0
	s_cbranch_execz .LBB37_10
; %bb.5:
	s_and_b32 vcc_lo, exec_lo, s2
	s_cbranch_vccz .LBB37_7
; %bb.6:
	scratch_load_b64 v[77:78], v81, off
	ds_load_b64 v[82:83], v80
	s_waitcnt vmcnt(0) lgkmcnt(0)
	v_mul_f64 v[77:78], v[77:78], v[82:83]
	s_cbranch_execz .LBB37_8
	s_branch .LBB37_9
.LBB37_7:
                                        ; implicit-def: $vgpr77_vgpr78
.LBB37_8:
	ds_load_b64 v[77:78], v80
.LBB37_9:
	v_mov_b32_e32 v82, 0
	ds_load_b64 v[82:83], v82 offset:288
	s_waitcnt lgkmcnt(0)
	v_mul_f64 v[77:78], v[77:78], v[82:83]
	scratch_store_b64 off, v[77:78], off offset:288
.LBB37_10:
	s_or_b32 exec_lo, exec_lo, s15
	scratch_load_b64 v[77:78], off, off offset:280
	v_add_nc_u32_e64 v82, 0, 16
	v_add_nc_u32_e64 v83, 0, 32
	v_add_nc_u32_e64 v84, 0, 48
	v_add_nc_u32_e64 v85, 0, 64
	v_add_nc_u32_e64 v86, s1, 0
	v_add_nc_u32_e64 v87, s3, 0
	v_add_nc_u32_e64 v88, s4, 0
	v_add_nc_u32_e64 v89, s5, 0
	v_add_nc_u32_e64 v90, s6, 0
	v_add_nc_u32_e64 v91, s7, 0
	v_add_nc_u32_e64 v92, s8, 0
	v_add_nc_u32_e64 v93, s9, 0
	v_add_nc_u32_e64 v94, s10, 0
	v_add_nc_u32_e64 v95, s11, 0
	v_add_nc_u32_e64 v96, s12, 0
	v_add_nc_u32_e64 v97, s13, 0
	v_add_nc_u32_e64 v98, s14, 0
	v_cmp_lt_u32_e64 s1, 35, v0
	s_waitcnt vmcnt(0)
	ds_store_b64 v80, v[77:78]
	s_waitcnt lgkmcnt(0)
	s_waitcnt_vscnt null, 0x0
	s_barrier
	buffer_gl0_inv
	s_and_saveexec_b32 s3, s1
	s_cbranch_execz .LBB37_18
; %bb.11:
	s_and_not1_b32 vcc_lo, exec_lo, s2
	s_cbranch_vccnz .LBB37_13
; %bb.12:
	scratch_load_b64 v[77:78], v81, off
	ds_load_b64 v[99:100], v80
	s_waitcnt vmcnt(0) lgkmcnt(0)
	v_mul_f64 v[77:78], v[77:78], v[99:100]
	s_cbranch_execz .LBB37_14
	s_branch .LBB37_15
.LBB37_13:
                                        ; implicit-def: $vgpr77_vgpr78
.LBB37_14:
	ds_load_b64 v[77:78], v80
.LBB37_15:
	s_and_saveexec_b32 s4, s0
	s_cbranch_execz .LBB37_17
; %bb.16:
	scratch_load_b64 v[99:100], off, off offset:288
	v_mov_b32_e32 v101, 0
	ds_load_b64 v[101:102], v101 offset:592
	s_waitcnt vmcnt(0) lgkmcnt(0)
	v_fma_f64 v[77:78], v[99:100], v[101:102], v[77:78]
.LBB37_17:
	s_or_b32 exec_lo, exec_lo, s4
	v_mov_b32_e32 v99, 0
	ds_load_b64 v[99:100], v99 offset:280
	s_waitcnt lgkmcnt(0)
	v_mul_f64 v[77:78], v[77:78], v[99:100]
	scratch_store_b64 off, v[77:78], off offset:280
.LBB37_18:
	s_or_b32 exec_lo, exec_lo, s3
	scratch_load_b64 v[77:78], off, off offset:272
	v_cmp_lt_u32_e64 s0, 34, v0
	s_waitcnt vmcnt(0)
	ds_store_b64 v80, v[77:78]
	s_waitcnt lgkmcnt(0)
	s_waitcnt_vscnt null, 0x0
	s_barrier
	buffer_gl0_inv
	s_and_saveexec_b32 s3, s0
	s_cbranch_execz .LBB37_28
; %bb.19:
	s_and_not1_b32 vcc_lo, exec_lo, s2
	s_cbranch_vccnz .LBB37_21
; %bb.20:
	scratch_load_b64 v[77:78], v81, off
	ds_load_b64 v[99:100], v80
	s_waitcnt vmcnt(0) lgkmcnt(0)
	v_mul_f64 v[77:78], v[77:78], v[99:100]
	s_cbranch_execz .LBB37_22
	s_branch .LBB37_23
.LBB37_21:
                                        ; implicit-def: $vgpr77_vgpr78
.LBB37_22:
	ds_load_b64 v[77:78], v80
.LBB37_23:
	s_and_saveexec_b32 s4, s1
	s_cbranch_execz .LBB37_27
; %bb.24:
	v_mov_b32_e32 v99, 0
	v_subrev_nc_u32_e32 v100, 35, v0
	s_movk_i32 s5, 0x248
	s_mov_b32 s1, 0
	s_delay_alu instid0(VALU_DEP_2)
	v_add_nc_u32_e32 v99, 0x118, v99
.LBB37_25:                              ; =>This Inner Loop Header: Depth=1
	scratch_load_b64 v[101:102], v99, off
	v_dual_mov_b32 v103, s5 :: v_dual_add_nc_u32 v100, -1, v100
	v_add_nc_u32_e32 v99, 8, v99
	s_add_i32 s5, s5, 8
	ds_load_b64 v[103:104], v103
	v_cmp_eq_u32_e32 vcc_lo, 0, v100
	s_or_b32 s1, vcc_lo, s1
	s_waitcnt vmcnt(0) lgkmcnt(0)
	v_fma_f64 v[77:78], v[101:102], v[103:104], v[77:78]
	s_and_not1_b32 exec_lo, exec_lo, s1
	s_cbranch_execnz .LBB37_25
; %bb.26:
	s_or_b32 exec_lo, exec_lo, s1
.LBB37_27:
	s_delay_alu instid0(SALU_CYCLE_1)
	s_or_b32 exec_lo, exec_lo, s4
	v_mov_b32_e32 v99, 0
	ds_load_b64 v[99:100], v99 offset:272
	s_waitcnt lgkmcnt(0)
	v_mul_f64 v[77:78], v[77:78], v[99:100]
	scratch_store_b64 off, v[77:78], off offset:272
.LBB37_28:
	s_or_b32 exec_lo, exec_lo, s3
	scratch_load_b64 v[77:78], off, off offset:264
	v_cmp_lt_u32_e64 s1, 33, v0
	s_waitcnt vmcnt(0)
	ds_store_b64 v80, v[77:78]
	s_waitcnt lgkmcnt(0)
	s_waitcnt_vscnt null, 0x0
	s_barrier
	buffer_gl0_inv
	s_and_saveexec_b32 s3, s1
	s_cbranch_execz .LBB37_38
; %bb.29:
	s_and_not1_b32 vcc_lo, exec_lo, s2
	s_cbranch_vccnz .LBB37_31
; %bb.30:
	scratch_load_b64 v[77:78], v81, off
	ds_load_b64 v[99:100], v80
	s_waitcnt vmcnt(0) lgkmcnt(0)
	v_mul_f64 v[77:78], v[77:78], v[99:100]
	s_cbranch_execz .LBB37_32
	s_branch .LBB37_33
.LBB37_31:
                                        ; implicit-def: $vgpr77_vgpr78
.LBB37_32:
	ds_load_b64 v[77:78], v80
.LBB37_33:
	s_and_saveexec_b32 s4, s0
	s_cbranch_execz .LBB37_37
; %bb.34:
	v_subrev_nc_u32_e32 v99, 34, v0
	s_movk_i32 s5, 0x240
	s_mov_b32 s0, 0
.LBB37_35:                              ; =>This Inner Loop Header: Depth=1
	scratch_load_b64 v[100:101], v98, off
	v_dual_mov_b32 v102, s5 :: v_dual_add_nc_u32 v99, -1, v99
	v_add_nc_u32_e32 v98, 8, v98
	s_add_i32 s5, s5, 8
	ds_load_b64 v[102:103], v102
	v_cmp_eq_u32_e32 vcc_lo, 0, v99
	s_or_b32 s0, vcc_lo, s0
	s_waitcnt vmcnt(0) lgkmcnt(0)
	v_fma_f64 v[77:78], v[100:101], v[102:103], v[77:78]
	s_and_not1_b32 exec_lo, exec_lo, s0
	s_cbranch_execnz .LBB37_35
; %bb.36:
	s_or_b32 exec_lo, exec_lo, s0
.LBB37_37:
	s_delay_alu instid0(SALU_CYCLE_1)
	s_or_b32 exec_lo, exec_lo, s4
	v_mov_b32_e32 v98, 0
	ds_load_b64 v[98:99], v98 offset:264
	s_waitcnt lgkmcnt(0)
	v_mul_f64 v[77:78], v[77:78], v[98:99]
	scratch_store_b64 off, v[77:78], off offset:264
.LBB37_38:
	s_or_b32 exec_lo, exec_lo, s3
	scratch_load_b64 v[77:78], off, off offset:256
	v_cmp_lt_u32_e64 s0, 32, v0
	s_waitcnt vmcnt(0)
	ds_store_b64 v80, v[77:78]
	s_waitcnt lgkmcnt(0)
	s_waitcnt_vscnt null, 0x0
	s_barrier
	buffer_gl0_inv
	s_and_saveexec_b32 s3, s0
	s_cbranch_execz .LBB37_48
; %bb.39:
	s_and_not1_b32 vcc_lo, exec_lo, s2
	s_cbranch_vccnz .LBB37_41
; %bb.40:
	scratch_load_b64 v[77:78], v81, off
	ds_load_b64 v[98:99], v80
	s_waitcnt vmcnt(0) lgkmcnt(0)
	v_mul_f64 v[77:78], v[77:78], v[98:99]
	s_cbranch_execz .LBB37_42
	s_branch .LBB37_43
.LBB37_41:
                                        ; implicit-def: $vgpr77_vgpr78
.LBB37_42:
	ds_load_b64 v[77:78], v80
.LBB37_43:
	s_and_saveexec_b32 s4, s1
	s_cbranch_execz .LBB37_47
; %bb.44:
	v_mov_b32_e32 v98, 0
	v_subrev_nc_u32_e32 v99, 33, v0
	s_movk_i32 s5, 0x238
	s_mov_b32 s1, 0
	s_delay_alu instid0(VALU_DEP_2)
	v_add_nc_u32_e32 v98, 0x108, v98
.LBB37_45:                              ; =>This Inner Loop Header: Depth=1
	scratch_load_b64 v[100:101], v98, off
	v_dual_mov_b32 v102, s5 :: v_dual_add_nc_u32 v99, -1, v99
	v_add_nc_u32_e32 v98, 8, v98
	s_add_i32 s5, s5, 8
	ds_load_b64 v[102:103], v102
	v_cmp_eq_u32_e32 vcc_lo, 0, v99
	s_or_b32 s1, vcc_lo, s1
	s_waitcnt vmcnt(0) lgkmcnt(0)
	v_fma_f64 v[77:78], v[100:101], v[102:103], v[77:78]
	s_and_not1_b32 exec_lo, exec_lo, s1
	s_cbranch_execnz .LBB37_45
; %bb.46:
	s_or_b32 exec_lo, exec_lo, s1
.LBB37_47:
	s_delay_alu instid0(SALU_CYCLE_1)
	s_or_b32 exec_lo, exec_lo, s4
	v_mov_b32_e32 v98, 0
	ds_load_b64 v[98:99], v98 offset:256
	s_waitcnt lgkmcnt(0)
	v_mul_f64 v[77:78], v[77:78], v[98:99]
	scratch_store_b64 off, v[77:78], off offset:256
.LBB37_48:
	s_or_b32 exec_lo, exec_lo, s3
	scratch_load_b64 v[77:78], off, off offset:248
	v_cmp_lt_u32_e64 s1, 31, v0
	s_waitcnt vmcnt(0)
	ds_store_b64 v80, v[77:78]
	s_waitcnt lgkmcnt(0)
	s_waitcnt_vscnt null, 0x0
	s_barrier
	buffer_gl0_inv
	s_and_saveexec_b32 s3, s1
	s_cbranch_execz .LBB37_58
; %bb.49:
	s_and_not1_b32 vcc_lo, exec_lo, s2
	s_cbranch_vccnz .LBB37_51
; %bb.50:
	scratch_load_b64 v[77:78], v81, off
	ds_load_b64 v[98:99], v80
	s_waitcnt vmcnt(0) lgkmcnt(0)
	v_mul_f64 v[77:78], v[77:78], v[98:99]
	s_cbranch_execz .LBB37_52
	s_branch .LBB37_53
.LBB37_51:
                                        ; implicit-def: $vgpr77_vgpr78
.LBB37_52:
	ds_load_b64 v[77:78], v80
.LBB37_53:
	s_and_saveexec_b32 s4, s0
	s_cbranch_execz .LBB37_57
; %bb.54:
	v_subrev_nc_u32_e32 v98, 32, v0
	s_movk_i32 s5, 0x230
	s_mov_b32 s0, 0
.LBB37_55:                              ; =>This Inner Loop Header: Depth=1
	scratch_load_b64 v[99:100], v97, off
	v_dual_mov_b32 v101, s5 :: v_dual_add_nc_u32 v98, -1, v98
	v_add_nc_u32_e32 v97, 8, v97
	s_add_i32 s5, s5, 8
	ds_load_b64 v[101:102], v101
	v_cmp_eq_u32_e32 vcc_lo, 0, v98
	s_or_b32 s0, vcc_lo, s0
	s_waitcnt vmcnt(0) lgkmcnt(0)
	v_fma_f64 v[77:78], v[99:100], v[101:102], v[77:78]
	s_and_not1_b32 exec_lo, exec_lo, s0
	s_cbranch_execnz .LBB37_55
; %bb.56:
	s_or_b32 exec_lo, exec_lo, s0
.LBB37_57:
	s_delay_alu instid0(SALU_CYCLE_1)
	s_or_b32 exec_lo, exec_lo, s4
	v_mov_b32_e32 v97, 0
	ds_load_b64 v[97:98], v97 offset:248
	s_waitcnt lgkmcnt(0)
	v_mul_f64 v[77:78], v[77:78], v[97:98]
	scratch_store_b64 off, v[77:78], off offset:248
.LBB37_58:
	s_or_b32 exec_lo, exec_lo, s3
	scratch_load_b64 v[77:78], off, off offset:240
	v_cmp_lt_u32_e64 s0, 30, v0
	s_waitcnt vmcnt(0)
	ds_store_b64 v80, v[77:78]
	s_waitcnt lgkmcnt(0)
	s_waitcnt_vscnt null, 0x0
	s_barrier
	buffer_gl0_inv
	s_and_saveexec_b32 s3, s0
	s_cbranch_execz .LBB37_68
; %bb.59:
	s_and_not1_b32 vcc_lo, exec_lo, s2
	s_cbranch_vccnz .LBB37_61
; %bb.60:
	scratch_load_b64 v[77:78], v81, off
	ds_load_b64 v[97:98], v80
	s_waitcnt vmcnt(0) lgkmcnt(0)
	v_mul_f64 v[77:78], v[77:78], v[97:98]
	s_cbranch_execz .LBB37_62
	s_branch .LBB37_63
.LBB37_61:
                                        ; implicit-def: $vgpr77_vgpr78
.LBB37_62:
	ds_load_b64 v[77:78], v80
.LBB37_63:
	s_and_saveexec_b32 s4, s1
	s_cbranch_execz .LBB37_67
; %bb.64:
	v_mov_b32_e32 v97, 0
	v_subrev_nc_u32_e32 v98, 31, v0
	s_movk_i32 s5, 0x228
	s_mov_b32 s1, 0
	s_delay_alu instid0(VALU_DEP_2)
	v_add_nc_u32_e32 v97, 0xf8, v97
.LBB37_65:                              ; =>This Inner Loop Header: Depth=1
	scratch_load_b64 v[99:100], v97, off
	v_dual_mov_b32 v101, s5 :: v_dual_add_nc_u32 v98, -1, v98
	v_add_nc_u32_e32 v97, 8, v97
	s_add_i32 s5, s5, 8
	ds_load_b64 v[101:102], v101
	v_cmp_eq_u32_e32 vcc_lo, 0, v98
	s_or_b32 s1, vcc_lo, s1
	s_waitcnt vmcnt(0) lgkmcnt(0)
	v_fma_f64 v[77:78], v[99:100], v[101:102], v[77:78]
	s_and_not1_b32 exec_lo, exec_lo, s1
	s_cbranch_execnz .LBB37_65
; %bb.66:
	s_or_b32 exec_lo, exec_lo, s1
.LBB37_67:
	s_delay_alu instid0(SALU_CYCLE_1)
	s_or_b32 exec_lo, exec_lo, s4
	v_mov_b32_e32 v97, 0
	ds_load_b64 v[97:98], v97 offset:240
	s_waitcnt lgkmcnt(0)
	v_mul_f64 v[77:78], v[77:78], v[97:98]
	scratch_store_b64 off, v[77:78], off offset:240
.LBB37_68:
	s_or_b32 exec_lo, exec_lo, s3
	scratch_load_b64 v[77:78], off, off offset:232
	v_cmp_lt_u32_e64 s1, 29, v0
	s_waitcnt vmcnt(0)
	ds_store_b64 v80, v[77:78]
	s_waitcnt lgkmcnt(0)
	s_waitcnt_vscnt null, 0x0
	s_barrier
	buffer_gl0_inv
	s_and_saveexec_b32 s3, s1
	s_cbranch_execz .LBB37_78
; %bb.69:
	s_and_not1_b32 vcc_lo, exec_lo, s2
	s_cbranch_vccnz .LBB37_71
; %bb.70:
	scratch_load_b64 v[77:78], v81, off
	ds_load_b64 v[97:98], v80
	s_waitcnt vmcnt(0) lgkmcnt(0)
	v_mul_f64 v[77:78], v[77:78], v[97:98]
	s_cbranch_execz .LBB37_72
	s_branch .LBB37_73
.LBB37_71:
                                        ; implicit-def: $vgpr77_vgpr78
.LBB37_72:
	ds_load_b64 v[77:78], v80
.LBB37_73:
	s_and_saveexec_b32 s4, s0
	s_cbranch_execz .LBB37_77
; %bb.74:
	v_subrev_nc_u32_e32 v97, 30, v0
	s_movk_i32 s5, 0x220
	s_mov_b32 s0, 0
.LBB37_75:                              ; =>This Inner Loop Header: Depth=1
	scratch_load_b64 v[98:99], v96, off
	v_dual_mov_b32 v100, s5 :: v_dual_add_nc_u32 v97, -1, v97
	v_add_nc_u32_e32 v96, 8, v96
	s_add_i32 s5, s5, 8
	ds_load_b64 v[100:101], v100
	v_cmp_eq_u32_e32 vcc_lo, 0, v97
	s_or_b32 s0, vcc_lo, s0
	s_waitcnt vmcnt(0) lgkmcnt(0)
	v_fma_f64 v[77:78], v[98:99], v[100:101], v[77:78]
	s_and_not1_b32 exec_lo, exec_lo, s0
	s_cbranch_execnz .LBB37_75
; %bb.76:
	s_or_b32 exec_lo, exec_lo, s0
.LBB37_77:
	s_delay_alu instid0(SALU_CYCLE_1)
	s_or_b32 exec_lo, exec_lo, s4
	v_mov_b32_e32 v96, 0
	ds_load_b64 v[96:97], v96 offset:232
	s_waitcnt lgkmcnt(0)
	v_mul_f64 v[77:78], v[77:78], v[96:97]
	scratch_store_b64 off, v[77:78], off offset:232
.LBB37_78:
	s_or_b32 exec_lo, exec_lo, s3
	scratch_load_b64 v[77:78], off, off offset:224
	v_cmp_lt_u32_e64 s0, 28, v0
	s_waitcnt vmcnt(0)
	ds_store_b64 v80, v[77:78]
	s_waitcnt lgkmcnt(0)
	s_waitcnt_vscnt null, 0x0
	s_barrier
	buffer_gl0_inv
	s_and_saveexec_b32 s3, s0
	s_cbranch_execz .LBB37_88
; %bb.79:
	s_and_not1_b32 vcc_lo, exec_lo, s2
	s_cbranch_vccnz .LBB37_81
; %bb.80:
	scratch_load_b64 v[77:78], v81, off
	ds_load_b64 v[96:97], v80
	s_waitcnt vmcnt(0) lgkmcnt(0)
	v_mul_f64 v[77:78], v[77:78], v[96:97]
	s_cbranch_execz .LBB37_82
	s_branch .LBB37_83
.LBB37_81:
                                        ; implicit-def: $vgpr77_vgpr78
.LBB37_82:
	ds_load_b64 v[77:78], v80
.LBB37_83:
	s_and_saveexec_b32 s4, s1
	s_cbranch_execz .LBB37_87
; %bb.84:
	v_mov_b32_e32 v96, 0
	v_subrev_nc_u32_e32 v97, 29, v0
	s_movk_i32 s5, 0x218
	s_mov_b32 s1, 0
	s_delay_alu instid0(VALU_DEP_2)
	v_add_nc_u32_e32 v96, 0xe8, v96
.LBB37_85:                              ; =>This Inner Loop Header: Depth=1
	scratch_load_b64 v[98:99], v96, off
	v_dual_mov_b32 v100, s5 :: v_dual_add_nc_u32 v97, -1, v97
	v_add_nc_u32_e32 v96, 8, v96
	s_add_i32 s5, s5, 8
	ds_load_b64 v[100:101], v100
	v_cmp_eq_u32_e32 vcc_lo, 0, v97
	s_or_b32 s1, vcc_lo, s1
	s_waitcnt vmcnt(0) lgkmcnt(0)
	v_fma_f64 v[77:78], v[98:99], v[100:101], v[77:78]
	s_and_not1_b32 exec_lo, exec_lo, s1
	s_cbranch_execnz .LBB37_85
; %bb.86:
	s_or_b32 exec_lo, exec_lo, s1
.LBB37_87:
	s_delay_alu instid0(SALU_CYCLE_1)
	s_or_b32 exec_lo, exec_lo, s4
	v_mov_b32_e32 v96, 0
	ds_load_b64 v[96:97], v96 offset:224
	s_waitcnt lgkmcnt(0)
	v_mul_f64 v[77:78], v[77:78], v[96:97]
	scratch_store_b64 off, v[77:78], off offset:224
.LBB37_88:
	s_or_b32 exec_lo, exec_lo, s3
	scratch_load_b64 v[77:78], off, off offset:216
	v_cmp_lt_u32_e64 s1, 27, v0
	s_waitcnt vmcnt(0)
	ds_store_b64 v80, v[77:78]
	s_waitcnt lgkmcnt(0)
	s_waitcnt_vscnt null, 0x0
	s_barrier
	buffer_gl0_inv
	s_and_saveexec_b32 s3, s1
	s_cbranch_execz .LBB37_98
; %bb.89:
	s_and_not1_b32 vcc_lo, exec_lo, s2
	s_cbranch_vccnz .LBB37_91
; %bb.90:
	scratch_load_b64 v[77:78], v81, off
	ds_load_b64 v[96:97], v80
	s_waitcnt vmcnt(0) lgkmcnt(0)
	v_mul_f64 v[77:78], v[77:78], v[96:97]
	s_cbranch_execz .LBB37_92
	s_branch .LBB37_93
.LBB37_91:
                                        ; implicit-def: $vgpr77_vgpr78
.LBB37_92:
	ds_load_b64 v[77:78], v80
.LBB37_93:
	s_and_saveexec_b32 s4, s0
	s_cbranch_execz .LBB37_97
; %bb.94:
	v_subrev_nc_u32_e32 v96, 28, v0
	s_movk_i32 s5, 0x210
	s_mov_b32 s0, 0
.LBB37_95:                              ; =>This Inner Loop Header: Depth=1
	scratch_load_b64 v[97:98], v95, off
	v_dual_mov_b32 v99, s5 :: v_dual_add_nc_u32 v96, -1, v96
	v_add_nc_u32_e32 v95, 8, v95
	s_add_i32 s5, s5, 8
	ds_load_b64 v[99:100], v99
	v_cmp_eq_u32_e32 vcc_lo, 0, v96
	s_or_b32 s0, vcc_lo, s0
	s_waitcnt vmcnt(0) lgkmcnt(0)
	v_fma_f64 v[77:78], v[97:98], v[99:100], v[77:78]
	s_and_not1_b32 exec_lo, exec_lo, s0
	s_cbranch_execnz .LBB37_95
; %bb.96:
	s_or_b32 exec_lo, exec_lo, s0
.LBB37_97:
	s_delay_alu instid0(SALU_CYCLE_1)
	s_or_b32 exec_lo, exec_lo, s4
	v_mov_b32_e32 v95, 0
	ds_load_b64 v[95:96], v95 offset:216
	s_waitcnt lgkmcnt(0)
	v_mul_f64 v[77:78], v[77:78], v[95:96]
	scratch_store_b64 off, v[77:78], off offset:216
.LBB37_98:
	s_or_b32 exec_lo, exec_lo, s3
	scratch_load_b64 v[77:78], off, off offset:208
	v_cmp_lt_u32_e64 s0, 26, v0
	s_waitcnt vmcnt(0)
	ds_store_b64 v80, v[77:78]
	s_waitcnt lgkmcnt(0)
	s_waitcnt_vscnt null, 0x0
	s_barrier
	buffer_gl0_inv
	s_and_saveexec_b32 s3, s0
	s_cbranch_execz .LBB37_108
; %bb.99:
	s_and_not1_b32 vcc_lo, exec_lo, s2
	s_cbranch_vccnz .LBB37_101
; %bb.100:
	scratch_load_b64 v[77:78], v81, off
	ds_load_b64 v[95:96], v80
	s_waitcnt vmcnt(0) lgkmcnt(0)
	v_mul_f64 v[77:78], v[77:78], v[95:96]
	s_cbranch_execz .LBB37_102
	s_branch .LBB37_103
.LBB37_101:
                                        ; implicit-def: $vgpr77_vgpr78
.LBB37_102:
	ds_load_b64 v[77:78], v80
.LBB37_103:
	s_and_saveexec_b32 s4, s1
	s_cbranch_execz .LBB37_107
; %bb.104:
	v_mov_b32_e32 v95, 0
	v_subrev_nc_u32_e32 v96, 27, v0
	s_movk_i32 s5, 0x208
	s_mov_b32 s1, 0
	s_delay_alu instid0(VALU_DEP_2)
	v_add_nc_u32_e32 v95, 0xd8, v95
.LBB37_105:                             ; =>This Inner Loop Header: Depth=1
	scratch_load_b64 v[97:98], v95, off
	v_dual_mov_b32 v99, s5 :: v_dual_add_nc_u32 v96, -1, v96
	v_add_nc_u32_e32 v95, 8, v95
	s_add_i32 s5, s5, 8
	ds_load_b64 v[99:100], v99
	v_cmp_eq_u32_e32 vcc_lo, 0, v96
	s_or_b32 s1, vcc_lo, s1
	s_waitcnt vmcnt(0) lgkmcnt(0)
	v_fma_f64 v[77:78], v[97:98], v[99:100], v[77:78]
	s_and_not1_b32 exec_lo, exec_lo, s1
	s_cbranch_execnz .LBB37_105
; %bb.106:
	s_or_b32 exec_lo, exec_lo, s1
.LBB37_107:
	s_delay_alu instid0(SALU_CYCLE_1)
	s_or_b32 exec_lo, exec_lo, s4
	v_mov_b32_e32 v95, 0
	ds_load_b64 v[95:96], v95 offset:208
	s_waitcnt lgkmcnt(0)
	v_mul_f64 v[77:78], v[77:78], v[95:96]
	scratch_store_b64 off, v[77:78], off offset:208
.LBB37_108:
	s_or_b32 exec_lo, exec_lo, s3
	scratch_load_b64 v[77:78], off, off offset:200
	v_cmp_lt_u32_e64 s1, 25, v0
	s_waitcnt vmcnt(0)
	ds_store_b64 v80, v[77:78]
	s_waitcnt lgkmcnt(0)
	s_waitcnt_vscnt null, 0x0
	s_barrier
	buffer_gl0_inv
	s_and_saveexec_b32 s3, s1
	s_cbranch_execz .LBB37_118
; %bb.109:
	s_and_not1_b32 vcc_lo, exec_lo, s2
	s_cbranch_vccnz .LBB37_111
; %bb.110:
	scratch_load_b64 v[77:78], v81, off
	ds_load_b64 v[95:96], v80
	s_waitcnt vmcnt(0) lgkmcnt(0)
	v_mul_f64 v[77:78], v[77:78], v[95:96]
	s_cbranch_execz .LBB37_112
	s_branch .LBB37_113
.LBB37_111:
                                        ; implicit-def: $vgpr77_vgpr78
.LBB37_112:
	ds_load_b64 v[77:78], v80
.LBB37_113:
	s_and_saveexec_b32 s4, s0
	s_cbranch_execz .LBB37_117
; %bb.114:
	v_subrev_nc_u32_e32 v95, 26, v0
	s_movk_i32 s5, 0x200
	s_mov_b32 s0, 0
.LBB37_115:                             ; =>This Inner Loop Header: Depth=1
	scratch_load_b64 v[96:97], v94, off
	v_dual_mov_b32 v98, s5 :: v_dual_add_nc_u32 v95, -1, v95
	v_add_nc_u32_e32 v94, 8, v94
	s_add_i32 s5, s5, 8
	ds_load_b64 v[98:99], v98
	v_cmp_eq_u32_e32 vcc_lo, 0, v95
	s_or_b32 s0, vcc_lo, s0
	s_waitcnt vmcnt(0) lgkmcnt(0)
	v_fma_f64 v[77:78], v[96:97], v[98:99], v[77:78]
	s_and_not1_b32 exec_lo, exec_lo, s0
	s_cbranch_execnz .LBB37_115
; %bb.116:
	s_or_b32 exec_lo, exec_lo, s0
.LBB37_117:
	s_delay_alu instid0(SALU_CYCLE_1)
	s_or_b32 exec_lo, exec_lo, s4
	v_mov_b32_e32 v94, 0
	ds_load_b64 v[94:95], v94 offset:200
	s_waitcnt lgkmcnt(0)
	v_mul_f64 v[77:78], v[77:78], v[94:95]
	scratch_store_b64 off, v[77:78], off offset:200
.LBB37_118:
	s_or_b32 exec_lo, exec_lo, s3
	scratch_load_b64 v[77:78], off, off offset:192
	v_cmp_lt_u32_e64 s0, 24, v0
	s_waitcnt vmcnt(0)
	ds_store_b64 v80, v[77:78]
	s_waitcnt lgkmcnt(0)
	s_waitcnt_vscnt null, 0x0
	s_barrier
	buffer_gl0_inv
	s_and_saveexec_b32 s3, s0
	s_cbranch_execz .LBB37_128
; %bb.119:
	s_and_not1_b32 vcc_lo, exec_lo, s2
	s_cbranch_vccnz .LBB37_121
; %bb.120:
	scratch_load_b64 v[77:78], v81, off
	ds_load_b64 v[94:95], v80
	s_waitcnt vmcnt(0) lgkmcnt(0)
	v_mul_f64 v[77:78], v[77:78], v[94:95]
	s_cbranch_execz .LBB37_122
	s_branch .LBB37_123
.LBB37_121:
                                        ; implicit-def: $vgpr77_vgpr78
.LBB37_122:
	ds_load_b64 v[77:78], v80
.LBB37_123:
	s_and_saveexec_b32 s4, s1
	s_cbranch_execz .LBB37_127
; %bb.124:
	v_mov_b32_e32 v94, 0
	v_subrev_nc_u32_e32 v95, 25, v0
	s_movk_i32 s5, 0x1f8
	s_mov_b32 s1, 0
	s_delay_alu instid0(VALU_DEP_2)
	v_add_nc_u32_e32 v94, 0xc8, v94
.LBB37_125:                             ; =>This Inner Loop Header: Depth=1
	scratch_load_b64 v[96:97], v94, off
	v_dual_mov_b32 v98, s5 :: v_dual_add_nc_u32 v95, -1, v95
	v_add_nc_u32_e32 v94, 8, v94
	s_add_i32 s5, s5, 8
	ds_load_b64 v[98:99], v98
	v_cmp_eq_u32_e32 vcc_lo, 0, v95
	s_or_b32 s1, vcc_lo, s1
	s_waitcnt vmcnt(0) lgkmcnt(0)
	v_fma_f64 v[77:78], v[96:97], v[98:99], v[77:78]
	s_and_not1_b32 exec_lo, exec_lo, s1
	s_cbranch_execnz .LBB37_125
; %bb.126:
	s_or_b32 exec_lo, exec_lo, s1
.LBB37_127:
	s_delay_alu instid0(SALU_CYCLE_1)
	s_or_b32 exec_lo, exec_lo, s4
	v_mov_b32_e32 v94, 0
	ds_load_b64 v[94:95], v94 offset:192
	s_waitcnt lgkmcnt(0)
	v_mul_f64 v[77:78], v[77:78], v[94:95]
	scratch_store_b64 off, v[77:78], off offset:192
.LBB37_128:
	s_or_b32 exec_lo, exec_lo, s3
	scratch_load_b64 v[77:78], off, off offset:184
	v_cmp_lt_u32_e64 s1, 23, v0
	s_waitcnt vmcnt(0)
	ds_store_b64 v80, v[77:78]
	s_waitcnt lgkmcnt(0)
	s_waitcnt_vscnt null, 0x0
	s_barrier
	buffer_gl0_inv
	s_and_saveexec_b32 s3, s1
	s_cbranch_execz .LBB37_138
; %bb.129:
	s_and_not1_b32 vcc_lo, exec_lo, s2
	s_cbranch_vccnz .LBB37_131
; %bb.130:
	scratch_load_b64 v[77:78], v81, off
	ds_load_b64 v[94:95], v80
	s_waitcnt vmcnt(0) lgkmcnt(0)
	v_mul_f64 v[77:78], v[77:78], v[94:95]
	s_cbranch_execz .LBB37_132
	s_branch .LBB37_133
.LBB37_131:
                                        ; implicit-def: $vgpr77_vgpr78
.LBB37_132:
	ds_load_b64 v[77:78], v80
.LBB37_133:
	s_and_saveexec_b32 s4, s0
	s_cbranch_execz .LBB37_137
; %bb.134:
	v_subrev_nc_u32_e32 v94, 24, v0
	s_movk_i32 s5, 0x1f0
	s_mov_b32 s0, 0
.LBB37_135:                             ; =>This Inner Loop Header: Depth=1
	scratch_load_b64 v[95:96], v93, off
	v_dual_mov_b32 v97, s5 :: v_dual_add_nc_u32 v94, -1, v94
	v_add_nc_u32_e32 v93, 8, v93
	s_add_i32 s5, s5, 8
	ds_load_b64 v[97:98], v97
	v_cmp_eq_u32_e32 vcc_lo, 0, v94
	s_or_b32 s0, vcc_lo, s0
	s_waitcnt vmcnt(0) lgkmcnt(0)
	v_fma_f64 v[77:78], v[95:96], v[97:98], v[77:78]
	s_and_not1_b32 exec_lo, exec_lo, s0
	s_cbranch_execnz .LBB37_135
; %bb.136:
	s_or_b32 exec_lo, exec_lo, s0
.LBB37_137:
	s_delay_alu instid0(SALU_CYCLE_1)
	s_or_b32 exec_lo, exec_lo, s4
	v_mov_b32_e32 v93, 0
	ds_load_b64 v[93:94], v93 offset:184
	s_waitcnt lgkmcnt(0)
	v_mul_f64 v[77:78], v[77:78], v[93:94]
	scratch_store_b64 off, v[77:78], off offset:184
.LBB37_138:
	s_or_b32 exec_lo, exec_lo, s3
	scratch_load_b64 v[77:78], off, off offset:176
	v_cmp_lt_u32_e64 s0, 22, v0
	s_waitcnt vmcnt(0)
	ds_store_b64 v80, v[77:78]
	s_waitcnt lgkmcnt(0)
	s_waitcnt_vscnt null, 0x0
	s_barrier
	buffer_gl0_inv
	s_and_saveexec_b32 s3, s0
	s_cbranch_execz .LBB37_148
; %bb.139:
	s_and_not1_b32 vcc_lo, exec_lo, s2
	s_cbranch_vccnz .LBB37_141
; %bb.140:
	scratch_load_b64 v[77:78], v81, off
	ds_load_b64 v[93:94], v80
	s_waitcnt vmcnt(0) lgkmcnt(0)
	v_mul_f64 v[77:78], v[77:78], v[93:94]
	s_cbranch_execz .LBB37_142
	s_branch .LBB37_143
.LBB37_141:
                                        ; implicit-def: $vgpr77_vgpr78
.LBB37_142:
	ds_load_b64 v[77:78], v80
.LBB37_143:
	s_and_saveexec_b32 s4, s1
	s_cbranch_execz .LBB37_147
; %bb.144:
	v_mov_b32_e32 v93, 0
	v_subrev_nc_u32_e32 v94, 23, v0
	s_movk_i32 s5, 0x1e8
	s_mov_b32 s1, 0
	s_delay_alu instid0(VALU_DEP_2)
	v_add_nc_u32_e32 v93, 0xb8, v93
.LBB37_145:                             ; =>This Inner Loop Header: Depth=1
	scratch_load_b64 v[95:96], v93, off
	v_dual_mov_b32 v97, s5 :: v_dual_add_nc_u32 v94, -1, v94
	v_add_nc_u32_e32 v93, 8, v93
	s_add_i32 s5, s5, 8
	ds_load_b64 v[97:98], v97
	v_cmp_eq_u32_e32 vcc_lo, 0, v94
	s_or_b32 s1, vcc_lo, s1
	s_waitcnt vmcnt(0) lgkmcnt(0)
	v_fma_f64 v[77:78], v[95:96], v[97:98], v[77:78]
	s_and_not1_b32 exec_lo, exec_lo, s1
	s_cbranch_execnz .LBB37_145
; %bb.146:
	s_or_b32 exec_lo, exec_lo, s1
.LBB37_147:
	s_delay_alu instid0(SALU_CYCLE_1)
	s_or_b32 exec_lo, exec_lo, s4
	v_mov_b32_e32 v93, 0
	ds_load_b64 v[93:94], v93 offset:176
	s_waitcnt lgkmcnt(0)
	v_mul_f64 v[77:78], v[77:78], v[93:94]
	scratch_store_b64 off, v[77:78], off offset:176
.LBB37_148:
	s_or_b32 exec_lo, exec_lo, s3
	scratch_load_b64 v[77:78], off, off offset:168
	v_cmp_lt_u32_e64 s1, 21, v0
	s_waitcnt vmcnt(0)
	ds_store_b64 v80, v[77:78]
	s_waitcnt lgkmcnt(0)
	s_waitcnt_vscnt null, 0x0
	s_barrier
	buffer_gl0_inv
	s_and_saveexec_b32 s3, s1
	s_cbranch_execz .LBB37_158
; %bb.149:
	s_and_not1_b32 vcc_lo, exec_lo, s2
	s_cbranch_vccnz .LBB37_151
; %bb.150:
	scratch_load_b64 v[77:78], v81, off
	ds_load_b64 v[93:94], v80
	s_waitcnt vmcnt(0) lgkmcnt(0)
	v_mul_f64 v[77:78], v[77:78], v[93:94]
	s_cbranch_execz .LBB37_152
	s_branch .LBB37_153
.LBB37_151:
                                        ; implicit-def: $vgpr77_vgpr78
.LBB37_152:
	ds_load_b64 v[77:78], v80
.LBB37_153:
	s_and_saveexec_b32 s4, s0
	s_cbranch_execz .LBB37_157
; %bb.154:
	v_subrev_nc_u32_e32 v93, 22, v0
	s_movk_i32 s5, 0x1e0
	s_mov_b32 s0, 0
.LBB37_155:                             ; =>This Inner Loop Header: Depth=1
	scratch_load_b64 v[94:95], v92, off
	v_dual_mov_b32 v96, s5 :: v_dual_add_nc_u32 v93, -1, v93
	v_add_nc_u32_e32 v92, 8, v92
	s_add_i32 s5, s5, 8
	ds_load_b64 v[96:97], v96
	v_cmp_eq_u32_e32 vcc_lo, 0, v93
	s_or_b32 s0, vcc_lo, s0
	s_waitcnt vmcnt(0) lgkmcnt(0)
	v_fma_f64 v[77:78], v[94:95], v[96:97], v[77:78]
	s_and_not1_b32 exec_lo, exec_lo, s0
	s_cbranch_execnz .LBB37_155
; %bb.156:
	s_or_b32 exec_lo, exec_lo, s0
.LBB37_157:
	s_delay_alu instid0(SALU_CYCLE_1)
	s_or_b32 exec_lo, exec_lo, s4
	v_mov_b32_e32 v92, 0
	ds_load_b64 v[92:93], v92 offset:168
	s_waitcnt lgkmcnt(0)
	v_mul_f64 v[77:78], v[77:78], v[92:93]
	scratch_store_b64 off, v[77:78], off offset:168
.LBB37_158:
	s_or_b32 exec_lo, exec_lo, s3
	scratch_load_b64 v[77:78], off, off offset:160
	v_cmp_lt_u32_e64 s0, 20, v0
	s_waitcnt vmcnt(0)
	ds_store_b64 v80, v[77:78]
	s_waitcnt lgkmcnt(0)
	s_waitcnt_vscnt null, 0x0
	s_barrier
	buffer_gl0_inv
	s_and_saveexec_b32 s3, s0
	s_cbranch_execz .LBB37_168
; %bb.159:
	s_and_not1_b32 vcc_lo, exec_lo, s2
	s_cbranch_vccnz .LBB37_161
; %bb.160:
	scratch_load_b64 v[77:78], v81, off
	ds_load_b64 v[92:93], v80
	s_waitcnt vmcnt(0) lgkmcnt(0)
	v_mul_f64 v[77:78], v[77:78], v[92:93]
	s_cbranch_execz .LBB37_162
	s_branch .LBB37_163
.LBB37_161:
                                        ; implicit-def: $vgpr77_vgpr78
.LBB37_162:
	ds_load_b64 v[77:78], v80
.LBB37_163:
	s_and_saveexec_b32 s4, s1
	s_cbranch_execz .LBB37_167
; %bb.164:
	v_mov_b32_e32 v92, 0
	v_subrev_nc_u32_e32 v93, 21, v0
	s_movk_i32 s5, 0x1d8
	s_mov_b32 s1, 0
	s_delay_alu instid0(VALU_DEP_2)
	v_add_nc_u32_e32 v92, 0xa8, v92
.LBB37_165:                             ; =>This Inner Loop Header: Depth=1
	scratch_load_b64 v[94:95], v92, off
	v_dual_mov_b32 v96, s5 :: v_dual_add_nc_u32 v93, -1, v93
	v_add_nc_u32_e32 v92, 8, v92
	s_add_i32 s5, s5, 8
	ds_load_b64 v[96:97], v96
	v_cmp_eq_u32_e32 vcc_lo, 0, v93
	s_or_b32 s1, vcc_lo, s1
	s_waitcnt vmcnt(0) lgkmcnt(0)
	v_fma_f64 v[77:78], v[94:95], v[96:97], v[77:78]
	s_and_not1_b32 exec_lo, exec_lo, s1
	s_cbranch_execnz .LBB37_165
; %bb.166:
	s_or_b32 exec_lo, exec_lo, s1
.LBB37_167:
	s_delay_alu instid0(SALU_CYCLE_1)
	s_or_b32 exec_lo, exec_lo, s4
	v_mov_b32_e32 v92, 0
	ds_load_b64 v[92:93], v92 offset:160
	s_waitcnt lgkmcnt(0)
	v_mul_f64 v[77:78], v[77:78], v[92:93]
	scratch_store_b64 off, v[77:78], off offset:160
.LBB37_168:
	s_or_b32 exec_lo, exec_lo, s3
	scratch_load_b64 v[77:78], off, off offset:152
	v_cmp_lt_u32_e64 s1, 19, v0
	s_waitcnt vmcnt(0)
	ds_store_b64 v80, v[77:78]
	s_waitcnt lgkmcnt(0)
	s_waitcnt_vscnt null, 0x0
	s_barrier
	buffer_gl0_inv
	s_and_saveexec_b32 s3, s1
	s_cbranch_execz .LBB37_178
; %bb.169:
	s_and_not1_b32 vcc_lo, exec_lo, s2
	s_cbranch_vccnz .LBB37_171
; %bb.170:
	scratch_load_b64 v[77:78], v81, off
	ds_load_b64 v[92:93], v80
	s_waitcnt vmcnt(0) lgkmcnt(0)
	v_mul_f64 v[77:78], v[77:78], v[92:93]
	s_cbranch_execz .LBB37_172
	s_branch .LBB37_173
.LBB37_171:
                                        ; implicit-def: $vgpr77_vgpr78
.LBB37_172:
	ds_load_b64 v[77:78], v80
.LBB37_173:
	s_and_saveexec_b32 s4, s0
	s_cbranch_execz .LBB37_177
; %bb.174:
	v_subrev_nc_u32_e32 v92, 20, v0
	s_movk_i32 s5, 0x1d0
	s_mov_b32 s0, 0
.LBB37_175:                             ; =>This Inner Loop Header: Depth=1
	scratch_load_b64 v[93:94], v91, off
	v_dual_mov_b32 v95, s5 :: v_dual_add_nc_u32 v92, -1, v92
	v_add_nc_u32_e32 v91, 8, v91
	s_add_i32 s5, s5, 8
	ds_load_b64 v[95:96], v95
	v_cmp_eq_u32_e32 vcc_lo, 0, v92
	s_or_b32 s0, vcc_lo, s0
	s_waitcnt vmcnt(0) lgkmcnt(0)
	v_fma_f64 v[77:78], v[93:94], v[95:96], v[77:78]
	s_and_not1_b32 exec_lo, exec_lo, s0
	s_cbranch_execnz .LBB37_175
; %bb.176:
	s_or_b32 exec_lo, exec_lo, s0
.LBB37_177:
	s_delay_alu instid0(SALU_CYCLE_1)
	s_or_b32 exec_lo, exec_lo, s4
	v_mov_b32_e32 v91, 0
	ds_load_b64 v[91:92], v91 offset:152
	s_waitcnt lgkmcnt(0)
	v_mul_f64 v[77:78], v[77:78], v[91:92]
	scratch_store_b64 off, v[77:78], off offset:152
.LBB37_178:
	s_or_b32 exec_lo, exec_lo, s3
	scratch_load_b64 v[77:78], off, off offset:144
	v_cmp_lt_u32_e64 s0, 18, v0
	s_waitcnt vmcnt(0)
	ds_store_b64 v80, v[77:78]
	s_waitcnt lgkmcnt(0)
	s_waitcnt_vscnt null, 0x0
	s_barrier
	buffer_gl0_inv
	s_and_saveexec_b32 s3, s0
	s_cbranch_execz .LBB37_188
; %bb.179:
	s_and_not1_b32 vcc_lo, exec_lo, s2
	s_cbranch_vccnz .LBB37_181
; %bb.180:
	scratch_load_b64 v[77:78], v81, off
	ds_load_b64 v[91:92], v80
	s_waitcnt vmcnt(0) lgkmcnt(0)
	v_mul_f64 v[77:78], v[77:78], v[91:92]
	s_cbranch_execz .LBB37_182
	s_branch .LBB37_183
.LBB37_181:
                                        ; implicit-def: $vgpr77_vgpr78
.LBB37_182:
	ds_load_b64 v[77:78], v80
.LBB37_183:
	s_and_saveexec_b32 s4, s1
	s_cbranch_execz .LBB37_187
; %bb.184:
	v_mov_b32_e32 v91, 0
	v_subrev_nc_u32_e32 v92, 19, v0
	s_movk_i32 s5, 0x1c8
	s_mov_b32 s1, 0
	s_delay_alu instid0(VALU_DEP_2)
	v_add_nc_u32_e32 v91, 0x98, v91
.LBB37_185:                             ; =>This Inner Loop Header: Depth=1
	scratch_load_b64 v[93:94], v91, off
	v_dual_mov_b32 v95, s5 :: v_dual_add_nc_u32 v92, -1, v92
	v_add_nc_u32_e32 v91, 8, v91
	s_add_i32 s5, s5, 8
	ds_load_b64 v[95:96], v95
	v_cmp_eq_u32_e32 vcc_lo, 0, v92
	s_or_b32 s1, vcc_lo, s1
	s_waitcnt vmcnt(0) lgkmcnt(0)
	v_fma_f64 v[77:78], v[93:94], v[95:96], v[77:78]
	s_and_not1_b32 exec_lo, exec_lo, s1
	s_cbranch_execnz .LBB37_185
; %bb.186:
	s_or_b32 exec_lo, exec_lo, s1
.LBB37_187:
	s_delay_alu instid0(SALU_CYCLE_1)
	s_or_b32 exec_lo, exec_lo, s4
	v_mov_b32_e32 v91, 0
	ds_load_b64 v[91:92], v91 offset:144
	s_waitcnt lgkmcnt(0)
	v_mul_f64 v[77:78], v[77:78], v[91:92]
	scratch_store_b64 off, v[77:78], off offset:144
.LBB37_188:
	s_or_b32 exec_lo, exec_lo, s3
	scratch_load_b64 v[77:78], off, off offset:136
	v_cmp_lt_u32_e64 s1, 17, v0
	s_waitcnt vmcnt(0)
	ds_store_b64 v80, v[77:78]
	s_waitcnt lgkmcnt(0)
	s_waitcnt_vscnt null, 0x0
	s_barrier
	buffer_gl0_inv
	s_and_saveexec_b32 s3, s1
	s_cbranch_execz .LBB37_198
; %bb.189:
	s_and_not1_b32 vcc_lo, exec_lo, s2
	s_cbranch_vccnz .LBB37_191
; %bb.190:
	scratch_load_b64 v[77:78], v81, off
	ds_load_b64 v[91:92], v80
	s_waitcnt vmcnt(0) lgkmcnt(0)
	v_mul_f64 v[77:78], v[77:78], v[91:92]
	s_cbranch_execz .LBB37_192
	s_branch .LBB37_193
.LBB37_191:
                                        ; implicit-def: $vgpr77_vgpr78
.LBB37_192:
	ds_load_b64 v[77:78], v80
.LBB37_193:
	s_and_saveexec_b32 s4, s0
	s_cbranch_execz .LBB37_197
; %bb.194:
	v_subrev_nc_u32_e32 v91, 18, v0
	s_movk_i32 s5, 0x1c0
	s_mov_b32 s0, 0
.LBB37_195:                             ; =>This Inner Loop Header: Depth=1
	scratch_load_b64 v[92:93], v90, off
	v_dual_mov_b32 v94, s5 :: v_dual_add_nc_u32 v91, -1, v91
	v_add_nc_u32_e32 v90, 8, v90
	s_add_i32 s5, s5, 8
	ds_load_b64 v[94:95], v94
	v_cmp_eq_u32_e32 vcc_lo, 0, v91
	s_or_b32 s0, vcc_lo, s0
	s_waitcnt vmcnt(0) lgkmcnt(0)
	v_fma_f64 v[77:78], v[92:93], v[94:95], v[77:78]
	s_and_not1_b32 exec_lo, exec_lo, s0
	s_cbranch_execnz .LBB37_195
; %bb.196:
	s_or_b32 exec_lo, exec_lo, s0
.LBB37_197:
	s_delay_alu instid0(SALU_CYCLE_1)
	s_or_b32 exec_lo, exec_lo, s4
	v_mov_b32_e32 v90, 0
	ds_load_b64 v[90:91], v90 offset:136
	s_waitcnt lgkmcnt(0)
	v_mul_f64 v[77:78], v[77:78], v[90:91]
	scratch_store_b64 off, v[77:78], off offset:136
.LBB37_198:
	s_or_b32 exec_lo, exec_lo, s3
	scratch_load_b64 v[77:78], off, off offset:128
	v_cmp_lt_u32_e64 s0, 16, v0
	s_waitcnt vmcnt(0)
	ds_store_b64 v80, v[77:78]
	s_waitcnt lgkmcnt(0)
	s_waitcnt_vscnt null, 0x0
	s_barrier
	buffer_gl0_inv
	s_and_saveexec_b32 s3, s0
	s_cbranch_execz .LBB37_208
; %bb.199:
	s_and_not1_b32 vcc_lo, exec_lo, s2
	s_cbranch_vccnz .LBB37_201
; %bb.200:
	scratch_load_b64 v[77:78], v81, off
	ds_load_b64 v[90:91], v80
	s_waitcnt vmcnt(0) lgkmcnt(0)
	v_mul_f64 v[77:78], v[77:78], v[90:91]
	s_cbranch_execz .LBB37_202
	s_branch .LBB37_203
.LBB37_201:
                                        ; implicit-def: $vgpr77_vgpr78
.LBB37_202:
	ds_load_b64 v[77:78], v80
.LBB37_203:
	s_and_saveexec_b32 s4, s1
	s_cbranch_execz .LBB37_207
; %bb.204:
	v_mov_b32_e32 v90, 0
	v_subrev_nc_u32_e32 v91, 17, v0
	s_movk_i32 s5, 0x1b8
	s_mov_b32 s1, 0
	s_delay_alu instid0(VALU_DEP_2)
	v_add_nc_u32_e32 v90, 0x88, v90
.LBB37_205:                             ; =>This Inner Loop Header: Depth=1
	scratch_load_b64 v[92:93], v90, off
	v_dual_mov_b32 v94, s5 :: v_dual_add_nc_u32 v91, -1, v91
	v_add_nc_u32_e32 v90, 8, v90
	s_add_i32 s5, s5, 8
	ds_load_b64 v[94:95], v94
	v_cmp_eq_u32_e32 vcc_lo, 0, v91
	s_or_b32 s1, vcc_lo, s1
	s_waitcnt vmcnt(0) lgkmcnt(0)
	v_fma_f64 v[77:78], v[92:93], v[94:95], v[77:78]
	s_and_not1_b32 exec_lo, exec_lo, s1
	s_cbranch_execnz .LBB37_205
; %bb.206:
	s_or_b32 exec_lo, exec_lo, s1
.LBB37_207:
	s_delay_alu instid0(SALU_CYCLE_1)
	s_or_b32 exec_lo, exec_lo, s4
	v_mov_b32_e32 v90, 0
	ds_load_b64 v[90:91], v90 offset:128
	s_waitcnt lgkmcnt(0)
	v_mul_f64 v[77:78], v[77:78], v[90:91]
	scratch_store_b64 off, v[77:78], off offset:128
.LBB37_208:
	s_or_b32 exec_lo, exec_lo, s3
	scratch_load_b64 v[77:78], off, off offset:120
	v_cmp_lt_u32_e64 s1, 15, v0
	s_waitcnt vmcnt(0)
	ds_store_b64 v80, v[77:78]
	s_waitcnt lgkmcnt(0)
	s_waitcnt_vscnt null, 0x0
	s_barrier
	buffer_gl0_inv
	s_and_saveexec_b32 s3, s1
	s_cbranch_execz .LBB37_218
; %bb.209:
	s_and_not1_b32 vcc_lo, exec_lo, s2
	s_cbranch_vccnz .LBB37_211
; %bb.210:
	scratch_load_b64 v[77:78], v81, off
	ds_load_b64 v[90:91], v80
	s_waitcnt vmcnt(0) lgkmcnt(0)
	v_mul_f64 v[77:78], v[77:78], v[90:91]
	s_cbranch_execz .LBB37_212
	s_branch .LBB37_213
.LBB37_211:
                                        ; implicit-def: $vgpr77_vgpr78
.LBB37_212:
	ds_load_b64 v[77:78], v80
.LBB37_213:
	s_and_saveexec_b32 s4, s0
	s_cbranch_execz .LBB37_217
; %bb.214:
	v_add_nc_u32_e32 v90, -16, v0
	s_movk_i32 s5, 0x1b0
	s_mov_b32 s0, 0
.LBB37_215:                             ; =>This Inner Loop Header: Depth=1
	scratch_load_b64 v[91:92], v89, off
	v_dual_mov_b32 v93, s5 :: v_dual_add_nc_u32 v90, -1, v90
	v_add_nc_u32_e32 v89, 8, v89
	s_add_i32 s5, s5, 8
	ds_load_b64 v[93:94], v93
	v_cmp_eq_u32_e32 vcc_lo, 0, v90
	s_or_b32 s0, vcc_lo, s0
	s_waitcnt vmcnt(0) lgkmcnt(0)
	v_fma_f64 v[77:78], v[91:92], v[93:94], v[77:78]
	s_and_not1_b32 exec_lo, exec_lo, s0
	s_cbranch_execnz .LBB37_215
; %bb.216:
	s_or_b32 exec_lo, exec_lo, s0
.LBB37_217:
	s_delay_alu instid0(SALU_CYCLE_1)
	s_or_b32 exec_lo, exec_lo, s4
	v_mov_b32_e32 v89, 0
	ds_load_b64 v[89:90], v89 offset:120
	s_waitcnt lgkmcnt(0)
	v_mul_f64 v[77:78], v[77:78], v[89:90]
	scratch_store_b64 off, v[77:78], off offset:120
.LBB37_218:
	s_or_b32 exec_lo, exec_lo, s3
	scratch_load_b64 v[77:78], off, off offset:112
	v_cmp_lt_u32_e64 s0, 14, v0
	s_waitcnt vmcnt(0)
	ds_store_b64 v80, v[77:78]
	s_waitcnt lgkmcnt(0)
	s_waitcnt_vscnt null, 0x0
	s_barrier
	buffer_gl0_inv
	s_and_saveexec_b32 s3, s0
	s_cbranch_execz .LBB37_228
; %bb.219:
	s_and_not1_b32 vcc_lo, exec_lo, s2
	s_cbranch_vccnz .LBB37_221
; %bb.220:
	scratch_load_b64 v[77:78], v81, off
	ds_load_b64 v[89:90], v80
	s_waitcnt vmcnt(0) lgkmcnt(0)
	v_mul_f64 v[77:78], v[77:78], v[89:90]
	s_cbranch_execz .LBB37_222
	s_branch .LBB37_223
.LBB37_221:
                                        ; implicit-def: $vgpr77_vgpr78
.LBB37_222:
	ds_load_b64 v[77:78], v80
.LBB37_223:
	s_and_saveexec_b32 s4, s1
	s_cbranch_execz .LBB37_227
; %bb.224:
	v_dual_mov_b32 v89, 0 :: v_dual_add_nc_u32 v90, -15, v0
	s_movk_i32 s5, 0x1a8
	s_mov_b32 s1, 0
	s_delay_alu instid0(VALU_DEP_1)
	v_add_nc_u32_e32 v89, 0x78, v89
.LBB37_225:                             ; =>This Inner Loop Header: Depth=1
	scratch_load_b64 v[91:92], v89, off
	v_dual_mov_b32 v93, s5 :: v_dual_add_nc_u32 v90, -1, v90
	v_add_nc_u32_e32 v89, 8, v89
	s_add_i32 s5, s5, 8
	ds_load_b64 v[93:94], v93
	v_cmp_eq_u32_e32 vcc_lo, 0, v90
	s_or_b32 s1, vcc_lo, s1
	s_waitcnt vmcnt(0) lgkmcnt(0)
	v_fma_f64 v[77:78], v[91:92], v[93:94], v[77:78]
	s_and_not1_b32 exec_lo, exec_lo, s1
	s_cbranch_execnz .LBB37_225
; %bb.226:
	s_or_b32 exec_lo, exec_lo, s1
.LBB37_227:
	s_delay_alu instid0(SALU_CYCLE_1)
	s_or_b32 exec_lo, exec_lo, s4
	v_mov_b32_e32 v89, 0
	ds_load_b64 v[89:90], v89 offset:112
	s_waitcnt lgkmcnt(0)
	v_mul_f64 v[77:78], v[77:78], v[89:90]
	scratch_store_b64 off, v[77:78], off offset:112
.LBB37_228:
	s_or_b32 exec_lo, exec_lo, s3
	scratch_load_b64 v[77:78], off, off offset:104
	v_cmp_lt_u32_e64 s1, 13, v0
	s_waitcnt vmcnt(0)
	ds_store_b64 v80, v[77:78]
	s_waitcnt lgkmcnt(0)
	s_waitcnt_vscnt null, 0x0
	s_barrier
	buffer_gl0_inv
	s_and_saveexec_b32 s3, s1
	s_cbranch_execz .LBB37_238
; %bb.229:
	s_and_not1_b32 vcc_lo, exec_lo, s2
	s_cbranch_vccnz .LBB37_231
; %bb.230:
	scratch_load_b64 v[77:78], v81, off
	ds_load_b64 v[89:90], v80
	s_waitcnt vmcnt(0) lgkmcnt(0)
	v_mul_f64 v[77:78], v[77:78], v[89:90]
	s_cbranch_execz .LBB37_232
	s_branch .LBB37_233
.LBB37_231:
                                        ; implicit-def: $vgpr77_vgpr78
.LBB37_232:
	ds_load_b64 v[77:78], v80
.LBB37_233:
	s_and_saveexec_b32 s4, s0
	s_cbranch_execz .LBB37_237
; %bb.234:
	v_add_nc_u32_e32 v89, -14, v0
	s_movk_i32 s5, 0x1a0
	s_mov_b32 s0, 0
.LBB37_235:                             ; =>This Inner Loop Header: Depth=1
	scratch_load_b64 v[90:91], v88, off
	v_dual_mov_b32 v92, s5 :: v_dual_add_nc_u32 v89, -1, v89
	v_add_nc_u32_e32 v88, 8, v88
	s_add_i32 s5, s5, 8
	ds_load_b64 v[92:93], v92
	v_cmp_eq_u32_e32 vcc_lo, 0, v89
	s_or_b32 s0, vcc_lo, s0
	s_waitcnt vmcnt(0) lgkmcnt(0)
	v_fma_f64 v[77:78], v[90:91], v[92:93], v[77:78]
	s_and_not1_b32 exec_lo, exec_lo, s0
	s_cbranch_execnz .LBB37_235
; %bb.236:
	s_or_b32 exec_lo, exec_lo, s0
.LBB37_237:
	s_delay_alu instid0(SALU_CYCLE_1)
	s_or_b32 exec_lo, exec_lo, s4
	v_mov_b32_e32 v88, 0
	ds_load_b64 v[88:89], v88 offset:104
	s_waitcnt lgkmcnt(0)
	v_mul_f64 v[77:78], v[77:78], v[88:89]
	scratch_store_b64 off, v[77:78], off offset:104
.LBB37_238:
	s_or_b32 exec_lo, exec_lo, s3
	scratch_load_b64 v[77:78], off, off offset:96
	v_cmp_lt_u32_e64 s0, 12, v0
	s_waitcnt vmcnt(0)
	ds_store_b64 v80, v[77:78]
	s_waitcnt lgkmcnt(0)
	s_waitcnt_vscnt null, 0x0
	s_barrier
	buffer_gl0_inv
	s_and_saveexec_b32 s3, s0
	s_cbranch_execz .LBB37_248
; %bb.239:
	s_and_not1_b32 vcc_lo, exec_lo, s2
	s_cbranch_vccnz .LBB37_241
; %bb.240:
	scratch_load_b64 v[77:78], v81, off
	ds_load_b64 v[88:89], v80
	s_waitcnt vmcnt(0) lgkmcnt(0)
	v_mul_f64 v[77:78], v[77:78], v[88:89]
	s_cbranch_execz .LBB37_242
	s_branch .LBB37_243
.LBB37_241:
                                        ; implicit-def: $vgpr77_vgpr78
.LBB37_242:
	ds_load_b64 v[77:78], v80
.LBB37_243:
	s_and_saveexec_b32 s4, s1
	s_cbranch_execz .LBB37_247
; %bb.244:
	v_dual_mov_b32 v88, 0 :: v_dual_add_nc_u32 v89, -13, v0
	s_movk_i32 s5, 0x198
	s_mov_b32 s1, 0
	s_delay_alu instid0(VALU_DEP_1)
	v_add_nc_u32_e32 v88, 0x68, v88
.LBB37_245:                             ; =>This Inner Loop Header: Depth=1
	scratch_load_b64 v[90:91], v88, off
	v_dual_mov_b32 v92, s5 :: v_dual_add_nc_u32 v89, -1, v89
	v_add_nc_u32_e32 v88, 8, v88
	s_add_i32 s5, s5, 8
	ds_load_b64 v[92:93], v92
	v_cmp_eq_u32_e32 vcc_lo, 0, v89
	s_or_b32 s1, vcc_lo, s1
	s_waitcnt vmcnt(0) lgkmcnt(0)
	v_fma_f64 v[77:78], v[90:91], v[92:93], v[77:78]
	s_and_not1_b32 exec_lo, exec_lo, s1
	s_cbranch_execnz .LBB37_245
; %bb.246:
	s_or_b32 exec_lo, exec_lo, s1
.LBB37_247:
	s_delay_alu instid0(SALU_CYCLE_1)
	s_or_b32 exec_lo, exec_lo, s4
	v_mov_b32_e32 v88, 0
	ds_load_b64 v[88:89], v88 offset:96
	s_waitcnt lgkmcnt(0)
	v_mul_f64 v[77:78], v[77:78], v[88:89]
	scratch_store_b64 off, v[77:78], off offset:96
.LBB37_248:
	s_or_b32 exec_lo, exec_lo, s3
	scratch_load_b64 v[77:78], off, off offset:88
	v_cmp_lt_u32_e64 s1, 11, v0
	s_waitcnt vmcnt(0)
	ds_store_b64 v80, v[77:78]
	s_waitcnt lgkmcnt(0)
	s_waitcnt_vscnt null, 0x0
	s_barrier
	buffer_gl0_inv
	s_and_saveexec_b32 s3, s1
	s_cbranch_execz .LBB37_258
; %bb.249:
	s_and_not1_b32 vcc_lo, exec_lo, s2
	s_cbranch_vccnz .LBB37_251
; %bb.250:
	scratch_load_b64 v[77:78], v81, off
	ds_load_b64 v[88:89], v80
	s_waitcnt vmcnt(0) lgkmcnt(0)
	v_mul_f64 v[77:78], v[77:78], v[88:89]
	s_cbranch_execz .LBB37_252
	s_branch .LBB37_253
.LBB37_251:
                                        ; implicit-def: $vgpr77_vgpr78
.LBB37_252:
	ds_load_b64 v[77:78], v80
.LBB37_253:
	s_and_saveexec_b32 s4, s0
	s_cbranch_execz .LBB37_257
; %bb.254:
	v_add_nc_u32_e32 v88, -12, v0
	s_movk_i32 s5, 0x190
	s_mov_b32 s0, 0
.LBB37_255:                             ; =>This Inner Loop Header: Depth=1
	scratch_load_b64 v[89:90], v87, off
	v_dual_mov_b32 v91, s5 :: v_dual_add_nc_u32 v88, -1, v88
	v_add_nc_u32_e32 v87, 8, v87
	s_add_i32 s5, s5, 8
	ds_load_b64 v[91:92], v91
	v_cmp_eq_u32_e32 vcc_lo, 0, v88
	s_or_b32 s0, vcc_lo, s0
	s_waitcnt vmcnt(0) lgkmcnt(0)
	v_fma_f64 v[77:78], v[89:90], v[91:92], v[77:78]
	s_and_not1_b32 exec_lo, exec_lo, s0
	s_cbranch_execnz .LBB37_255
; %bb.256:
	s_or_b32 exec_lo, exec_lo, s0
.LBB37_257:
	s_delay_alu instid0(SALU_CYCLE_1)
	s_or_b32 exec_lo, exec_lo, s4
	v_mov_b32_e32 v87, 0
	ds_load_b64 v[87:88], v87 offset:88
	s_waitcnt lgkmcnt(0)
	v_mul_f64 v[77:78], v[77:78], v[87:88]
	scratch_store_b64 off, v[77:78], off offset:88
.LBB37_258:
	s_or_b32 exec_lo, exec_lo, s3
	scratch_load_b64 v[77:78], off, off offset:80
	v_cmp_lt_u32_e64 s0, 10, v0
	s_waitcnt vmcnt(0)
	ds_store_b64 v80, v[77:78]
	s_waitcnt lgkmcnt(0)
	s_waitcnt_vscnt null, 0x0
	s_barrier
	buffer_gl0_inv
	s_and_saveexec_b32 s3, s0
	s_cbranch_execz .LBB37_268
; %bb.259:
	s_and_not1_b32 vcc_lo, exec_lo, s2
	s_cbranch_vccnz .LBB37_261
; %bb.260:
	scratch_load_b64 v[77:78], v81, off
	ds_load_b64 v[87:88], v80
	s_waitcnt vmcnt(0) lgkmcnt(0)
	v_mul_f64 v[77:78], v[77:78], v[87:88]
	s_cbranch_execz .LBB37_262
	s_branch .LBB37_263
.LBB37_261:
                                        ; implicit-def: $vgpr77_vgpr78
.LBB37_262:
	ds_load_b64 v[77:78], v80
.LBB37_263:
	s_and_saveexec_b32 s4, s1
	s_cbranch_execz .LBB37_267
; %bb.264:
	v_dual_mov_b32 v87, 0 :: v_dual_add_nc_u32 v88, -11, v0
	s_movk_i32 s5, 0x188
	s_mov_b32 s1, 0
	s_delay_alu instid0(VALU_DEP_1)
	v_add_nc_u32_e32 v87, 0x58, v87
.LBB37_265:                             ; =>This Inner Loop Header: Depth=1
	scratch_load_b64 v[89:90], v87, off
	v_dual_mov_b32 v91, s5 :: v_dual_add_nc_u32 v88, -1, v88
	v_add_nc_u32_e32 v87, 8, v87
	s_add_i32 s5, s5, 8
	ds_load_b64 v[91:92], v91
	v_cmp_eq_u32_e32 vcc_lo, 0, v88
	s_or_b32 s1, vcc_lo, s1
	s_waitcnt vmcnt(0) lgkmcnt(0)
	v_fma_f64 v[77:78], v[89:90], v[91:92], v[77:78]
	s_and_not1_b32 exec_lo, exec_lo, s1
	s_cbranch_execnz .LBB37_265
; %bb.266:
	s_or_b32 exec_lo, exec_lo, s1
.LBB37_267:
	s_delay_alu instid0(SALU_CYCLE_1)
	s_or_b32 exec_lo, exec_lo, s4
	v_mov_b32_e32 v87, 0
	ds_load_b64 v[87:88], v87 offset:80
	s_waitcnt lgkmcnt(0)
	v_mul_f64 v[77:78], v[77:78], v[87:88]
	scratch_store_b64 off, v[77:78], off offset:80
.LBB37_268:
	s_or_b32 exec_lo, exec_lo, s3
	scratch_load_b64 v[77:78], off, off offset:72
	v_cmp_lt_u32_e64 s1, 9, v0
	s_waitcnt vmcnt(0)
	ds_store_b64 v80, v[77:78]
	s_waitcnt lgkmcnt(0)
	s_waitcnt_vscnt null, 0x0
	s_barrier
	buffer_gl0_inv
	s_and_saveexec_b32 s3, s1
	s_cbranch_execz .LBB37_278
; %bb.269:
	s_and_not1_b32 vcc_lo, exec_lo, s2
	s_cbranch_vccnz .LBB37_271
; %bb.270:
	scratch_load_b64 v[77:78], v81, off
	ds_load_b64 v[87:88], v80
	s_waitcnt vmcnt(0) lgkmcnt(0)
	v_mul_f64 v[77:78], v[77:78], v[87:88]
	s_cbranch_execz .LBB37_272
	s_branch .LBB37_273
.LBB37_271:
                                        ; implicit-def: $vgpr77_vgpr78
.LBB37_272:
	ds_load_b64 v[77:78], v80
.LBB37_273:
	s_and_saveexec_b32 s4, s0
	s_cbranch_execz .LBB37_277
; %bb.274:
	v_add_nc_u32_e32 v87, -10, v0
	s_movk_i32 s5, 0x180
	s_mov_b32 s0, 0
.LBB37_275:                             ; =>This Inner Loop Header: Depth=1
	scratch_load_b64 v[88:89], v86, off
	v_dual_mov_b32 v90, s5 :: v_dual_add_nc_u32 v87, -1, v87
	v_add_nc_u32_e32 v86, 8, v86
	s_add_i32 s5, s5, 8
	ds_load_b64 v[90:91], v90
	v_cmp_eq_u32_e32 vcc_lo, 0, v87
	s_or_b32 s0, vcc_lo, s0
	s_waitcnt vmcnt(0) lgkmcnt(0)
	v_fma_f64 v[77:78], v[88:89], v[90:91], v[77:78]
	s_and_not1_b32 exec_lo, exec_lo, s0
	s_cbranch_execnz .LBB37_275
; %bb.276:
	s_or_b32 exec_lo, exec_lo, s0
.LBB37_277:
	s_delay_alu instid0(SALU_CYCLE_1)
	s_or_b32 exec_lo, exec_lo, s4
	v_mov_b32_e32 v86, 0
	ds_load_b64 v[86:87], v86 offset:72
	s_waitcnt lgkmcnt(0)
	v_mul_f64 v[77:78], v[77:78], v[86:87]
	scratch_store_b64 off, v[77:78], off offset:72
.LBB37_278:
	s_or_b32 exec_lo, exec_lo, s3
	scratch_load_b64 v[77:78], off, off offset:64
	v_cmp_lt_u32_e64 s0, 8, v0
	s_waitcnt vmcnt(0)
	ds_store_b64 v80, v[77:78]
	s_waitcnt lgkmcnt(0)
	s_waitcnt_vscnt null, 0x0
	s_barrier
	buffer_gl0_inv
	s_and_saveexec_b32 s3, s0
	s_cbranch_execz .LBB37_288
; %bb.279:
	s_and_not1_b32 vcc_lo, exec_lo, s2
	s_cbranch_vccnz .LBB37_281
; %bb.280:
	scratch_load_b64 v[77:78], v81, off
	ds_load_b64 v[86:87], v80
	s_waitcnt vmcnt(0) lgkmcnt(0)
	v_mul_f64 v[77:78], v[77:78], v[86:87]
	s_cbranch_execz .LBB37_282
	s_branch .LBB37_283
.LBB37_281:
                                        ; implicit-def: $vgpr77_vgpr78
.LBB37_282:
	ds_load_b64 v[77:78], v80
.LBB37_283:
	s_and_saveexec_b32 s4, s1
	s_cbranch_execz .LBB37_287
; %bb.284:
	v_dual_mov_b32 v86, 0 :: v_dual_add_nc_u32 v87, -9, v0
	s_movk_i32 s5, 0x178
	s_mov_b32 s1, 0
	s_delay_alu instid0(VALU_DEP_1)
	v_add_nc_u32_e32 v86, 0x48, v86
.LBB37_285:                             ; =>This Inner Loop Header: Depth=1
	scratch_load_b64 v[88:89], v86, off
	v_dual_mov_b32 v90, s5 :: v_dual_add_nc_u32 v87, -1, v87
	v_add_nc_u32_e32 v86, 8, v86
	s_add_i32 s5, s5, 8
	ds_load_b64 v[90:91], v90
	v_cmp_eq_u32_e32 vcc_lo, 0, v87
	s_or_b32 s1, vcc_lo, s1
	s_waitcnt vmcnt(0) lgkmcnt(0)
	v_fma_f64 v[77:78], v[88:89], v[90:91], v[77:78]
	s_and_not1_b32 exec_lo, exec_lo, s1
	s_cbranch_execnz .LBB37_285
; %bb.286:
	s_or_b32 exec_lo, exec_lo, s1
.LBB37_287:
	s_delay_alu instid0(SALU_CYCLE_1)
	s_or_b32 exec_lo, exec_lo, s4
	v_mov_b32_e32 v86, 0
	ds_load_b64 v[86:87], v86 offset:64
	s_waitcnt lgkmcnt(0)
	v_mul_f64 v[77:78], v[77:78], v[86:87]
	scratch_store_b64 off, v[77:78], off offset:64
.LBB37_288:
	s_or_b32 exec_lo, exec_lo, s3
	scratch_load_b64 v[77:78], off, off offset:56
	v_cmp_lt_u32_e64 s1, 7, v0
	s_waitcnt vmcnt(0)
	ds_store_b64 v80, v[77:78]
	s_waitcnt lgkmcnt(0)
	s_waitcnt_vscnt null, 0x0
	s_barrier
	buffer_gl0_inv
	s_and_saveexec_b32 s3, s1
	s_cbranch_execz .LBB37_298
; %bb.289:
	s_and_not1_b32 vcc_lo, exec_lo, s2
	s_cbranch_vccnz .LBB37_291
; %bb.290:
	scratch_load_b64 v[77:78], v81, off
	ds_load_b64 v[86:87], v80
	s_waitcnt vmcnt(0) lgkmcnt(0)
	v_mul_f64 v[77:78], v[77:78], v[86:87]
	s_cbranch_execz .LBB37_292
	s_branch .LBB37_293
.LBB37_291:
                                        ; implicit-def: $vgpr77_vgpr78
.LBB37_292:
	ds_load_b64 v[77:78], v80
.LBB37_293:
	s_and_saveexec_b32 s4, s0
	s_cbranch_execz .LBB37_297
; %bb.294:
	v_add_nc_u32_e32 v86, -8, v0
	s_movk_i32 s5, 0x170
	s_mov_b32 s0, 0
.LBB37_295:                             ; =>This Inner Loop Header: Depth=1
	scratch_load_b64 v[87:88], v85, off
	v_dual_mov_b32 v89, s5 :: v_dual_add_nc_u32 v86, -1, v86
	v_add_nc_u32_e32 v85, 8, v85
	s_add_i32 s5, s5, 8
	ds_load_b64 v[89:90], v89
	v_cmp_eq_u32_e32 vcc_lo, 0, v86
	s_or_b32 s0, vcc_lo, s0
	s_waitcnt vmcnt(0) lgkmcnt(0)
	v_fma_f64 v[77:78], v[87:88], v[89:90], v[77:78]
	s_and_not1_b32 exec_lo, exec_lo, s0
	s_cbranch_execnz .LBB37_295
; %bb.296:
	s_or_b32 exec_lo, exec_lo, s0
.LBB37_297:
	s_delay_alu instid0(SALU_CYCLE_1)
	s_or_b32 exec_lo, exec_lo, s4
	v_mov_b32_e32 v85, 0
	ds_load_b64 v[85:86], v85 offset:56
	s_waitcnt lgkmcnt(0)
	v_mul_f64 v[77:78], v[77:78], v[85:86]
	scratch_store_b64 off, v[77:78], off offset:56
.LBB37_298:
	s_or_b32 exec_lo, exec_lo, s3
	scratch_load_b64 v[77:78], off, off offset:48
	v_cmp_lt_u32_e64 s0, 6, v0
	s_waitcnt vmcnt(0)
	ds_store_b64 v80, v[77:78]
	s_waitcnt lgkmcnt(0)
	s_waitcnt_vscnt null, 0x0
	s_barrier
	buffer_gl0_inv
	s_and_saveexec_b32 s3, s0
	s_cbranch_execz .LBB37_308
; %bb.299:
	s_and_not1_b32 vcc_lo, exec_lo, s2
	s_cbranch_vccnz .LBB37_301
; %bb.300:
	scratch_load_b64 v[77:78], v81, off
	ds_load_b64 v[85:86], v80
	s_waitcnt vmcnt(0) lgkmcnt(0)
	v_mul_f64 v[77:78], v[77:78], v[85:86]
	s_cbranch_execz .LBB37_302
	s_branch .LBB37_303
.LBB37_301:
                                        ; implicit-def: $vgpr77_vgpr78
.LBB37_302:
	ds_load_b64 v[77:78], v80
.LBB37_303:
	s_and_saveexec_b32 s4, s1
	s_cbranch_execz .LBB37_307
; %bb.304:
	v_add_nc_u32_e64 v85, 0, 56
	v_add_nc_u32_e32 v86, -7, v0
	s_movk_i32 s5, 0x168
	s_mov_b32 s1, 0
.LBB37_305:                             ; =>This Inner Loop Header: Depth=1
	scratch_load_b64 v[87:88], v85, off
	v_dual_mov_b32 v89, s5 :: v_dual_add_nc_u32 v86, -1, v86
	v_add_nc_u32_e32 v85, 8, v85
	s_add_i32 s5, s5, 8
	ds_load_b64 v[89:90], v89
	v_cmp_eq_u32_e32 vcc_lo, 0, v86
	s_or_b32 s1, vcc_lo, s1
	s_waitcnt vmcnt(0) lgkmcnt(0)
	v_fma_f64 v[77:78], v[87:88], v[89:90], v[77:78]
	s_and_not1_b32 exec_lo, exec_lo, s1
	s_cbranch_execnz .LBB37_305
; %bb.306:
	s_or_b32 exec_lo, exec_lo, s1
.LBB37_307:
	s_delay_alu instid0(SALU_CYCLE_1)
	s_or_b32 exec_lo, exec_lo, s4
	v_mov_b32_e32 v85, 0
	ds_load_b64 v[85:86], v85 offset:48
	s_waitcnt lgkmcnt(0)
	v_mul_f64 v[77:78], v[77:78], v[85:86]
	scratch_store_b64 off, v[77:78], off offset:48
.LBB37_308:
	s_or_b32 exec_lo, exec_lo, s3
	scratch_load_b64 v[77:78], off, off offset:40
	v_cmp_lt_u32_e64 s1, 5, v0
	s_waitcnt vmcnt(0)
	ds_store_b64 v80, v[77:78]
	s_waitcnt lgkmcnt(0)
	s_waitcnt_vscnt null, 0x0
	s_barrier
	buffer_gl0_inv
	s_and_saveexec_b32 s3, s1
	s_cbranch_execz .LBB37_318
; %bb.309:
	s_and_not1_b32 vcc_lo, exec_lo, s2
	s_cbranch_vccnz .LBB37_311
; %bb.310:
	scratch_load_b64 v[77:78], v81, off
	ds_load_b64 v[85:86], v80
	s_waitcnt vmcnt(0) lgkmcnt(0)
	v_mul_f64 v[77:78], v[77:78], v[85:86]
	s_cbranch_execz .LBB37_312
	s_branch .LBB37_313
.LBB37_311:
                                        ; implicit-def: $vgpr77_vgpr78
.LBB37_312:
	ds_load_b64 v[77:78], v80
.LBB37_313:
	s_and_saveexec_b32 s4, s0
	s_cbranch_execz .LBB37_317
; %bb.314:
	v_add_nc_u32_e32 v85, -6, v0
	s_movk_i32 s5, 0x160
	s_mov_b32 s0, 0
.LBB37_315:                             ; =>This Inner Loop Header: Depth=1
	scratch_load_b64 v[86:87], v84, off
	v_dual_mov_b32 v88, s5 :: v_dual_add_nc_u32 v85, -1, v85
	v_add_nc_u32_e32 v84, 8, v84
	s_add_i32 s5, s5, 8
	ds_load_b64 v[88:89], v88
	v_cmp_eq_u32_e32 vcc_lo, 0, v85
	s_or_b32 s0, vcc_lo, s0
	s_waitcnt vmcnt(0) lgkmcnt(0)
	v_fma_f64 v[77:78], v[86:87], v[88:89], v[77:78]
	s_and_not1_b32 exec_lo, exec_lo, s0
	s_cbranch_execnz .LBB37_315
; %bb.316:
	s_or_b32 exec_lo, exec_lo, s0
.LBB37_317:
	s_delay_alu instid0(SALU_CYCLE_1)
	s_or_b32 exec_lo, exec_lo, s4
	v_mov_b32_e32 v84, 0
	ds_load_b64 v[84:85], v84 offset:40
	s_waitcnt lgkmcnt(0)
	v_mul_f64 v[77:78], v[77:78], v[84:85]
	scratch_store_b64 off, v[77:78], off offset:40
.LBB37_318:
	s_or_b32 exec_lo, exec_lo, s3
	scratch_load_b64 v[77:78], off, off offset:32
	v_cmp_lt_u32_e64 s0, 4, v0
	s_waitcnt vmcnt(0)
	ds_store_b64 v80, v[77:78]
	s_waitcnt lgkmcnt(0)
	s_waitcnt_vscnt null, 0x0
	s_barrier
	buffer_gl0_inv
	s_and_saveexec_b32 s3, s0
	s_cbranch_execz .LBB37_328
; %bb.319:
	s_and_not1_b32 vcc_lo, exec_lo, s2
	s_cbranch_vccnz .LBB37_321
; %bb.320:
	scratch_load_b64 v[77:78], v81, off
	ds_load_b64 v[84:85], v80
	s_waitcnt vmcnt(0) lgkmcnt(0)
	v_mul_f64 v[77:78], v[77:78], v[84:85]
	s_cbranch_execz .LBB37_322
	s_branch .LBB37_323
.LBB37_321:
                                        ; implicit-def: $vgpr77_vgpr78
.LBB37_322:
	ds_load_b64 v[77:78], v80
.LBB37_323:
	s_and_saveexec_b32 s4, s1
	s_cbranch_execz .LBB37_327
; %bb.324:
	v_add_nc_u32_e64 v84, 0, 40
	v_add_nc_u32_e32 v85, -5, v0
	s_movk_i32 s5, 0x158
	s_mov_b32 s1, 0
.LBB37_325:                             ; =>This Inner Loop Header: Depth=1
	scratch_load_b64 v[86:87], v84, off
	v_dual_mov_b32 v88, s5 :: v_dual_add_nc_u32 v85, -1, v85
	v_add_nc_u32_e32 v84, 8, v84
	s_add_i32 s5, s5, 8
	ds_load_b64 v[88:89], v88
	v_cmp_eq_u32_e32 vcc_lo, 0, v85
	s_or_b32 s1, vcc_lo, s1
	s_waitcnt vmcnt(0) lgkmcnt(0)
	v_fma_f64 v[77:78], v[86:87], v[88:89], v[77:78]
	s_and_not1_b32 exec_lo, exec_lo, s1
	s_cbranch_execnz .LBB37_325
; %bb.326:
	s_or_b32 exec_lo, exec_lo, s1
.LBB37_327:
	s_delay_alu instid0(SALU_CYCLE_1)
	s_or_b32 exec_lo, exec_lo, s4
	v_mov_b32_e32 v84, 0
	ds_load_b64 v[84:85], v84 offset:32
	s_waitcnt lgkmcnt(0)
	v_mul_f64 v[77:78], v[77:78], v[84:85]
	scratch_store_b64 off, v[77:78], off offset:32
.LBB37_328:
	s_or_b32 exec_lo, exec_lo, s3
	scratch_load_b64 v[77:78], off, off offset:24
	v_cmp_lt_u32_e64 s1, 3, v0
	s_waitcnt vmcnt(0)
	ds_store_b64 v80, v[77:78]
	s_waitcnt lgkmcnt(0)
	s_waitcnt_vscnt null, 0x0
	s_barrier
	buffer_gl0_inv
	s_and_saveexec_b32 s3, s1
	s_cbranch_execz .LBB37_338
; %bb.329:
	s_and_not1_b32 vcc_lo, exec_lo, s2
	s_cbranch_vccnz .LBB37_331
; %bb.330:
	scratch_load_b64 v[77:78], v81, off
	ds_load_b64 v[84:85], v80
	s_waitcnt vmcnt(0) lgkmcnt(0)
	v_mul_f64 v[77:78], v[77:78], v[84:85]
	s_cbranch_execz .LBB37_332
	s_branch .LBB37_333
.LBB37_331:
                                        ; implicit-def: $vgpr77_vgpr78
.LBB37_332:
	ds_load_b64 v[77:78], v80
.LBB37_333:
	s_and_saveexec_b32 s4, s0
	s_cbranch_execz .LBB37_337
; %bb.334:
	v_add_nc_u32_e32 v84, -4, v0
	s_movk_i32 s5, 0x150
	s_mov_b32 s0, 0
.LBB37_335:                             ; =>This Inner Loop Header: Depth=1
	scratch_load_b64 v[85:86], v83, off
	v_dual_mov_b32 v87, s5 :: v_dual_add_nc_u32 v84, -1, v84
	v_add_nc_u32_e32 v83, 8, v83
	s_add_i32 s5, s5, 8
	ds_load_b64 v[87:88], v87
	v_cmp_eq_u32_e32 vcc_lo, 0, v84
	s_or_b32 s0, vcc_lo, s0
	s_waitcnt vmcnt(0) lgkmcnt(0)
	v_fma_f64 v[77:78], v[85:86], v[87:88], v[77:78]
	s_and_not1_b32 exec_lo, exec_lo, s0
	s_cbranch_execnz .LBB37_335
; %bb.336:
	s_or_b32 exec_lo, exec_lo, s0
.LBB37_337:
	s_delay_alu instid0(SALU_CYCLE_1)
	s_or_b32 exec_lo, exec_lo, s4
	v_mov_b32_e32 v83, 0
	ds_load_b64 v[83:84], v83 offset:24
	s_waitcnt lgkmcnt(0)
	v_mul_f64 v[77:78], v[77:78], v[83:84]
	scratch_store_b64 off, v[77:78], off offset:24
.LBB37_338:
	s_or_b32 exec_lo, exec_lo, s3
	scratch_load_b64 v[77:78], off, off offset:16
	v_cmp_lt_u32_e64 s0, 2, v0
	s_waitcnt vmcnt(0)
	ds_store_b64 v80, v[77:78]
	s_waitcnt lgkmcnt(0)
	s_waitcnt_vscnt null, 0x0
	s_barrier
	buffer_gl0_inv
	s_and_saveexec_b32 s3, s0
	s_cbranch_execz .LBB37_348
; %bb.339:
	s_and_not1_b32 vcc_lo, exec_lo, s2
	s_cbranch_vccnz .LBB37_341
; %bb.340:
	scratch_load_b64 v[77:78], v81, off
	ds_load_b64 v[83:84], v80
	s_waitcnt vmcnt(0) lgkmcnt(0)
	v_mul_f64 v[77:78], v[77:78], v[83:84]
	s_cbranch_execz .LBB37_342
	s_branch .LBB37_343
.LBB37_341:
                                        ; implicit-def: $vgpr77_vgpr78
.LBB37_342:
	ds_load_b64 v[77:78], v80
.LBB37_343:
	s_and_saveexec_b32 s4, s1
	s_cbranch_execz .LBB37_347
; %bb.344:
	v_add_nc_u32_e64 v83, 0, 24
	v_add_nc_u32_e32 v84, -3, v0
	s_movk_i32 s5, 0x148
	s_mov_b32 s1, 0
.LBB37_345:                             ; =>This Inner Loop Header: Depth=1
	scratch_load_b64 v[85:86], v83, off
	v_dual_mov_b32 v87, s5 :: v_dual_add_nc_u32 v84, -1, v84
	v_add_nc_u32_e32 v83, 8, v83
	s_add_i32 s5, s5, 8
	ds_load_b64 v[87:88], v87
	v_cmp_eq_u32_e32 vcc_lo, 0, v84
	s_or_b32 s1, vcc_lo, s1
	s_waitcnt vmcnt(0) lgkmcnt(0)
	v_fma_f64 v[77:78], v[85:86], v[87:88], v[77:78]
	s_and_not1_b32 exec_lo, exec_lo, s1
	s_cbranch_execnz .LBB37_345
; %bb.346:
	s_or_b32 exec_lo, exec_lo, s1
.LBB37_347:
	s_delay_alu instid0(SALU_CYCLE_1)
	s_or_b32 exec_lo, exec_lo, s4
	v_mov_b32_e32 v83, 0
	ds_load_b64 v[83:84], v83 offset:16
	s_waitcnt lgkmcnt(0)
	v_mul_f64 v[77:78], v[77:78], v[83:84]
	scratch_store_b64 off, v[77:78], off offset:16
.LBB37_348:
	s_or_b32 exec_lo, exec_lo, s3
	scratch_load_b64 v[77:78], off, off offset:8
	v_cmp_lt_u32_e64 s1, 1, v0
	s_waitcnt vmcnt(0)
	ds_store_b64 v80, v[77:78]
	s_waitcnt lgkmcnt(0)
	s_waitcnt_vscnt null, 0x0
	s_barrier
	buffer_gl0_inv
	s_and_saveexec_b32 s3, s1
	s_cbranch_execz .LBB37_358
; %bb.349:
	s_and_not1_b32 vcc_lo, exec_lo, s2
	s_cbranch_vccnz .LBB37_351
; %bb.350:
	scratch_load_b64 v[77:78], v81, off
	ds_load_b64 v[83:84], v80
	s_waitcnt vmcnt(0) lgkmcnt(0)
	v_mul_f64 v[77:78], v[77:78], v[83:84]
	s_cbranch_execz .LBB37_352
	s_branch .LBB37_353
.LBB37_351:
                                        ; implicit-def: $vgpr77_vgpr78
.LBB37_352:
	ds_load_b64 v[77:78], v80
.LBB37_353:
	s_and_saveexec_b32 s4, s0
	s_cbranch_execz .LBB37_357
; %bb.354:
	v_add_nc_u32_e32 v83, -2, v0
	s_movk_i32 s5, 0x140
	s_mov_b32 s0, 0
.LBB37_355:                             ; =>This Inner Loop Header: Depth=1
	scratch_load_b64 v[84:85], v82, off
	v_dual_mov_b32 v86, s5 :: v_dual_add_nc_u32 v83, -1, v83
	v_add_nc_u32_e32 v82, 8, v82
	s_add_i32 s5, s5, 8
	ds_load_b64 v[86:87], v86
	v_cmp_eq_u32_e32 vcc_lo, 0, v83
	s_or_b32 s0, vcc_lo, s0
	s_waitcnt vmcnt(0) lgkmcnt(0)
	v_fma_f64 v[77:78], v[84:85], v[86:87], v[77:78]
	s_and_not1_b32 exec_lo, exec_lo, s0
	s_cbranch_execnz .LBB37_355
; %bb.356:
	s_or_b32 exec_lo, exec_lo, s0
.LBB37_357:
	s_delay_alu instid0(SALU_CYCLE_1)
	s_or_b32 exec_lo, exec_lo, s4
	v_mov_b32_e32 v82, 0
	ds_load_b64 v[82:83], v82 offset:8
	s_waitcnt lgkmcnt(0)
	v_mul_f64 v[77:78], v[77:78], v[82:83]
	scratch_store_b64 off, v[77:78], off offset:8
.LBB37_358:
	s_or_b32 exec_lo, exec_lo, s3
	scratch_load_b64 v[77:78], off, off
	s_mov_b32 s0, 0
	s_mov_b32 s3, exec_lo
	s_waitcnt vmcnt(0)
	ds_store_b64 v80, v[77:78]
	s_waitcnt lgkmcnt(0)
	s_waitcnt_vscnt null, 0x0
	s_barrier
	buffer_gl0_inv
	v_cmpx_ne_u32_e32 0, v0
	s_cbranch_execz .LBB37_368
; %bb.359:
	s_and_not1_b32 vcc_lo, exec_lo, s2
	s_cbranch_vccnz .LBB37_361
; %bb.360:
	scratch_load_b64 v[77:78], v81, off
	ds_load_b64 v[82:83], v80
	s_waitcnt vmcnt(0) lgkmcnt(0)
	v_mul_f64 v[77:78], v[77:78], v[82:83]
	s_cbranch_execz .LBB37_362
	s_branch .LBB37_363
.LBB37_361:
                                        ; implicit-def: $vgpr77_vgpr78
.LBB37_362:
	ds_load_b64 v[77:78], v80
.LBB37_363:
	s_and_saveexec_b32 s4, s1
	s_cbranch_execz .LBB37_367
; %bb.364:
	v_or_b32_e64 v82, 0, 8
	v_add_nc_u32_e32 v83, -1, v0
	s_movk_i32 s5, 0x138
	s_mov_b32 s1, 0
.LBB37_365:                             ; =>This Inner Loop Header: Depth=1
	scratch_load_b64 v[84:85], v82, off
	v_dual_mov_b32 v86, s5 :: v_dual_add_nc_u32 v83, -1, v83
	v_add_nc_u32_e32 v82, 8, v82
	s_add_i32 s5, s5, 8
	ds_load_b64 v[86:87], v86
	v_cmp_eq_u32_e32 vcc_lo, 0, v83
	s_or_b32 s1, vcc_lo, s1
	s_waitcnt vmcnt(0) lgkmcnt(0)
	v_fma_f64 v[77:78], v[84:85], v[86:87], v[77:78]
	s_and_not1_b32 exec_lo, exec_lo, s1
	s_cbranch_execnz .LBB37_365
; %bb.366:
	s_or_b32 exec_lo, exec_lo, s1
.LBB37_367:
	s_delay_alu instid0(SALU_CYCLE_1)
	s_or_b32 exec_lo, exec_lo, s4
	v_mov_b32_e32 v82, 0
	ds_load_b64 v[82:83], v82
	s_waitcnt lgkmcnt(0)
	v_mul_f64 v[77:78], v[77:78], v[82:83]
	scratch_store_b64 off, v[77:78], off
.LBB37_368:
	s_or_b32 exec_lo, exec_lo, s3
.LBB37_369:
	s_delay_alu instid0(SALU_CYCLE_1)
	s_and_b32 vcc_lo, exec_lo, s0
	s_cbranch_vccz .LBB37_735
; %bb.370:
	scratch_load_b64 v[77:78], off, off offset:8
	v_cmp_eq_u32_e64 s0, 0, v0
	s_waitcnt vmcnt(0)
	ds_store_b64 v80, v[77:78]
	s_waitcnt lgkmcnt(0)
	s_waitcnt_vscnt null, 0x0
	s_barrier
	buffer_gl0_inv
	s_and_saveexec_b32 s1, s0
	s_cbranch_execz .LBB37_376
; %bb.371:
	s_and_b32 vcc_lo, exec_lo, s2
	s_cbranch_vccz .LBB37_373
; %bb.372:
	scratch_load_b64 v[77:78], v81, off
	ds_load_b64 v[82:83], v80
	s_waitcnt vmcnt(0) lgkmcnt(0)
	v_mul_f64 v[77:78], v[77:78], v[82:83]
	s_cbranch_execz .LBB37_374
	s_branch .LBB37_375
.LBB37_373:
                                        ; implicit-def: $vgpr77_vgpr78
.LBB37_374:
	ds_load_b64 v[77:78], v80
.LBB37_375:
	v_mov_b32_e32 v82, 0
	ds_load_b64 v[82:83], v82 offset:8
	s_waitcnt lgkmcnt(0)
	v_mul_f64 v[77:78], v[77:78], v[82:83]
	scratch_store_b64 off, v[77:78], off offset:8
.LBB37_376:
	s_or_b32 exec_lo, exec_lo, s1
	scratch_load_b64 v[77:78], off, off offset:16
	v_cndmask_b32_e64 v82, 0, 1, s2
	s_mov_b32 s1, exec_lo
	s_waitcnt vmcnt(0)
	ds_store_b64 v80, v[77:78]
	s_waitcnt lgkmcnt(0)
	s_waitcnt_vscnt null, 0x0
	s_barrier
	buffer_gl0_inv
	v_cmpx_gt_u32_e32 2, v0
	s_cbranch_execz .LBB37_384
; %bb.377:
	s_and_not1_b32 vcc_lo, exec_lo, s2
	s_cbranch_vccnz .LBB37_379
; %bb.378:
	scratch_load_b64 v[77:78], v81, off
	ds_load_b64 v[83:84], v80
	s_waitcnt vmcnt(0) lgkmcnt(0)
	v_mul_f64 v[77:78], v[77:78], v[83:84]
	s_cbranch_execz .LBB37_380
	s_branch .LBB37_381
.LBB37_379:
                                        ; implicit-def: $vgpr77_vgpr78
.LBB37_380:
	ds_load_b64 v[77:78], v80
.LBB37_381:
	s_and_saveexec_b32 s2, s0
	s_cbranch_execz .LBB37_383
; %bb.382:
	scratch_load_b64 v[83:84], v81, off offset:8
	ds_load_b64 v[85:86], v80 offset:8
	s_waitcnt vmcnt(0) lgkmcnt(0)
	v_fma_f64 v[77:78], v[83:84], v[85:86], v[77:78]
.LBB37_383:
	s_or_b32 exec_lo, exec_lo, s2
	v_mov_b32_e32 v83, 0
	ds_load_b64 v[83:84], v83 offset:16
	s_waitcnt lgkmcnt(0)
	v_mul_f64 v[77:78], v[77:78], v[83:84]
	scratch_store_b64 off, v[77:78], off offset:16
.LBB37_384:
	s_or_b32 exec_lo, exec_lo, s1
	scratch_load_b64 v[77:78], off, off offset:24
	s_mov_b32 s1, exec_lo
	s_waitcnt vmcnt(0)
	ds_store_b64 v80, v[77:78]
	s_waitcnt lgkmcnt(0)
	s_waitcnt_vscnt null, 0x0
	s_barrier
	buffer_gl0_inv
	v_cmpx_gt_u32_e32 3, v0
	s_cbranch_execz .LBB37_394
; %bb.385:
	v_cmp_ne_u32_e32 vcc_lo, 1, v82
	s_cbranch_vccnz .LBB37_387
; %bb.386:
	scratch_load_b64 v[77:78], v81, off
	ds_load_b64 v[83:84], v80
	s_waitcnt vmcnt(0) lgkmcnt(0)
	v_mul_f64 v[77:78], v[77:78], v[83:84]
	s_cbranch_execz .LBB37_388
	s_branch .LBB37_389
.LBB37_387:
                                        ; implicit-def: $vgpr77_vgpr78
.LBB37_388:
	ds_load_b64 v[77:78], v80
.LBB37_389:
	s_mov_b32 s2, exec_lo
	v_cmpx_ne_u32_e32 2, v0
	s_cbranch_execz .LBB37_393
; %bb.390:
	scratch_load_b64 v[83:84], v81, off offset:8
	ds_load_b64 v[85:86], v80 offset:8
	s_waitcnt vmcnt(0) lgkmcnt(0)
	v_fma_f64 v[77:78], v[83:84], v[85:86], v[77:78]
	s_and_saveexec_b32 s3, s0
	s_cbranch_execz .LBB37_392
; %bb.391:
	scratch_load_b64 v[83:84], off, off offset:16
	v_mov_b32_e32 v85, 0
	ds_load_b64 v[85:86], v85 offset:320
	s_waitcnt vmcnt(0) lgkmcnt(0)
	v_fma_f64 v[77:78], v[83:84], v[85:86], v[77:78]
.LBB37_392:
	s_or_b32 exec_lo, exec_lo, s3
.LBB37_393:
	s_delay_alu instid0(SALU_CYCLE_1)
	s_or_b32 exec_lo, exec_lo, s2
	v_mov_b32_e32 v83, 0
	ds_load_b64 v[83:84], v83 offset:24
	s_waitcnt lgkmcnt(0)
	v_mul_f64 v[77:78], v[77:78], v[83:84]
	scratch_store_b64 off, v[77:78], off offset:24
.LBB37_394:
	s_or_b32 exec_lo, exec_lo, s1
	scratch_load_b64 v[77:78], off, off offset:32
	s_mov_b32 s0, exec_lo
	s_waitcnt vmcnt(0)
	ds_store_b64 v80, v[77:78]
	s_waitcnt lgkmcnt(0)
	s_waitcnt_vscnt null, 0x0
	s_barrier
	buffer_gl0_inv
	v_cmpx_gt_u32_e32 4, v0
	s_cbranch_execz .LBB37_404
; %bb.395:
	v_cmp_ne_u32_e32 vcc_lo, 1, v82
	s_cbranch_vccnz .LBB37_397
; %bb.396:
	scratch_load_b64 v[77:78], v81, off
	ds_load_b64 v[83:84], v80
	s_waitcnt vmcnt(0) lgkmcnt(0)
	v_mul_f64 v[77:78], v[77:78], v[83:84]
	s_cbranch_execz .LBB37_398
	s_branch .LBB37_399
.LBB37_397:
                                        ; implicit-def: $vgpr77_vgpr78
.LBB37_398:
	ds_load_b64 v[77:78], v80
.LBB37_399:
	s_mov_b32 s1, exec_lo
	v_cmpx_ne_u32_e32 3, v0
	s_cbranch_execz .LBB37_403
; %bb.400:
	v_add_nc_u32_e32 v83, 0x138, v79
	v_add3_u32 v84, 0, v79, 8
	v_mov_b32_e32 v85, v0
	s_mov_b32 s2, 0
.LBB37_401:                             ; =>This Inner Loop Header: Depth=1
	scratch_load_b64 v[86:87], v84, off
	ds_load_b64 v[88:89], v83
	v_add_nc_u32_e32 v85, 1, v85
	v_add_nc_u32_e32 v83, 8, v83
	v_add_nc_u32_e32 v84, 8, v84
	s_delay_alu instid0(VALU_DEP_3)
	v_cmp_lt_u32_e32 vcc_lo, 2, v85
	s_or_b32 s2, vcc_lo, s2
	s_waitcnt vmcnt(0) lgkmcnt(0)
	v_fma_f64 v[77:78], v[86:87], v[88:89], v[77:78]
	s_and_not1_b32 exec_lo, exec_lo, s2
	s_cbranch_execnz .LBB37_401
; %bb.402:
	s_or_b32 exec_lo, exec_lo, s2
.LBB37_403:
	s_delay_alu instid0(SALU_CYCLE_1)
	s_or_b32 exec_lo, exec_lo, s1
	v_mov_b32_e32 v83, 0
	ds_load_b64 v[83:84], v83 offset:32
	s_waitcnt lgkmcnt(0)
	v_mul_f64 v[77:78], v[77:78], v[83:84]
	scratch_store_b64 off, v[77:78], off offset:32
.LBB37_404:
	s_or_b32 exec_lo, exec_lo, s0
	scratch_load_b64 v[77:78], off, off offset:40
	s_mov_b32 s0, exec_lo
	s_waitcnt vmcnt(0)
	ds_store_b64 v80, v[77:78]
	s_waitcnt lgkmcnt(0)
	s_waitcnt_vscnt null, 0x0
	s_barrier
	buffer_gl0_inv
	v_cmpx_gt_u32_e32 5, v0
	s_cbranch_execz .LBB37_414
; %bb.405:
	v_cmp_ne_u32_e32 vcc_lo, 1, v82
	s_cbranch_vccnz .LBB37_407
; %bb.406:
	scratch_load_b64 v[77:78], v81, off
	ds_load_b64 v[83:84], v80
	s_waitcnt vmcnt(0) lgkmcnt(0)
	v_mul_f64 v[77:78], v[77:78], v[83:84]
	s_cbranch_execz .LBB37_408
	s_branch .LBB37_409
.LBB37_407:
                                        ; implicit-def: $vgpr77_vgpr78
.LBB37_408:
	ds_load_b64 v[77:78], v80
.LBB37_409:
	s_mov_b32 s1, exec_lo
	v_cmpx_ne_u32_e32 4, v0
	s_cbranch_execz .LBB37_413
; %bb.410:
	v_add_nc_u32_e32 v83, 0x138, v79
	v_add3_u32 v84, 0, v79, 8
	v_mov_b32_e32 v85, v0
	s_mov_b32 s2, 0
.LBB37_411:                             ; =>This Inner Loop Header: Depth=1
	scratch_load_b64 v[86:87], v84, off
	ds_load_b64 v[88:89], v83
	v_add_nc_u32_e32 v85, 1, v85
	v_add_nc_u32_e32 v83, 8, v83
	v_add_nc_u32_e32 v84, 8, v84
	s_delay_alu instid0(VALU_DEP_3)
	v_cmp_lt_u32_e32 vcc_lo, 3, v85
	s_or_b32 s2, vcc_lo, s2
	s_waitcnt vmcnt(0) lgkmcnt(0)
	v_fma_f64 v[77:78], v[86:87], v[88:89], v[77:78]
	s_and_not1_b32 exec_lo, exec_lo, s2
	s_cbranch_execnz .LBB37_411
; %bb.412:
	s_or_b32 exec_lo, exec_lo, s2
.LBB37_413:
	s_delay_alu instid0(SALU_CYCLE_1)
	s_or_b32 exec_lo, exec_lo, s1
	v_mov_b32_e32 v83, 0
	ds_load_b64 v[83:84], v83 offset:40
	s_waitcnt lgkmcnt(0)
	v_mul_f64 v[77:78], v[77:78], v[83:84]
	scratch_store_b64 off, v[77:78], off offset:40
.LBB37_414:
	;; [unrolled: 58-line block ×32, first 2 shown]
	s_or_b32 exec_lo, exec_lo, s0
	scratch_load_b64 v[77:78], off, off offset:288
	v_cmp_gt_u32_e64 s0, 36, v0
	s_waitcnt vmcnt(0)
	ds_store_b64 v80, v[77:78]
	s_waitcnt lgkmcnt(0)
	s_waitcnt_vscnt null, 0x0
	s_barrier
	buffer_gl0_inv
	s_and_saveexec_b32 s1, s0
	s_cbranch_execz .LBB37_724
; %bb.715:
	v_cmp_ne_u32_e32 vcc_lo, 1, v82
	s_cbranch_vccnz .LBB37_717
; %bb.716:
	scratch_load_b64 v[77:78], v81, off
	ds_load_b64 v[83:84], v80
	s_waitcnt vmcnt(0) lgkmcnt(0)
	v_mul_f64 v[77:78], v[77:78], v[83:84]
	s_cbranch_execz .LBB37_718
	s_branch .LBB37_719
.LBB37_717:
                                        ; implicit-def: $vgpr77_vgpr78
.LBB37_718:
	ds_load_b64 v[77:78], v80
.LBB37_719:
	s_mov_b32 s2, exec_lo
	v_cmpx_ne_u32_e32 35, v0
	s_cbranch_execz .LBB37_723
; %bb.720:
	v_add_nc_u32_e32 v83, 0x138, v79
	v_add3_u32 v84, 0, v79, 8
	v_mov_b32_e32 v85, v0
	s_mov_b32 s3, 0
.LBB37_721:                             ; =>This Inner Loop Header: Depth=1
	scratch_load_b64 v[86:87], v84, off
	ds_load_b64 v[88:89], v83
	v_add_nc_u32_e32 v85, 1, v85
	v_add_nc_u32_e32 v83, 8, v83
	;; [unrolled: 1-line block ×3, first 2 shown]
	s_delay_alu instid0(VALU_DEP_3)
	v_cmp_lt_u32_e32 vcc_lo, 34, v85
	s_or_b32 s3, vcc_lo, s3
	s_waitcnt vmcnt(0) lgkmcnt(0)
	v_fma_f64 v[77:78], v[86:87], v[88:89], v[77:78]
	s_and_not1_b32 exec_lo, exec_lo, s3
	s_cbranch_execnz .LBB37_721
; %bb.722:
	s_or_b32 exec_lo, exec_lo, s3
.LBB37_723:
	s_delay_alu instid0(SALU_CYCLE_1)
	s_or_b32 exec_lo, exec_lo, s2
	v_mov_b32_e32 v83, 0
	ds_load_b64 v[83:84], v83 offset:288
	s_waitcnt lgkmcnt(0)
	v_mul_f64 v[77:78], v[77:78], v[83:84]
	scratch_store_b64 off, v[77:78], off offset:288
.LBB37_724:
	s_or_b32 exec_lo, exec_lo, s1
	scratch_load_b64 v[77:78], off, off offset:296
	s_mov_b32 s1, exec_lo
	s_waitcnt vmcnt(0)
	ds_store_b64 v80, v[77:78]
	s_waitcnt lgkmcnt(0)
	s_waitcnt_vscnt null, 0x0
	s_barrier
	buffer_gl0_inv
	v_cmpx_ne_u32_e32 37, v0
	s_cbranch_execz .LBB37_734
; %bb.725:
	v_cmp_ne_u32_e32 vcc_lo, 1, v82
	s_cbranch_vccnz .LBB37_727
; %bb.726:
	scratch_load_b64 v[77:78], v81, off
	ds_load_b64 v[81:82], v80
	s_waitcnt vmcnt(0) lgkmcnt(0)
	v_mul_f64 v[77:78], v[77:78], v[81:82]
	s_cbranch_execz .LBB37_728
	s_branch .LBB37_729
.LBB37_727:
                                        ; implicit-def: $vgpr77_vgpr78
.LBB37_728:
	ds_load_b64 v[77:78], v80
.LBB37_729:
	s_and_saveexec_b32 s2, s0
	s_cbranch_execz .LBB37_733
; %bb.730:
	v_add_nc_u32_e32 v80, 0x138, v79
	v_add3_u32 v79, 0, v79, 8
	s_mov_b32 s0, 0
.LBB37_731:                             ; =>This Inner Loop Header: Depth=1
	scratch_load_b64 v[81:82], v79, off
	ds_load_b64 v[83:84], v80
	v_add_nc_u32_e32 v0, 1, v0
	v_add_nc_u32_e32 v80, 8, v80
	;; [unrolled: 1-line block ×3, first 2 shown]
	s_delay_alu instid0(VALU_DEP_3)
	v_cmp_lt_u32_e32 vcc_lo, 35, v0
	s_or_b32 s0, vcc_lo, s0
	s_waitcnt vmcnt(0) lgkmcnt(0)
	v_fma_f64 v[77:78], v[81:82], v[83:84], v[77:78]
	s_and_not1_b32 exec_lo, exec_lo, s0
	s_cbranch_execnz .LBB37_731
; %bb.732:
	s_or_b32 exec_lo, exec_lo, s0
.LBB37_733:
	s_delay_alu instid0(SALU_CYCLE_1)
	s_or_b32 exec_lo, exec_lo, s2
	v_mov_b32_e32 v0, 0
	ds_load_b64 v[79:80], v0 offset:296
	s_waitcnt lgkmcnt(0)
	v_mul_f64 v[77:78], v[77:78], v[79:80]
	scratch_store_b64 off, v[77:78], off offset:296
.LBB37_734:
	s_or_b32 exec_lo, exec_lo, s1
.LBB37_735:
	s_clause 0x9
	scratch_load_b128 v[77:80], off, off
	scratch_load_b128 v[81:84], off, off offset:16
	scratch_load_b128 v[85:88], off, off offset:32
	;; [unrolled: 1-line block ×9, first 2 shown]
	s_waitcnt vmcnt(9)
	s_clause 0x1
	global_store_b64 v[9:10], v[77:78], off
	global_store_b64 v[11:12], v[79:80], off
	s_clause 0x1
	scratch_load_b128 v[9:12], off, off offset:160
	scratch_load_b128 v[77:80], off, off offset:176
	s_waitcnt vmcnt(10)
	s_clause 0x1
	global_store_b64 v[13:14], v[81:82], off
	global_store_b64 v[15:16], v[83:84], off
	s_clause 0x1
	scratch_load_b128 v[13:16], off, off offset:192
	scratch_load_b128 v[81:84], off, off offset:208
	;; [unrolled: 7-line block ×4, first 2 shown]
	s_waitcnt vmcnt(13)
	s_clause 0x1
	global_store_b64 v[17:18], v[93:94], off
	global_store_b64 v[19:20], v[95:96], off
	scratch_load_b128 v[17:20], off, off offset:288
	s_waitcnt vmcnt(13)
	s_clause 0x1
	global_store_b64 v[23:24], v[97:98], off
	global_store_b64 v[31:32], v[99:100], off
	s_waitcnt vmcnt(12)
	s_clause 0x1
	global_store_b64 v[33:34], v[101:102], off
	global_store_b64 v[35:36], v[103:104], off
	;; [unrolled: 4-line block ×14, first 2 shown]
.LBB37_736:
	s_endpgm
	.section	.rodata,"a",@progbits
	.p2align	6, 0x0
	.amdhsa_kernel _ZN9rocsolver6v33100L18trti2_kernel_smallILi38EdPdEEv13rocblas_fill_17rocblas_diagonal_T1_iil
		.amdhsa_group_segment_fixed_size 608
		.amdhsa_private_segment_fixed_size 320
		.amdhsa_kernarg_size 32
		.amdhsa_user_sgpr_count 15
		.amdhsa_user_sgpr_dispatch_ptr 0
		.amdhsa_user_sgpr_queue_ptr 0
		.amdhsa_user_sgpr_kernarg_segment_ptr 1
		.amdhsa_user_sgpr_dispatch_id 0
		.amdhsa_user_sgpr_private_segment_size 0
		.amdhsa_wavefront_size32 1
		.amdhsa_uses_dynamic_stack 0
		.amdhsa_enable_private_segment 1
		.amdhsa_system_sgpr_workgroup_id_x 1
		.amdhsa_system_sgpr_workgroup_id_y 0
		.amdhsa_system_sgpr_workgroup_id_z 0
		.amdhsa_system_sgpr_workgroup_info 0
		.amdhsa_system_vgpr_workitem_id 0
		.amdhsa_next_free_vgpr 122
		.amdhsa_next_free_sgpr 16
		.amdhsa_reserve_vcc 1
		.amdhsa_float_round_mode_32 0
		.amdhsa_float_round_mode_16_64 0
		.amdhsa_float_denorm_mode_32 3
		.amdhsa_float_denorm_mode_16_64 3
		.amdhsa_dx10_clamp 1
		.amdhsa_ieee_mode 1
		.amdhsa_fp16_overflow 0
		.amdhsa_workgroup_processor_mode 1
		.amdhsa_memory_ordered 1
		.amdhsa_forward_progress 0
		.amdhsa_shared_vgpr_count 0
		.amdhsa_exception_fp_ieee_invalid_op 0
		.amdhsa_exception_fp_denorm_src 0
		.amdhsa_exception_fp_ieee_div_zero 0
		.amdhsa_exception_fp_ieee_overflow 0
		.amdhsa_exception_fp_ieee_underflow 0
		.amdhsa_exception_fp_ieee_inexact 0
		.amdhsa_exception_int_div_zero 0
	.end_amdhsa_kernel
	.section	.text._ZN9rocsolver6v33100L18trti2_kernel_smallILi38EdPdEEv13rocblas_fill_17rocblas_diagonal_T1_iil,"axG",@progbits,_ZN9rocsolver6v33100L18trti2_kernel_smallILi38EdPdEEv13rocblas_fill_17rocblas_diagonal_T1_iil,comdat
.Lfunc_end37:
	.size	_ZN9rocsolver6v33100L18trti2_kernel_smallILi38EdPdEEv13rocblas_fill_17rocblas_diagonal_T1_iil, .Lfunc_end37-_ZN9rocsolver6v33100L18trti2_kernel_smallILi38EdPdEEv13rocblas_fill_17rocblas_diagonal_T1_iil
                                        ; -- End function
	.section	.AMDGPU.csdata,"",@progbits
; Kernel info:
; codeLenInByte = 20680
; NumSgprs: 18
; NumVgprs: 122
; ScratchSize: 320
; MemoryBound: 0
; FloatMode: 240
; IeeeMode: 1
; LDSByteSize: 608 bytes/workgroup (compile time only)
; SGPRBlocks: 2
; VGPRBlocks: 15
; NumSGPRsForWavesPerEU: 18
; NumVGPRsForWavesPerEU: 122
; Occupancy: 10
; WaveLimiterHint : 0
; COMPUTE_PGM_RSRC2:SCRATCH_EN: 1
; COMPUTE_PGM_RSRC2:USER_SGPR: 15
; COMPUTE_PGM_RSRC2:TRAP_HANDLER: 0
; COMPUTE_PGM_RSRC2:TGID_X_EN: 1
; COMPUTE_PGM_RSRC2:TGID_Y_EN: 0
; COMPUTE_PGM_RSRC2:TGID_Z_EN: 0
; COMPUTE_PGM_RSRC2:TIDIG_COMP_CNT: 0
	.section	.text._ZN9rocsolver6v33100L18trti2_kernel_smallILi39EdPdEEv13rocblas_fill_17rocblas_diagonal_T1_iil,"axG",@progbits,_ZN9rocsolver6v33100L18trti2_kernel_smallILi39EdPdEEv13rocblas_fill_17rocblas_diagonal_T1_iil,comdat
	.globl	_ZN9rocsolver6v33100L18trti2_kernel_smallILi39EdPdEEv13rocblas_fill_17rocblas_diagonal_T1_iil ; -- Begin function _ZN9rocsolver6v33100L18trti2_kernel_smallILi39EdPdEEv13rocblas_fill_17rocblas_diagonal_T1_iil
	.p2align	8
	.type	_ZN9rocsolver6v33100L18trti2_kernel_smallILi39EdPdEEv13rocblas_fill_17rocblas_diagonal_T1_iil,@function
_ZN9rocsolver6v33100L18trti2_kernel_smallILi39EdPdEEv13rocblas_fill_17rocblas_diagonal_T1_iil: ; @_ZN9rocsolver6v33100L18trti2_kernel_smallILi39EdPdEEv13rocblas_fill_17rocblas_diagonal_T1_iil
; %bb.0:
	s_mov_b32 s2, exec_lo
	v_cmpx_gt_u32_e32 39, v0
	s_cbranch_execz .LBB38_756
; %bb.1:
	s_load_b256 s[0:7], s[0:1], 0x0
	s_ashr_i32 s8, s15, 31
	v_lshlrev_b32_e32 v81, 3, v0
	s_waitcnt lgkmcnt(0)
	s_mul_i32 s7, s15, s7
	s_mul_hi_u32 s10, s15, s6
	s_mul_i32 s11, s8, s6
	s_add_i32 s7, s10, s7
	s_mul_i32 s6, s15, s6
	s_add_i32 s7, s7, s11
	s_ashr_i32 s9, s4, 31
	s_lshl_b64 s[6:7], s[6:7], 3
	s_mov_b32 s8, s4
	v_add3_u32 v5, s5, s5, v0
	s_add_u32 s4, s2, s6
	s_addc_u32 s6, s3, s7
	s_lshl_b64 s[2:3], s[8:9], 3
	s_mov_b32 s10, s5
	s_add_u32 s2, s4, s2
	v_add_nc_u32_e32 v7, s5, v5
	s_addc_u32 s3, s6, s3
	v_add_co_u32 v3, s4, s2, v81
	s_ashr_i32 s11, s5, 31
	v_add_co_ci_u32_e64 v4, null, s3, 0, s4
	s_lshl_b64 s[6:7], s[10:11], 3
	v_ashrrev_i32_e32 v6, 31, v5
	v_add_nc_u32_e32 v11, s5, v7
	v_add_co_u32 v1, vcc_lo, v3, s6
	v_ashrrev_i32_e32 v8, 31, v7
	v_add_co_ci_u32_e32 v2, vcc_lo, s7, v4, vcc_lo
	v_lshlrev_b64 v[5:6], 3, v[5:6]
	v_add_nc_u32_e32 v13, s5, v11
	s_clause 0x1
	global_load_b64 v[39:40], v81, s[2:3]
	global_load_b64 v[41:42], v[1:2], off
	v_lshlrev_b64 v[7:8], 3, v[7:8]
	v_ashrrev_i32_e32 v12, 31, v11
	s_cmpk_lg_i32 s1, 0x84
	v_add_co_u32 v9, vcc_lo, s2, v5
	v_ashrrev_i32_e32 v14, 31, v13
	v_add_co_ci_u32_e32 v10, vcc_lo, s3, v6, vcc_lo
	v_lshlrev_b64 v[5:6], 3, v[11:12]
	v_add_co_u32 v17, vcc_lo, s2, v7
	v_add_co_ci_u32_e32 v18, vcc_lo, s3, v8, vcc_lo
	v_lshlrev_b64 v[7:8], 3, v[13:14]
	s_delay_alu instid0(VALU_DEP_4) | instskip(SKIP_1) | instid1(VALU_DEP_3)
	v_add_co_u32 v11, vcc_lo, s2, v5
	v_add_co_ci_u32_e32 v12, vcc_lo, s3, v6, vcc_lo
	v_add_co_u32 v5, vcc_lo, s2, v7
	s_delay_alu instid0(VALU_DEP_4)
	v_add_co_ci_u32_e32 v6, vcc_lo, s3, v8, vcc_lo
	s_clause 0x3
	global_load_b64 v[47:48], v[9:10], off
	global_load_b64 v[49:50], v[17:18], off
	global_load_b64 v[51:52], v[11:12], off
	global_load_b64 v[53:54], v[5:6], off
	v_add_nc_u32_e32 v7, s5, v13
	s_delay_alu instid0(VALU_DEP_1) | instskip(SKIP_1) | instid1(VALU_DEP_2)
	v_add_nc_u32_e32 v13, s5, v7
	v_ashrrev_i32_e32 v8, 31, v7
	v_add_nc_u32_e32 v15, s5, v13
	v_ashrrev_i32_e32 v14, 31, v13
	s_delay_alu instid0(VALU_DEP_3) | instskip(NEXT) | instid1(VALU_DEP_3)
	v_lshlrev_b64 v[7:8], 3, v[7:8]
	v_add_nc_u32_e32 v19, s5, v15
	v_ashrrev_i32_e32 v16, 31, v15
	s_delay_alu instid0(VALU_DEP_4) | instskip(NEXT) | instid1(VALU_DEP_4)
	v_lshlrev_b64 v[13:14], 3, v[13:14]
	v_add_co_u32 v23, vcc_lo, s2, v7
	s_delay_alu instid0(VALU_DEP_4) | instskip(SKIP_3) | instid1(VALU_DEP_4)
	v_add_nc_u32_e32 v21, s5, v19
	v_add_co_ci_u32_e32 v24, vcc_lo, s3, v8, vcc_lo
	v_lshlrev_b64 v[7:8], 3, v[15:16]
	v_ashrrev_i32_e32 v20, 31, v19
	v_add_nc_u32_e32 v27, s5, v21
	v_add_co_u32 v25, vcc_lo, s2, v13
	v_ashrrev_i32_e32 v22, 31, v21
	v_add_co_ci_u32_e32 v26, vcc_lo, s3, v14, vcc_lo
	s_delay_alu instid0(VALU_DEP_4) | instskip(SKIP_3) | instid1(VALU_DEP_4)
	v_add_nc_u32_e32 v29, s5, v27
	v_lshlrev_b64 v[13:14], 3, v[19:20]
	v_add_co_u32 v19, vcc_lo, s2, v7
	v_ashrrev_i32_e32 v28, 31, v27
	v_add_nc_u32_e32 v31, s5, v29
	v_add_co_ci_u32_e32 v20, vcc_lo, s3, v8, vcc_lo
	v_lshlrev_b64 v[7:8], 3, v[21:22]
	v_ashrrev_i32_e32 v30, 31, v29
	s_delay_alu instid0(VALU_DEP_4) | instskip(SKIP_3) | instid1(VALU_DEP_4)
	v_add_nc_u32_e32 v33, s5, v31
	v_add_co_u32 v13, vcc_lo, s2, v13
	v_lshlrev_b64 v[15:16], 3, v[27:28]
	v_ashrrev_i32_e32 v32, 31, v31
	v_add_nc_u32_e32 v35, s5, v33
	v_add_co_ci_u32_e32 v14, vcc_lo, s3, v14, vcc_lo
	v_add_co_u32 v7, vcc_lo, s2, v7
	s_delay_alu instid0(VALU_DEP_3) | instskip(SKIP_3) | instid1(VALU_DEP_4)
	v_add_nc_u32_e32 v37, s5, v35
	v_lshlrev_b64 v[21:22], 3, v[29:30]
	v_ashrrev_i32_e32 v34, 31, v33
	v_add_co_ci_u32_e32 v8, vcc_lo, s3, v8, vcc_lo
	v_add_nc_u32_e32 v43, s5, v37
	v_ashrrev_i32_e32 v36, 31, v35
	v_add_co_u32 v15, vcc_lo, s2, v15
	v_lshlrev_b64 v[27:28], 3, v[31:32]
	s_delay_alu instid0(VALU_DEP_4)
	v_add_nc_u32_e32 v45, s5, v43
	v_add_co_ci_u32_e32 v16, vcc_lo, s3, v16, vcc_lo
	s_clause 0x2
	global_load_b64 v[55:56], v[23:24], off
	global_load_b64 v[57:58], v[25:26], off
	;; [unrolled: 1-line block ×3, first 2 shown]
	v_add_co_u32 v21, vcc_lo, s2, v21
	v_add_nc_u32_e32 v79, s5, v45
	v_lshlrev_b64 v[29:30], 3, v[33:34]
	global_load_b64 v[61:62], v[13:14], off
	v_lshlrev_b64 v[31:32], 3, v[35:36]
	v_add_co_ci_u32_e32 v22, vcc_lo, s3, v22, vcc_lo
	v_add_nc_u32_e32 v82, s5, v79
	v_add_co_u32 v27, vcc_lo, s2, v27
	v_ashrrev_i32_e32 v38, 31, v37
	v_add_co_ci_u32_e32 v28, vcc_lo, s3, v28, vcc_lo
	s_delay_alu instid0(VALU_DEP_4) | instskip(SKIP_2) | instid1(VALU_DEP_3)
	v_add_nc_u32_e32 v84, s5, v82
	v_add_co_u32 v29, vcc_lo, s2, v29
	v_add_co_ci_u32_e32 v30, vcc_lo, s3, v30, vcc_lo
	v_add_nc_u32_e32 v90, s5, v84
	v_lshlrev_b64 v[37:38], 3, v[37:38]
	v_ashrrev_i32_e32 v44, 31, v43
	v_add_co_u32 v33, vcc_lo, s2, v31
	s_delay_alu instid0(VALU_DEP_4)
	v_add_nc_u32_e32 v92, s5, v90
	v_add_co_ci_u32_e32 v34, vcc_lo, s3, v32, vcc_lo
	s_clause 0x3
	global_load_b64 v[63:64], v[7:8], off
	global_load_b64 v[65:66], v[15:16], off
	;; [unrolled: 1-line block ×4, first 2 shown]
	v_add_nc_u32_e32 v94, s5, v92
	v_lshlrev_b64 v[43:44], 3, v[43:44]
	v_ashrrev_i32_e32 v46, 31, v45
	v_ashrrev_i32_e32 v80, 31, v79
	v_ashrrev_i32_e32 v83, 31, v82
	v_add_nc_u32_e32 v96, s5, v94
	v_ashrrev_i32_e32 v85, 31, v84
	v_ashrrev_i32_e32 v91, 31, v90
	;; [unrolled: 1-line block ×4, first 2 shown]
	v_add_nc_u32_e32 v98, s5, v96
	v_ashrrev_i32_e32 v97, 31, v96
	s_delay_alu instid0(VALU_DEP_2) | instskip(SKIP_1) | instid1(VALU_DEP_2)
	v_add_nc_u32_e32 v100, s5, v98
	v_ashrrev_i32_e32 v99, 31, v98
	v_add_nc_u32_e32 v102, s5, v100
	v_ashrrev_i32_e32 v101, 31, v100
	s_delay_alu instid0(VALU_DEP_2) | instskip(SKIP_1) | instid1(VALU_DEP_2)
	v_add_nc_u32_e32 v104, s5, v102
	v_ashrrev_i32_e32 v103, 31, v102
	;; [unrolled: 5-line block ×6, first 2 shown]
	v_add_nc_u32_e32 v35, s5, v120
	v_ashrrev_i32_e32 v121, 31, v120
	s_delay_alu instid0(VALU_DEP_2) | instskip(NEXT) | instid1(VALU_DEP_1)
	v_ashrrev_i32_e32 v36, 31, v35
	v_lshlrev_b64 v[31:32], 3, v[35:36]
	v_add_co_u32 v35, vcc_lo, s2, v37
	v_add_co_ci_u32_e32 v36, vcc_lo, s3, v38, vcc_lo
	s_delay_alu instid0(VALU_DEP_3) | instskip(NEXT) | instid1(VALU_DEP_4)
	v_add_co_u32 v31, vcc_lo, s2, v31
	v_add_co_ci_u32_e32 v32, vcc_lo, s3, v32, vcc_lo
	v_add_co_u32 v37, vcc_lo, s2, v43
	v_add_co_ci_u32_e32 v38, vcc_lo, s3, v44, vcc_lo
	global_load_b64 v[122:123], v[31:32], off
	v_lshlrev_b64 v[43:44], 3, v[82:83]
	s_waitcnt vmcnt(13)
	scratch_store_b128 off, v[39:42], off
	v_lshlrev_b64 v[39:40], 3, v[45:46]
	v_lshlrev_b64 v[41:42], 3, v[79:80]
	s_clause 0x3
	global_load_b64 v[71:72], v[29:30], off
	global_load_b64 v[73:74], v[33:34], off
	;; [unrolled: 1-line block ×4, first 2 shown]
	v_lshlrev_b64 v[45:46], 3, v[84:85]
	s_waitcnt vmcnt(15)
	scratch_store_b128 off, v[47:50], off offset:16
	s_waitcnt vmcnt(13)
	scratch_store_b128 off, v[51:54], off offset:32
	v_add_co_u32 v39, vcc_lo, s2, v39
	v_add_co_ci_u32_e32 v40, vcc_lo, s3, v40, vcc_lo
	v_add_co_u32 v41, vcc_lo, s2, v41
	v_add_co_ci_u32_e32 v42, vcc_lo, s3, v42, vcc_lo
	v_add_co_u32 v43, vcc_lo, s2, v43
	v_add_co_ci_u32_e32 v44, vcc_lo, s3, v44, vcc_lo
	v_add_co_u32 v45, vcc_lo, s2, v45
	v_add_co_ci_u32_e32 v46, vcc_lo, s3, v46, vcc_lo
	s_clause 0x3
	global_load_b64 v[82:83], v[39:40], off
	global_load_b64 v[84:85], v[41:42], off
	;; [unrolled: 1-line block ×4, first 2 shown]
	v_lshlrev_b64 v[47:48], 3, v[90:91]
	v_lshlrev_b64 v[49:50], 3, v[92:93]
	;; [unrolled: 1-line block ×5, first 2 shown]
	s_waitcnt vmcnt(15)
	scratch_store_b128 off, v[55:58], off offset:48
	s_waitcnt vmcnt(13)
	scratch_store_b128 off, v[59:62], off offset:64
	v_add_co_u32 v47, vcc_lo, s2, v47
	v_add_co_ci_u32_e32 v48, vcc_lo, s3, v48, vcc_lo
	v_add_co_u32 v49, vcc_lo, s2, v49
	v_add_co_ci_u32_e32 v50, vcc_lo, s3, v50, vcc_lo
	;; [unrolled: 2-line block ×3, first 2 shown]
	v_add_co_u32 v53, vcc_lo, s2, v53
	v_lshlrev_b64 v[57:58], 3, v[100:101]
	v_add_co_ci_u32_e32 v54, vcc_lo, s3, v54, vcc_lo
	v_add_co_u32 v55, vcc_lo, s2, v79
	v_lshlrev_b64 v[59:60], 3, v[102:103]
	v_add_co_ci_u32_e32 v56, vcc_lo, s3, v80, vcc_lo
	v_add_co_u32 v57, vcc_lo, s2, v57
	v_lshlrev_b64 v[61:62], 3, v[104:105]
	v_add_co_ci_u32_e32 v58, vcc_lo, s3, v58, vcc_lo
	v_add_co_u32 v59, vcc_lo, s2, v59
	v_lshlrev_b64 v[79:80], 3, v[106:107]
	v_add_co_ci_u32_e32 v60, vcc_lo, s3, v60, vcc_lo
	s_clause 0x2
	global_load_b64 v[90:91], v[47:48], off
	global_load_b64 v[92:93], v[49:50], off
	;; [unrolled: 1-line block ×3, first 2 shown]
	s_waitcnt vmcnt(14)
	scratch_store_b128 off, v[63:66], off offset:80
	s_waitcnt vmcnt(12)
	scratch_store_b128 off, v[67:70], off offset:96
	v_add_co_u32 v61, vcc_lo, s2, v61
	v_lshlrev_b64 v[65:66], 3, v[108:109]
	v_add_co_ci_u32_e32 v62, vcc_lo, s3, v62, vcc_lo
	v_add_co_u32 v63, vcc_lo, s2, v79
	v_lshlrev_b64 v[67:68], 3, v[110:111]
	v_add_co_ci_u32_e32 v64, vcc_lo, s3, v80, vcc_lo
	;; [unrolled: 3-line block ×4, first 2 shown]
	s_clause 0x3
	global_load_b64 v[96:97], v[53:54], off
	global_load_b64 v[98:99], v[55:56], off
	;; [unrolled: 1-line block ×4, first 2 shown]
	v_add_co_u32 v69, vcc_lo, s2, v69
	v_add_co_ci_u32_e32 v70, vcc_lo, s3, v70, vcc_lo
	s_waitcnt vmcnt(13)
	scratch_store_b128 off, v[71:74], off offset:112
	s_waitcnt vmcnt(11)
	scratch_store_b128 off, v[75:78], off offset:128
	v_lshlrev_b64 v[73:74], 3, v[116:117]
	v_add_co_u32 v71, vcc_lo, s2, v79
	v_lshlrev_b64 v[75:76], 3, v[118:119]
	v_add_co_ci_u32_e32 v72, vcc_lo, s3, v80, vcc_lo
	s_delay_alu instid0(VALU_DEP_4) | instskip(SKIP_4) | instid1(VALU_DEP_4)
	v_add_co_u32 v73, vcc_lo, s2, v73
	v_lshlrev_b64 v[77:78], 3, v[120:121]
	v_add_co_ci_u32_e32 v74, vcc_lo, s3, v74, vcc_lo
	v_add_co_u32 v75, vcc_lo, s2, v75
	v_add_co_ci_u32_e32 v76, vcc_lo, s3, v76, vcc_lo
	v_add_co_u32 v77, vcc_lo, s2, v77
	s_clause 0x3
	global_load_b64 v[104:105], v[61:62], off
	global_load_b64 v[106:107], v[63:64], off
	;; [unrolled: 1-line block ×4, first 2 shown]
	v_add_co_ci_u32_e32 v78, vcc_lo, s3, v78, vcc_lo
	s_waitcnt vmcnt(13)
	scratch_store_b128 off, v[82:85], off offset:144
	s_waitcnt vmcnt(11)
	scratch_store_b128 off, v[86:89], off offset:160
	s_clause 0x4
	global_load_b64 v[112:113], v[69:70], off
	global_load_b64 v[82:83], v[71:72], off
	global_load_b64 v[84:85], v[73:74], off
	global_load_b64 v[86:87], v[75:76], off
	global_load_b64 v[88:89], v[77:78], off
	v_mov_b32_e32 v79, 0
	v_mov_b32_e32 v80, 0xbff00000
	s_cselect_b32 s3, -1, 0
	s_cmpk_eq_i32 s1, 0x84
	s_waitcnt vmcnt(14)
	scratch_store_b128 off, v[90:93], off offset:176
	s_waitcnt vmcnt(12)
	scratch_store_b128 off, v[94:97], off offset:192
	s_waitcnt vmcnt(10)
	scratch_store_b128 off, v[98:101], off offset:208
	s_waitcnt vmcnt(8)
	scratch_store_b128 off, v[102:105], off offset:224
	s_waitcnt vmcnt(6)
	scratch_store_b128 off, v[106:109], off offset:240
	s_waitcnt vmcnt(4)
	scratch_store_b128 off, v[110:113], off offset:256
	s_waitcnt vmcnt(2)
	scratch_store_b128 off, v[82:85], off offset:272
	s_waitcnt vmcnt(0)
	s_clause 0x1
	scratch_store_b128 off, v[86:89], off offset:288
	scratch_store_b64 off, v[122:123], off offset:304
	s_cbranch_scc1 .LBB38_3
; %bb.2:
	scratch_load_b64 v[79:80], v81, off
	s_waitcnt vmcnt(0)
	v_div_scale_f64 v[82:83], null, v[79:80], v[79:80], 1.0
	v_div_scale_f64 v[88:89], vcc_lo, 1.0, v[79:80], 1.0
	s_delay_alu instid0(VALU_DEP_2) | instskip(SKIP_2) | instid1(VALU_DEP_1)
	v_rcp_f64_e32 v[84:85], v[82:83]
	s_waitcnt_depctr 0xfff
	v_fma_f64 v[86:87], -v[82:83], v[84:85], 1.0
	v_fma_f64 v[84:85], v[84:85], v[86:87], v[84:85]
	s_delay_alu instid0(VALU_DEP_1) | instskip(NEXT) | instid1(VALU_DEP_1)
	v_fma_f64 v[86:87], -v[82:83], v[84:85], 1.0
	v_fma_f64 v[84:85], v[84:85], v[86:87], v[84:85]
	s_delay_alu instid0(VALU_DEP_1) | instskip(NEXT) | instid1(VALU_DEP_1)
	v_mul_f64 v[86:87], v[88:89], v[84:85]
	v_fma_f64 v[82:83], -v[82:83], v[86:87], v[88:89]
	s_delay_alu instid0(VALU_DEP_1) | instskip(NEXT) | instid1(VALU_DEP_1)
	v_div_fmas_f64 v[82:83], v[82:83], v[84:85], v[86:87]
	v_div_fixup_f64 v[79:80], v[82:83], v[79:80], 1.0
	scratch_store_b64 v81, v[79:80], off
	v_xor_b32_e32 v80, 0x80000000, v80
.LBB38_3:
	v_add_nc_u32_e32 v82, 0x140, v81
	v_add_nc_u32_e32 v83, 0, v81
	s_cmpk_eq_i32 s0, 0x79
	s_mov_b32 s0, -1
	ds_store_b64 v81, v[79:80]
	s_cbranch_scc1 .LBB38_379
; %bb.4:
	scratch_load_b64 v[79:80], off, off offset:296
	v_cmp_eq_u32_e64 s0, 38, v0
	s_movk_i32 s1, 0x50
	s_movk_i32 s2, 0x60
	s_movk_i32 s4, 0x70
	s_movk_i32 s5, 0x80
	s_movk_i32 s6, 0x90
	s_movk_i32 s7, 0xa0
	s_movk_i32 s8, 0xb0
	s_movk_i32 s9, 0xc0
	s_movk_i32 s10, 0xd0
	s_movk_i32 s11, 0xe0
	s_movk_i32 s12, 0xf0
	s_movk_i32 s13, 0x100
	s_movk_i32 s14, 0x110
	s_movk_i32 s15, 0x120
	s_waitcnt vmcnt(0)
	ds_store_b64 v82, v[79:80]
	s_waitcnt lgkmcnt(0)
	s_waitcnt_vscnt null, 0x0
	s_barrier
	buffer_gl0_inv
	s_and_saveexec_b32 s16, s0
	s_cbranch_execz .LBB38_10
; %bb.5:
	s_and_b32 vcc_lo, exec_lo, s3
	s_cbranch_vccz .LBB38_7
; %bb.6:
	scratch_load_b64 v[79:80], v83, off
	ds_load_b64 v[84:85], v82
	s_waitcnt vmcnt(0) lgkmcnt(0)
	v_mul_f64 v[79:80], v[79:80], v[84:85]
	s_cbranch_execz .LBB38_8
	s_branch .LBB38_9
.LBB38_7:
                                        ; implicit-def: $vgpr79_vgpr80
.LBB38_8:
	ds_load_b64 v[79:80], v82
.LBB38_9:
	v_mov_b32_e32 v84, 0
	ds_load_b64 v[84:85], v84 offset:296
	s_waitcnt lgkmcnt(0)
	v_mul_f64 v[79:80], v[79:80], v[84:85]
	scratch_store_b64 off, v[79:80], off offset:296
.LBB38_10:
	s_or_b32 exec_lo, exec_lo, s16
	scratch_load_b64 v[79:80], off, off offset:288
	v_add_nc_u32_e64 v84, 0, 16
	v_add_nc_u32_e64 v85, 0, 32
	;; [unrolled: 1-line block ×18, first 2 shown]
	v_cmp_lt_u32_e64 s2, 36, v0
	s_waitcnt vmcnt(0)
	ds_store_b64 v82, v[79:80]
	s_waitcnt lgkmcnt(0)
	s_waitcnt_vscnt null, 0x0
	s_barrier
	buffer_gl0_inv
	s_and_saveexec_b32 s1, s2
	s_cbranch_execz .LBB38_18
; %bb.11:
	s_and_not1_b32 vcc_lo, exec_lo, s3
	s_cbranch_vccnz .LBB38_13
; %bb.12:
	scratch_load_b64 v[79:80], v83, off
	ds_load_b64 v[102:103], v82
	s_waitcnt vmcnt(0) lgkmcnt(0)
	v_mul_f64 v[79:80], v[79:80], v[102:103]
	s_cbranch_execz .LBB38_14
	s_branch .LBB38_15
.LBB38_13:
                                        ; implicit-def: $vgpr79_vgpr80
.LBB38_14:
	ds_load_b64 v[79:80], v82
.LBB38_15:
	s_and_saveexec_b32 s4, s0
	s_cbranch_execz .LBB38_17
; %bb.16:
	scratch_load_b64 v[102:103], off, off offset:296
	v_mov_b32_e32 v104, 0
	ds_load_b64 v[104:105], v104 offset:616
	s_waitcnt vmcnt(0) lgkmcnt(0)
	v_fma_f64 v[79:80], v[102:103], v[104:105], v[79:80]
.LBB38_17:
	s_or_b32 exec_lo, exec_lo, s4
	v_mov_b32_e32 v102, 0
	ds_load_b64 v[102:103], v102 offset:288
	s_waitcnt lgkmcnt(0)
	v_mul_f64 v[79:80], v[79:80], v[102:103]
	scratch_store_b64 off, v[79:80], off offset:288
.LBB38_18:
	s_or_b32 exec_lo, exec_lo, s1
	scratch_load_b64 v[79:80], off, off offset:280
	v_cmp_lt_u32_e64 s1, 35, v0
	s_waitcnt vmcnt(0)
	ds_store_b64 v82, v[79:80]
	s_waitcnt lgkmcnt(0)
	s_waitcnt_vscnt null, 0x0
	s_barrier
	buffer_gl0_inv
	s_and_saveexec_b32 s0, s1
	s_cbranch_execz .LBB38_28
; %bb.19:
	s_and_not1_b32 vcc_lo, exec_lo, s3
	s_cbranch_vccnz .LBB38_21
; %bb.20:
	scratch_load_b64 v[79:80], v83, off
	ds_load_b64 v[102:103], v82
	s_waitcnt vmcnt(0) lgkmcnt(0)
	v_mul_f64 v[79:80], v[79:80], v[102:103]
	s_cbranch_execz .LBB38_22
	s_branch .LBB38_23
.LBB38_21:
                                        ; implicit-def: $vgpr79_vgpr80
.LBB38_22:
	ds_load_b64 v[79:80], v82
.LBB38_23:
	s_and_saveexec_b32 s4, s2
	s_cbranch_execz .LBB38_27
; %bb.24:
	v_subrev_nc_u32_e32 v102, 36, v0
	s_movk_i32 s5, 0x260
	s_mov_b32 s2, 0
.LBB38_25:                              ; =>This Inner Loop Header: Depth=1
	scratch_load_b64 v[103:104], v101, off
	v_dual_mov_b32 v105, s5 :: v_dual_add_nc_u32 v102, -1, v102
	v_add_nc_u32_e32 v101, 8, v101
	s_add_i32 s5, s5, 8
	ds_load_b64 v[105:106], v105
	v_cmp_eq_u32_e32 vcc_lo, 0, v102
	s_or_b32 s2, vcc_lo, s2
	s_waitcnt vmcnt(0) lgkmcnt(0)
	v_fma_f64 v[79:80], v[103:104], v[105:106], v[79:80]
	s_and_not1_b32 exec_lo, exec_lo, s2
	s_cbranch_execnz .LBB38_25
; %bb.26:
	s_or_b32 exec_lo, exec_lo, s2
.LBB38_27:
	s_delay_alu instid0(SALU_CYCLE_1)
	s_or_b32 exec_lo, exec_lo, s4
	v_mov_b32_e32 v101, 0
	ds_load_b64 v[101:102], v101 offset:280
	s_waitcnt lgkmcnt(0)
	v_mul_f64 v[79:80], v[79:80], v[101:102]
	scratch_store_b64 off, v[79:80], off offset:280
.LBB38_28:
	s_or_b32 exec_lo, exec_lo, s0
	scratch_load_b64 v[79:80], off, off offset:272
	v_cmp_lt_u32_e64 s0, 34, v0
	s_waitcnt vmcnt(0)
	ds_store_b64 v82, v[79:80]
	s_waitcnt lgkmcnt(0)
	s_waitcnt_vscnt null, 0x0
	s_barrier
	buffer_gl0_inv
	s_and_saveexec_b32 s2, s0
	s_cbranch_execz .LBB38_38
; %bb.29:
	s_and_not1_b32 vcc_lo, exec_lo, s3
	s_cbranch_vccnz .LBB38_31
; %bb.30:
	scratch_load_b64 v[79:80], v83, off
	ds_load_b64 v[101:102], v82
	s_waitcnt vmcnt(0) lgkmcnt(0)
	v_mul_f64 v[79:80], v[79:80], v[101:102]
	s_cbranch_execz .LBB38_32
	s_branch .LBB38_33
.LBB38_31:
                                        ; implicit-def: $vgpr79_vgpr80
.LBB38_32:
	ds_load_b64 v[79:80], v82
.LBB38_33:
	s_and_saveexec_b32 s4, s1
	s_cbranch_execz .LBB38_37
; %bb.34:
	v_mov_b32_e32 v101, 0
	v_subrev_nc_u32_e32 v102, 35, v0
	s_movk_i32 s5, 0x258
	s_mov_b32 s1, 0
	s_delay_alu instid0(VALU_DEP_2)
	v_add_nc_u32_e32 v101, 0x118, v101
.LBB38_35:                              ; =>This Inner Loop Header: Depth=1
	scratch_load_b64 v[103:104], v101, off
	v_dual_mov_b32 v105, s5 :: v_dual_add_nc_u32 v102, -1, v102
	v_add_nc_u32_e32 v101, 8, v101
	s_add_i32 s5, s5, 8
	ds_load_b64 v[105:106], v105
	v_cmp_eq_u32_e32 vcc_lo, 0, v102
	s_or_b32 s1, vcc_lo, s1
	s_waitcnt vmcnt(0) lgkmcnt(0)
	v_fma_f64 v[79:80], v[103:104], v[105:106], v[79:80]
	s_and_not1_b32 exec_lo, exec_lo, s1
	s_cbranch_execnz .LBB38_35
; %bb.36:
	s_or_b32 exec_lo, exec_lo, s1
.LBB38_37:
	s_delay_alu instid0(SALU_CYCLE_1)
	s_or_b32 exec_lo, exec_lo, s4
	v_mov_b32_e32 v101, 0
	ds_load_b64 v[101:102], v101 offset:272
	s_waitcnt lgkmcnt(0)
	v_mul_f64 v[79:80], v[79:80], v[101:102]
	scratch_store_b64 off, v[79:80], off offset:272
.LBB38_38:
	s_or_b32 exec_lo, exec_lo, s2
	scratch_load_b64 v[79:80], off, off offset:264
	v_cmp_lt_u32_e64 s1, 33, v0
	s_waitcnt vmcnt(0)
	ds_store_b64 v82, v[79:80]
	s_waitcnt lgkmcnt(0)
	s_waitcnt_vscnt null, 0x0
	s_barrier
	buffer_gl0_inv
	s_and_saveexec_b32 s2, s1
	s_cbranch_execz .LBB38_48
; %bb.39:
	s_and_not1_b32 vcc_lo, exec_lo, s3
	s_cbranch_vccnz .LBB38_41
; %bb.40:
	scratch_load_b64 v[79:80], v83, off
	ds_load_b64 v[101:102], v82
	s_waitcnt vmcnt(0) lgkmcnt(0)
	v_mul_f64 v[79:80], v[79:80], v[101:102]
	s_cbranch_execz .LBB38_42
	s_branch .LBB38_43
.LBB38_41:
                                        ; implicit-def: $vgpr79_vgpr80
.LBB38_42:
	ds_load_b64 v[79:80], v82
.LBB38_43:
	s_and_saveexec_b32 s4, s0
	s_cbranch_execz .LBB38_47
; %bb.44:
	v_subrev_nc_u32_e32 v101, 34, v0
	s_movk_i32 s5, 0x250
	s_mov_b32 s0, 0
.LBB38_45:                              ; =>This Inner Loop Header: Depth=1
	scratch_load_b64 v[102:103], v100, off
	v_dual_mov_b32 v104, s5 :: v_dual_add_nc_u32 v101, -1, v101
	v_add_nc_u32_e32 v100, 8, v100
	s_add_i32 s5, s5, 8
	ds_load_b64 v[104:105], v104
	v_cmp_eq_u32_e32 vcc_lo, 0, v101
	s_or_b32 s0, vcc_lo, s0
	s_waitcnt vmcnt(0) lgkmcnt(0)
	v_fma_f64 v[79:80], v[102:103], v[104:105], v[79:80]
	s_and_not1_b32 exec_lo, exec_lo, s0
	s_cbranch_execnz .LBB38_45
; %bb.46:
	s_or_b32 exec_lo, exec_lo, s0
.LBB38_47:
	s_delay_alu instid0(SALU_CYCLE_1)
	s_or_b32 exec_lo, exec_lo, s4
	v_mov_b32_e32 v100, 0
	ds_load_b64 v[100:101], v100 offset:264
	s_waitcnt lgkmcnt(0)
	v_mul_f64 v[79:80], v[79:80], v[100:101]
	scratch_store_b64 off, v[79:80], off offset:264
.LBB38_48:
	s_or_b32 exec_lo, exec_lo, s2
	scratch_load_b64 v[79:80], off, off offset:256
	v_cmp_lt_u32_e64 s0, 32, v0
	s_waitcnt vmcnt(0)
	ds_store_b64 v82, v[79:80]
	s_waitcnt lgkmcnt(0)
	s_waitcnt_vscnt null, 0x0
	s_barrier
	buffer_gl0_inv
	s_and_saveexec_b32 s2, s0
	s_cbranch_execz .LBB38_58
; %bb.49:
	s_and_not1_b32 vcc_lo, exec_lo, s3
	s_cbranch_vccnz .LBB38_51
; %bb.50:
	scratch_load_b64 v[79:80], v83, off
	ds_load_b64 v[100:101], v82
	s_waitcnt vmcnt(0) lgkmcnt(0)
	v_mul_f64 v[79:80], v[79:80], v[100:101]
	s_cbranch_execz .LBB38_52
	s_branch .LBB38_53
.LBB38_51:
                                        ; implicit-def: $vgpr79_vgpr80
.LBB38_52:
	ds_load_b64 v[79:80], v82
.LBB38_53:
	s_and_saveexec_b32 s4, s1
	s_cbranch_execz .LBB38_57
; %bb.54:
	v_mov_b32_e32 v100, 0
	v_subrev_nc_u32_e32 v101, 33, v0
	s_movk_i32 s5, 0x248
	s_mov_b32 s1, 0
	s_delay_alu instid0(VALU_DEP_2)
	v_add_nc_u32_e32 v100, 0x108, v100
.LBB38_55:                              ; =>This Inner Loop Header: Depth=1
	scratch_load_b64 v[102:103], v100, off
	v_dual_mov_b32 v104, s5 :: v_dual_add_nc_u32 v101, -1, v101
	v_add_nc_u32_e32 v100, 8, v100
	s_add_i32 s5, s5, 8
	ds_load_b64 v[104:105], v104
	v_cmp_eq_u32_e32 vcc_lo, 0, v101
	s_or_b32 s1, vcc_lo, s1
	s_waitcnt vmcnt(0) lgkmcnt(0)
	v_fma_f64 v[79:80], v[102:103], v[104:105], v[79:80]
	s_and_not1_b32 exec_lo, exec_lo, s1
	s_cbranch_execnz .LBB38_55
; %bb.56:
	s_or_b32 exec_lo, exec_lo, s1
.LBB38_57:
	s_delay_alu instid0(SALU_CYCLE_1)
	s_or_b32 exec_lo, exec_lo, s4
	v_mov_b32_e32 v100, 0
	ds_load_b64 v[100:101], v100 offset:256
	s_waitcnt lgkmcnt(0)
	v_mul_f64 v[79:80], v[79:80], v[100:101]
	scratch_store_b64 off, v[79:80], off offset:256
.LBB38_58:
	s_or_b32 exec_lo, exec_lo, s2
	scratch_load_b64 v[79:80], off, off offset:248
	v_cmp_lt_u32_e64 s1, 31, v0
	s_waitcnt vmcnt(0)
	ds_store_b64 v82, v[79:80]
	s_waitcnt lgkmcnt(0)
	s_waitcnt_vscnt null, 0x0
	s_barrier
	buffer_gl0_inv
	s_and_saveexec_b32 s2, s1
	s_cbranch_execz .LBB38_68
; %bb.59:
	s_and_not1_b32 vcc_lo, exec_lo, s3
	s_cbranch_vccnz .LBB38_61
; %bb.60:
	scratch_load_b64 v[79:80], v83, off
	ds_load_b64 v[100:101], v82
	s_waitcnt vmcnt(0) lgkmcnt(0)
	v_mul_f64 v[79:80], v[79:80], v[100:101]
	s_cbranch_execz .LBB38_62
	s_branch .LBB38_63
.LBB38_61:
                                        ; implicit-def: $vgpr79_vgpr80
.LBB38_62:
	ds_load_b64 v[79:80], v82
.LBB38_63:
	s_and_saveexec_b32 s4, s0
	s_cbranch_execz .LBB38_67
; %bb.64:
	v_subrev_nc_u32_e32 v100, 32, v0
	s_movk_i32 s5, 0x240
	s_mov_b32 s0, 0
.LBB38_65:                              ; =>This Inner Loop Header: Depth=1
	scratch_load_b64 v[101:102], v99, off
	v_dual_mov_b32 v103, s5 :: v_dual_add_nc_u32 v100, -1, v100
	v_add_nc_u32_e32 v99, 8, v99
	s_add_i32 s5, s5, 8
	ds_load_b64 v[103:104], v103
	v_cmp_eq_u32_e32 vcc_lo, 0, v100
	s_or_b32 s0, vcc_lo, s0
	s_waitcnt vmcnt(0) lgkmcnt(0)
	v_fma_f64 v[79:80], v[101:102], v[103:104], v[79:80]
	s_and_not1_b32 exec_lo, exec_lo, s0
	s_cbranch_execnz .LBB38_65
; %bb.66:
	s_or_b32 exec_lo, exec_lo, s0
.LBB38_67:
	s_delay_alu instid0(SALU_CYCLE_1)
	s_or_b32 exec_lo, exec_lo, s4
	v_mov_b32_e32 v99, 0
	ds_load_b64 v[99:100], v99 offset:248
	s_waitcnt lgkmcnt(0)
	v_mul_f64 v[79:80], v[79:80], v[99:100]
	scratch_store_b64 off, v[79:80], off offset:248
.LBB38_68:
	s_or_b32 exec_lo, exec_lo, s2
	scratch_load_b64 v[79:80], off, off offset:240
	v_cmp_lt_u32_e64 s0, 30, v0
	s_waitcnt vmcnt(0)
	ds_store_b64 v82, v[79:80]
	s_waitcnt lgkmcnt(0)
	s_waitcnt_vscnt null, 0x0
	s_barrier
	buffer_gl0_inv
	s_and_saveexec_b32 s2, s0
	s_cbranch_execz .LBB38_78
; %bb.69:
	s_and_not1_b32 vcc_lo, exec_lo, s3
	s_cbranch_vccnz .LBB38_71
; %bb.70:
	scratch_load_b64 v[79:80], v83, off
	ds_load_b64 v[99:100], v82
	s_waitcnt vmcnt(0) lgkmcnt(0)
	v_mul_f64 v[79:80], v[79:80], v[99:100]
	s_cbranch_execz .LBB38_72
	s_branch .LBB38_73
.LBB38_71:
                                        ; implicit-def: $vgpr79_vgpr80
.LBB38_72:
	ds_load_b64 v[79:80], v82
.LBB38_73:
	s_and_saveexec_b32 s4, s1
	s_cbranch_execz .LBB38_77
; %bb.74:
	v_mov_b32_e32 v99, 0
	v_subrev_nc_u32_e32 v100, 31, v0
	s_movk_i32 s5, 0x238
	s_mov_b32 s1, 0
	s_delay_alu instid0(VALU_DEP_2)
	v_add_nc_u32_e32 v99, 0xf8, v99
.LBB38_75:                              ; =>This Inner Loop Header: Depth=1
	scratch_load_b64 v[101:102], v99, off
	v_dual_mov_b32 v103, s5 :: v_dual_add_nc_u32 v100, -1, v100
	v_add_nc_u32_e32 v99, 8, v99
	s_add_i32 s5, s5, 8
	ds_load_b64 v[103:104], v103
	v_cmp_eq_u32_e32 vcc_lo, 0, v100
	s_or_b32 s1, vcc_lo, s1
	s_waitcnt vmcnt(0) lgkmcnt(0)
	v_fma_f64 v[79:80], v[101:102], v[103:104], v[79:80]
	s_and_not1_b32 exec_lo, exec_lo, s1
	s_cbranch_execnz .LBB38_75
; %bb.76:
	s_or_b32 exec_lo, exec_lo, s1
.LBB38_77:
	s_delay_alu instid0(SALU_CYCLE_1)
	s_or_b32 exec_lo, exec_lo, s4
	v_mov_b32_e32 v99, 0
	ds_load_b64 v[99:100], v99 offset:240
	s_waitcnt lgkmcnt(0)
	v_mul_f64 v[79:80], v[79:80], v[99:100]
	scratch_store_b64 off, v[79:80], off offset:240
.LBB38_78:
	s_or_b32 exec_lo, exec_lo, s2
	scratch_load_b64 v[79:80], off, off offset:232
	v_cmp_lt_u32_e64 s1, 29, v0
	s_waitcnt vmcnt(0)
	ds_store_b64 v82, v[79:80]
	s_waitcnt lgkmcnt(0)
	s_waitcnt_vscnt null, 0x0
	s_barrier
	buffer_gl0_inv
	s_and_saveexec_b32 s2, s1
	s_cbranch_execz .LBB38_88
; %bb.79:
	s_and_not1_b32 vcc_lo, exec_lo, s3
	s_cbranch_vccnz .LBB38_81
; %bb.80:
	scratch_load_b64 v[79:80], v83, off
	ds_load_b64 v[99:100], v82
	s_waitcnt vmcnt(0) lgkmcnt(0)
	v_mul_f64 v[79:80], v[79:80], v[99:100]
	s_cbranch_execz .LBB38_82
	s_branch .LBB38_83
.LBB38_81:
                                        ; implicit-def: $vgpr79_vgpr80
.LBB38_82:
	ds_load_b64 v[79:80], v82
.LBB38_83:
	s_and_saveexec_b32 s4, s0
	s_cbranch_execz .LBB38_87
; %bb.84:
	v_subrev_nc_u32_e32 v99, 30, v0
	s_movk_i32 s5, 0x230
	s_mov_b32 s0, 0
.LBB38_85:                              ; =>This Inner Loop Header: Depth=1
	scratch_load_b64 v[100:101], v98, off
	v_dual_mov_b32 v102, s5 :: v_dual_add_nc_u32 v99, -1, v99
	v_add_nc_u32_e32 v98, 8, v98
	s_add_i32 s5, s5, 8
	ds_load_b64 v[102:103], v102
	v_cmp_eq_u32_e32 vcc_lo, 0, v99
	s_or_b32 s0, vcc_lo, s0
	s_waitcnt vmcnt(0) lgkmcnt(0)
	v_fma_f64 v[79:80], v[100:101], v[102:103], v[79:80]
	s_and_not1_b32 exec_lo, exec_lo, s0
	s_cbranch_execnz .LBB38_85
; %bb.86:
	s_or_b32 exec_lo, exec_lo, s0
.LBB38_87:
	s_delay_alu instid0(SALU_CYCLE_1)
	s_or_b32 exec_lo, exec_lo, s4
	v_mov_b32_e32 v98, 0
	ds_load_b64 v[98:99], v98 offset:232
	s_waitcnt lgkmcnt(0)
	v_mul_f64 v[79:80], v[79:80], v[98:99]
	scratch_store_b64 off, v[79:80], off offset:232
.LBB38_88:
	s_or_b32 exec_lo, exec_lo, s2
	scratch_load_b64 v[79:80], off, off offset:224
	v_cmp_lt_u32_e64 s0, 28, v0
	s_waitcnt vmcnt(0)
	ds_store_b64 v82, v[79:80]
	s_waitcnt lgkmcnt(0)
	s_waitcnt_vscnt null, 0x0
	s_barrier
	buffer_gl0_inv
	s_and_saveexec_b32 s2, s0
	s_cbranch_execz .LBB38_98
; %bb.89:
	s_and_not1_b32 vcc_lo, exec_lo, s3
	s_cbranch_vccnz .LBB38_91
; %bb.90:
	scratch_load_b64 v[79:80], v83, off
	ds_load_b64 v[98:99], v82
	s_waitcnt vmcnt(0) lgkmcnt(0)
	v_mul_f64 v[79:80], v[79:80], v[98:99]
	s_cbranch_execz .LBB38_92
	s_branch .LBB38_93
.LBB38_91:
                                        ; implicit-def: $vgpr79_vgpr80
.LBB38_92:
	ds_load_b64 v[79:80], v82
.LBB38_93:
	s_and_saveexec_b32 s4, s1
	s_cbranch_execz .LBB38_97
; %bb.94:
	v_mov_b32_e32 v98, 0
	v_subrev_nc_u32_e32 v99, 29, v0
	s_movk_i32 s5, 0x228
	s_mov_b32 s1, 0
	s_delay_alu instid0(VALU_DEP_2)
	v_add_nc_u32_e32 v98, 0xe8, v98
.LBB38_95:                              ; =>This Inner Loop Header: Depth=1
	scratch_load_b64 v[100:101], v98, off
	v_dual_mov_b32 v102, s5 :: v_dual_add_nc_u32 v99, -1, v99
	v_add_nc_u32_e32 v98, 8, v98
	s_add_i32 s5, s5, 8
	ds_load_b64 v[102:103], v102
	v_cmp_eq_u32_e32 vcc_lo, 0, v99
	s_or_b32 s1, vcc_lo, s1
	s_waitcnt vmcnt(0) lgkmcnt(0)
	v_fma_f64 v[79:80], v[100:101], v[102:103], v[79:80]
	s_and_not1_b32 exec_lo, exec_lo, s1
	s_cbranch_execnz .LBB38_95
; %bb.96:
	s_or_b32 exec_lo, exec_lo, s1
.LBB38_97:
	s_delay_alu instid0(SALU_CYCLE_1)
	s_or_b32 exec_lo, exec_lo, s4
	v_mov_b32_e32 v98, 0
	ds_load_b64 v[98:99], v98 offset:224
	s_waitcnt lgkmcnt(0)
	v_mul_f64 v[79:80], v[79:80], v[98:99]
	scratch_store_b64 off, v[79:80], off offset:224
.LBB38_98:
	s_or_b32 exec_lo, exec_lo, s2
	scratch_load_b64 v[79:80], off, off offset:216
	v_cmp_lt_u32_e64 s1, 27, v0
	s_waitcnt vmcnt(0)
	ds_store_b64 v82, v[79:80]
	s_waitcnt lgkmcnt(0)
	s_waitcnt_vscnt null, 0x0
	s_barrier
	buffer_gl0_inv
	s_and_saveexec_b32 s2, s1
	s_cbranch_execz .LBB38_108
; %bb.99:
	s_and_not1_b32 vcc_lo, exec_lo, s3
	s_cbranch_vccnz .LBB38_101
; %bb.100:
	scratch_load_b64 v[79:80], v83, off
	ds_load_b64 v[98:99], v82
	s_waitcnt vmcnt(0) lgkmcnt(0)
	v_mul_f64 v[79:80], v[79:80], v[98:99]
	s_cbranch_execz .LBB38_102
	s_branch .LBB38_103
.LBB38_101:
                                        ; implicit-def: $vgpr79_vgpr80
.LBB38_102:
	ds_load_b64 v[79:80], v82
.LBB38_103:
	s_and_saveexec_b32 s4, s0
	s_cbranch_execz .LBB38_107
; %bb.104:
	v_subrev_nc_u32_e32 v98, 28, v0
	s_movk_i32 s5, 0x220
	s_mov_b32 s0, 0
.LBB38_105:                             ; =>This Inner Loop Header: Depth=1
	scratch_load_b64 v[99:100], v97, off
	v_dual_mov_b32 v101, s5 :: v_dual_add_nc_u32 v98, -1, v98
	v_add_nc_u32_e32 v97, 8, v97
	s_add_i32 s5, s5, 8
	ds_load_b64 v[101:102], v101
	v_cmp_eq_u32_e32 vcc_lo, 0, v98
	s_or_b32 s0, vcc_lo, s0
	s_waitcnt vmcnt(0) lgkmcnt(0)
	v_fma_f64 v[79:80], v[99:100], v[101:102], v[79:80]
	s_and_not1_b32 exec_lo, exec_lo, s0
	s_cbranch_execnz .LBB38_105
; %bb.106:
	s_or_b32 exec_lo, exec_lo, s0
.LBB38_107:
	s_delay_alu instid0(SALU_CYCLE_1)
	s_or_b32 exec_lo, exec_lo, s4
	v_mov_b32_e32 v97, 0
	ds_load_b64 v[97:98], v97 offset:216
	s_waitcnt lgkmcnt(0)
	v_mul_f64 v[79:80], v[79:80], v[97:98]
	scratch_store_b64 off, v[79:80], off offset:216
.LBB38_108:
	s_or_b32 exec_lo, exec_lo, s2
	scratch_load_b64 v[79:80], off, off offset:208
	v_cmp_lt_u32_e64 s0, 26, v0
	s_waitcnt vmcnt(0)
	ds_store_b64 v82, v[79:80]
	s_waitcnt lgkmcnt(0)
	s_waitcnt_vscnt null, 0x0
	s_barrier
	buffer_gl0_inv
	s_and_saveexec_b32 s2, s0
	s_cbranch_execz .LBB38_118
; %bb.109:
	s_and_not1_b32 vcc_lo, exec_lo, s3
	s_cbranch_vccnz .LBB38_111
; %bb.110:
	scratch_load_b64 v[79:80], v83, off
	ds_load_b64 v[97:98], v82
	s_waitcnt vmcnt(0) lgkmcnt(0)
	v_mul_f64 v[79:80], v[79:80], v[97:98]
	s_cbranch_execz .LBB38_112
	s_branch .LBB38_113
.LBB38_111:
                                        ; implicit-def: $vgpr79_vgpr80
.LBB38_112:
	ds_load_b64 v[79:80], v82
.LBB38_113:
	s_and_saveexec_b32 s4, s1
	s_cbranch_execz .LBB38_117
; %bb.114:
	v_mov_b32_e32 v97, 0
	v_subrev_nc_u32_e32 v98, 27, v0
	s_movk_i32 s5, 0x218
	s_mov_b32 s1, 0
	s_delay_alu instid0(VALU_DEP_2)
	v_add_nc_u32_e32 v97, 0xd8, v97
.LBB38_115:                             ; =>This Inner Loop Header: Depth=1
	scratch_load_b64 v[99:100], v97, off
	v_dual_mov_b32 v101, s5 :: v_dual_add_nc_u32 v98, -1, v98
	v_add_nc_u32_e32 v97, 8, v97
	s_add_i32 s5, s5, 8
	ds_load_b64 v[101:102], v101
	v_cmp_eq_u32_e32 vcc_lo, 0, v98
	s_or_b32 s1, vcc_lo, s1
	s_waitcnt vmcnt(0) lgkmcnt(0)
	v_fma_f64 v[79:80], v[99:100], v[101:102], v[79:80]
	s_and_not1_b32 exec_lo, exec_lo, s1
	s_cbranch_execnz .LBB38_115
; %bb.116:
	s_or_b32 exec_lo, exec_lo, s1
.LBB38_117:
	s_delay_alu instid0(SALU_CYCLE_1)
	s_or_b32 exec_lo, exec_lo, s4
	v_mov_b32_e32 v97, 0
	ds_load_b64 v[97:98], v97 offset:208
	s_waitcnt lgkmcnt(0)
	v_mul_f64 v[79:80], v[79:80], v[97:98]
	scratch_store_b64 off, v[79:80], off offset:208
.LBB38_118:
	s_or_b32 exec_lo, exec_lo, s2
	scratch_load_b64 v[79:80], off, off offset:200
	v_cmp_lt_u32_e64 s1, 25, v0
	s_waitcnt vmcnt(0)
	ds_store_b64 v82, v[79:80]
	s_waitcnt lgkmcnt(0)
	s_waitcnt_vscnt null, 0x0
	s_barrier
	buffer_gl0_inv
	s_and_saveexec_b32 s2, s1
	s_cbranch_execz .LBB38_128
; %bb.119:
	s_and_not1_b32 vcc_lo, exec_lo, s3
	s_cbranch_vccnz .LBB38_121
; %bb.120:
	scratch_load_b64 v[79:80], v83, off
	ds_load_b64 v[97:98], v82
	s_waitcnt vmcnt(0) lgkmcnt(0)
	v_mul_f64 v[79:80], v[79:80], v[97:98]
	s_cbranch_execz .LBB38_122
	s_branch .LBB38_123
.LBB38_121:
                                        ; implicit-def: $vgpr79_vgpr80
.LBB38_122:
	ds_load_b64 v[79:80], v82
.LBB38_123:
	s_and_saveexec_b32 s4, s0
	s_cbranch_execz .LBB38_127
; %bb.124:
	v_subrev_nc_u32_e32 v97, 26, v0
	s_movk_i32 s5, 0x210
	s_mov_b32 s0, 0
.LBB38_125:                             ; =>This Inner Loop Header: Depth=1
	scratch_load_b64 v[98:99], v96, off
	v_dual_mov_b32 v100, s5 :: v_dual_add_nc_u32 v97, -1, v97
	v_add_nc_u32_e32 v96, 8, v96
	s_add_i32 s5, s5, 8
	ds_load_b64 v[100:101], v100
	v_cmp_eq_u32_e32 vcc_lo, 0, v97
	s_or_b32 s0, vcc_lo, s0
	s_waitcnt vmcnt(0) lgkmcnt(0)
	v_fma_f64 v[79:80], v[98:99], v[100:101], v[79:80]
	s_and_not1_b32 exec_lo, exec_lo, s0
	s_cbranch_execnz .LBB38_125
; %bb.126:
	s_or_b32 exec_lo, exec_lo, s0
.LBB38_127:
	s_delay_alu instid0(SALU_CYCLE_1)
	s_or_b32 exec_lo, exec_lo, s4
	v_mov_b32_e32 v96, 0
	ds_load_b64 v[96:97], v96 offset:200
	s_waitcnt lgkmcnt(0)
	v_mul_f64 v[79:80], v[79:80], v[96:97]
	scratch_store_b64 off, v[79:80], off offset:200
.LBB38_128:
	s_or_b32 exec_lo, exec_lo, s2
	scratch_load_b64 v[79:80], off, off offset:192
	v_cmp_lt_u32_e64 s0, 24, v0
	s_waitcnt vmcnt(0)
	ds_store_b64 v82, v[79:80]
	s_waitcnt lgkmcnt(0)
	s_waitcnt_vscnt null, 0x0
	s_barrier
	buffer_gl0_inv
	s_and_saveexec_b32 s2, s0
	s_cbranch_execz .LBB38_138
; %bb.129:
	s_and_not1_b32 vcc_lo, exec_lo, s3
	s_cbranch_vccnz .LBB38_131
; %bb.130:
	scratch_load_b64 v[79:80], v83, off
	ds_load_b64 v[96:97], v82
	s_waitcnt vmcnt(0) lgkmcnt(0)
	v_mul_f64 v[79:80], v[79:80], v[96:97]
	s_cbranch_execz .LBB38_132
	s_branch .LBB38_133
.LBB38_131:
                                        ; implicit-def: $vgpr79_vgpr80
.LBB38_132:
	ds_load_b64 v[79:80], v82
.LBB38_133:
	s_and_saveexec_b32 s4, s1
	s_cbranch_execz .LBB38_137
; %bb.134:
	v_mov_b32_e32 v96, 0
	v_subrev_nc_u32_e32 v97, 25, v0
	s_movk_i32 s5, 0x208
	s_mov_b32 s1, 0
	s_delay_alu instid0(VALU_DEP_2)
	v_add_nc_u32_e32 v96, 0xc8, v96
.LBB38_135:                             ; =>This Inner Loop Header: Depth=1
	scratch_load_b64 v[98:99], v96, off
	v_dual_mov_b32 v100, s5 :: v_dual_add_nc_u32 v97, -1, v97
	v_add_nc_u32_e32 v96, 8, v96
	s_add_i32 s5, s5, 8
	ds_load_b64 v[100:101], v100
	v_cmp_eq_u32_e32 vcc_lo, 0, v97
	s_or_b32 s1, vcc_lo, s1
	s_waitcnt vmcnt(0) lgkmcnt(0)
	v_fma_f64 v[79:80], v[98:99], v[100:101], v[79:80]
	s_and_not1_b32 exec_lo, exec_lo, s1
	s_cbranch_execnz .LBB38_135
; %bb.136:
	s_or_b32 exec_lo, exec_lo, s1
.LBB38_137:
	s_delay_alu instid0(SALU_CYCLE_1)
	s_or_b32 exec_lo, exec_lo, s4
	v_mov_b32_e32 v96, 0
	ds_load_b64 v[96:97], v96 offset:192
	s_waitcnt lgkmcnt(0)
	v_mul_f64 v[79:80], v[79:80], v[96:97]
	scratch_store_b64 off, v[79:80], off offset:192
.LBB38_138:
	s_or_b32 exec_lo, exec_lo, s2
	scratch_load_b64 v[79:80], off, off offset:184
	v_cmp_lt_u32_e64 s1, 23, v0
	s_waitcnt vmcnt(0)
	ds_store_b64 v82, v[79:80]
	s_waitcnt lgkmcnt(0)
	s_waitcnt_vscnt null, 0x0
	s_barrier
	buffer_gl0_inv
	s_and_saveexec_b32 s2, s1
	s_cbranch_execz .LBB38_148
; %bb.139:
	s_and_not1_b32 vcc_lo, exec_lo, s3
	s_cbranch_vccnz .LBB38_141
; %bb.140:
	scratch_load_b64 v[79:80], v83, off
	ds_load_b64 v[96:97], v82
	s_waitcnt vmcnt(0) lgkmcnt(0)
	v_mul_f64 v[79:80], v[79:80], v[96:97]
	s_cbranch_execz .LBB38_142
	s_branch .LBB38_143
.LBB38_141:
                                        ; implicit-def: $vgpr79_vgpr80
.LBB38_142:
	ds_load_b64 v[79:80], v82
.LBB38_143:
	s_and_saveexec_b32 s4, s0
	s_cbranch_execz .LBB38_147
; %bb.144:
	v_subrev_nc_u32_e32 v96, 24, v0
	s_movk_i32 s5, 0x200
	s_mov_b32 s0, 0
.LBB38_145:                             ; =>This Inner Loop Header: Depth=1
	scratch_load_b64 v[97:98], v95, off
	v_dual_mov_b32 v99, s5 :: v_dual_add_nc_u32 v96, -1, v96
	v_add_nc_u32_e32 v95, 8, v95
	s_add_i32 s5, s5, 8
	ds_load_b64 v[99:100], v99
	v_cmp_eq_u32_e32 vcc_lo, 0, v96
	s_or_b32 s0, vcc_lo, s0
	s_waitcnt vmcnt(0) lgkmcnt(0)
	v_fma_f64 v[79:80], v[97:98], v[99:100], v[79:80]
	s_and_not1_b32 exec_lo, exec_lo, s0
	s_cbranch_execnz .LBB38_145
; %bb.146:
	s_or_b32 exec_lo, exec_lo, s0
.LBB38_147:
	s_delay_alu instid0(SALU_CYCLE_1)
	s_or_b32 exec_lo, exec_lo, s4
	v_mov_b32_e32 v95, 0
	ds_load_b64 v[95:96], v95 offset:184
	s_waitcnt lgkmcnt(0)
	v_mul_f64 v[79:80], v[79:80], v[95:96]
	scratch_store_b64 off, v[79:80], off offset:184
.LBB38_148:
	s_or_b32 exec_lo, exec_lo, s2
	scratch_load_b64 v[79:80], off, off offset:176
	v_cmp_lt_u32_e64 s0, 22, v0
	s_waitcnt vmcnt(0)
	ds_store_b64 v82, v[79:80]
	s_waitcnt lgkmcnt(0)
	s_waitcnt_vscnt null, 0x0
	s_barrier
	buffer_gl0_inv
	s_and_saveexec_b32 s2, s0
	s_cbranch_execz .LBB38_158
; %bb.149:
	s_and_not1_b32 vcc_lo, exec_lo, s3
	s_cbranch_vccnz .LBB38_151
; %bb.150:
	scratch_load_b64 v[79:80], v83, off
	ds_load_b64 v[95:96], v82
	s_waitcnt vmcnt(0) lgkmcnt(0)
	v_mul_f64 v[79:80], v[79:80], v[95:96]
	s_cbranch_execz .LBB38_152
	s_branch .LBB38_153
.LBB38_151:
                                        ; implicit-def: $vgpr79_vgpr80
.LBB38_152:
	ds_load_b64 v[79:80], v82
.LBB38_153:
	s_and_saveexec_b32 s4, s1
	s_cbranch_execz .LBB38_157
; %bb.154:
	v_mov_b32_e32 v95, 0
	v_subrev_nc_u32_e32 v96, 23, v0
	s_movk_i32 s5, 0x1f8
	s_mov_b32 s1, 0
	s_delay_alu instid0(VALU_DEP_2)
	v_add_nc_u32_e32 v95, 0xb8, v95
.LBB38_155:                             ; =>This Inner Loop Header: Depth=1
	scratch_load_b64 v[97:98], v95, off
	v_dual_mov_b32 v99, s5 :: v_dual_add_nc_u32 v96, -1, v96
	v_add_nc_u32_e32 v95, 8, v95
	s_add_i32 s5, s5, 8
	ds_load_b64 v[99:100], v99
	v_cmp_eq_u32_e32 vcc_lo, 0, v96
	s_or_b32 s1, vcc_lo, s1
	s_waitcnt vmcnt(0) lgkmcnt(0)
	v_fma_f64 v[79:80], v[97:98], v[99:100], v[79:80]
	s_and_not1_b32 exec_lo, exec_lo, s1
	s_cbranch_execnz .LBB38_155
; %bb.156:
	s_or_b32 exec_lo, exec_lo, s1
.LBB38_157:
	s_delay_alu instid0(SALU_CYCLE_1)
	s_or_b32 exec_lo, exec_lo, s4
	v_mov_b32_e32 v95, 0
	ds_load_b64 v[95:96], v95 offset:176
	s_waitcnt lgkmcnt(0)
	v_mul_f64 v[79:80], v[79:80], v[95:96]
	scratch_store_b64 off, v[79:80], off offset:176
.LBB38_158:
	s_or_b32 exec_lo, exec_lo, s2
	scratch_load_b64 v[79:80], off, off offset:168
	v_cmp_lt_u32_e64 s1, 21, v0
	s_waitcnt vmcnt(0)
	ds_store_b64 v82, v[79:80]
	s_waitcnt lgkmcnt(0)
	s_waitcnt_vscnt null, 0x0
	s_barrier
	buffer_gl0_inv
	s_and_saveexec_b32 s2, s1
	s_cbranch_execz .LBB38_168
; %bb.159:
	s_and_not1_b32 vcc_lo, exec_lo, s3
	s_cbranch_vccnz .LBB38_161
; %bb.160:
	scratch_load_b64 v[79:80], v83, off
	ds_load_b64 v[95:96], v82
	s_waitcnt vmcnt(0) lgkmcnt(0)
	v_mul_f64 v[79:80], v[79:80], v[95:96]
	s_cbranch_execz .LBB38_162
	s_branch .LBB38_163
.LBB38_161:
                                        ; implicit-def: $vgpr79_vgpr80
.LBB38_162:
	ds_load_b64 v[79:80], v82
.LBB38_163:
	s_and_saveexec_b32 s4, s0
	s_cbranch_execz .LBB38_167
; %bb.164:
	v_subrev_nc_u32_e32 v95, 22, v0
	s_movk_i32 s5, 0x1f0
	s_mov_b32 s0, 0
.LBB38_165:                             ; =>This Inner Loop Header: Depth=1
	scratch_load_b64 v[96:97], v94, off
	v_dual_mov_b32 v98, s5 :: v_dual_add_nc_u32 v95, -1, v95
	v_add_nc_u32_e32 v94, 8, v94
	s_add_i32 s5, s5, 8
	ds_load_b64 v[98:99], v98
	v_cmp_eq_u32_e32 vcc_lo, 0, v95
	s_or_b32 s0, vcc_lo, s0
	s_waitcnt vmcnt(0) lgkmcnt(0)
	v_fma_f64 v[79:80], v[96:97], v[98:99], v[79:80]
	s_and_not1_b32 exec_lo, exec_lo, s0
	s_cbranch_execnz .LBB38_165
; %bb.166:
	s_or_b32 exec_lo, exec_lo, s0
.LBB38_167:
	s_delay_alu instid0(SALU_CYCLE_1)
	s_or_b32 exec_lo, exec_lo, s4
	v_mov_b32_e32 v94, 0
	ds_load_b64 v[94:95], v94 offset:168
	s_waitcnt lgkmcnt(0)
	v_mul_f64 v[79:80], v[79:80], v[94:95]
	scratch_store_b64 off, v[79:80], off offset:168
.LBB38_168:
	s_or_b32 exec_lo, exec_lo, s2
	scratch_load_b64 v[79:80], off, off offset:160
	v_cmp_lt_u32_e64 s0, 20, v0
	s_waitcnt vmcnt(0)
	ds_store_b64 v82, v[79:80]
	s_waitcnt lgkmcnt(0)
	s_waitcnt_vscnt null, 0x0
	s_barrier
	buffer_gl0_inv
	s_and_saveexec_b32 s2, s0
	s_cbranch_execz .LBB38_178
; %bb.169:
	s_and_not1_b32 vcc_lo, exec_lo, s3
	s_cbranch_vccnz .LBB38_171
; %bb.170:
	scratch_load_b64 v[79:80], v83, off
	ds_load_b64 v[94:95], v82
	s_waitcnt vmcnt(0) lgkmcnt(0)
	v_mul_f64 v[79:80], v[79:80], v[94:95]
	s_cbranch_execz .LBB38_172
	s_branch .LBB38_173
.LBB38_171:
                                        ; implicit-def: $vgpr79_vgpr80
.LBB38_172:
	ds_load_b64 v[79:80], v82
.LBB38_173:
	s_and_saveexec_b32 s4, s1
	s_cbranch_execz .LBB38_177
; %bb.174:
	v_mov_b32_e32 v94, 0
	v_subrev_nc_u32_e32 v95, 21, v0
	s_movk_i32 s5, 0x1e8
	s_mov_b32 s1, 0
	s_delay_alu instid0(VALU_DEP_2)
	v_add_nc_u32_e32 v94, 0xa8, v94
.LBB38_175:                             ; =>This Inner Loop Header: Depth=1
	scratch_load_b64 v[96:97], v94, off
	v_dual_mov_b32 v98, s5 :: v_dual_add_nc_u32 v95, -1, v95
	v_add_nc_u32_e32 v94, 8, v94
	s_add_i32 s5, s5, 8
	ds_load_b64 v[98:99], v98
	v_cmp_eq_u32_e32 vcc_lo, 0, v95
	s_or_b32 s1, vcc_lo, s1
	s_waitcnt vmcnt(0) lgkmcnt(0)
	v_fma_f64 v[79:80], v[96:97], v[98:99], v[79:80]
	s_and_not1_b32 exec_lo, exec_lo, s1
	s_cbranch_execnz .LBB38_175
; %bb.176:
	s_or_b32 exec_lo, exec_lo, s1
.LBB38_177:
	s_delay_alu instid0(SALU_CYCLE_1)
	s_or_b32 exec_lo, exec_lo, s4
	v_mov_b32_e32 v94, 0
	ds_load_b64 v[94:95], v94 offset:160
	s_waitcnt lgkmcnt(0)
	v_mul_f64 v[79:80], v[79:80], v[94:95]
	scratch_store_b64 off, v[79:80], off offset:160
.LBB38_178:
	s_or_b32 exec_lo, exec_lo, s2
	scratch_load_b64 v[79:80], off, off offset:152
	v_cmp_lt_u32_e64 s1, 19, v0
	s_waitcnt vmcnt(0)
	ds_store_b64 v82, v[79:80]
	s_waitcnt lgkmcnt(0)
	s_waitcnt_vscnt null, 0x0
	s_barrier
	buffer_gl0_inv
	s_and_saveexec_b32 s2, s1
	s_cbranch_execz .LBB38_188
; %bb.179:
	s_and_not1_b32 vcc_lo, exec_lo, s3
	s_cbranch_vccnz .LBB38_181
; %bb.180:
	scratch_load_b64 v[79:80], v83, off
	ds_load_b64 v[94:95], v82
	s_waitcnt vmcnt(0) lgkmcnt(0)
	v_mul_f64 v[79:80], v[79:80], v[94:95]
	s_cbranch_execz .LBB38_182
	s_branch .LBB38_183
.LBB38_181:
                                        ; implicit-def: $vgpr79_vgpr80
.LBB38_182:
	ds_load_b64 v[79:80], v82
.LBB38_183:
	s_and_saveexec_b32 s4, s0
	s_cbranch_execz .LBB38_187
; %bb.184:
	v_subrev_nc_u32_e32 v94, 20, v0
	s_movk_i32 s5, 0x1e0
	s_mov_b32 s0, 0
.LBB38_185:                             ; =>This Inner Loop Header: Depth=1
	scratch_load_b64 v[95:96], v93, off
	v_dual_mov_b32 v97, s5 :: v_dual_add_nc_u32 v94, -1, v94
	v_add_nc_u32_e32 v93, 8, v93
	s_add_i32 s5, s5, 8
	ds_load_b64 v[97:98], v97
	v_cmp_eq_u32_e32 vcc_lo, 0, v94
	s_or_b32 s0, vcc_lo, s0
	s_waitcnt vmcnt(0) lgkmcnt(0)
	v_fma_f64 v[79:80], v[95:96], v[97:98], v[79:80]
	s_and_not1_b32 exec_lo, exec_lo, s0
	s_cbranch_execnz .LBB38_185
; %bb.186:
	s_or_b32 exec_lo, exec_lo, s0
.LBB38_187:
	s_delay_alu instid0(SALU_CYCLE_1)
	s_or_b32 exec_lo, exec_lo, s4
	v_mov_b32_e32 v93, 0
	ds_load_b64 v[93:94], v93 offset:152
	s_waitcnt lgkmcnt(0)
	v_mul_f64 v[79:80], v[79:80], v[93:94]
	scratch_store_b64 off, v[79:80], off offset:152
.LBB38_188:
	s_or_b32 exec_lo, exec_lo, s2
	scratch_load_b64 v[79:80], off, off offset:144
	v_cmp_lt_u32_e64 s0, 18, v0
	s_waitcnt vmcnt(0)
	ds_store_b64 v82, v[79:80]
	s_waitcnt lgkmcnt(0)
	s_waitcnt_vscnt null, 0x0
	s_barrier
	buffer_gl0_inv
	s_and_saveexec_b32 s2, s0
	s_cbranch_execz .LBB38_198
; %bb.189:
	s_and_not1_b32 vcc_lo, exec_lo, s3
	s_cbranch_vccnz .LBB38_191
; %bb.190:
	scratch_load_b64 v[79:80], v83, off
	ds_load_b64 v[93:94], v82
	s_waitcnt vmcnt(0) lgkmcnt(0)
	v_mul_f64 v[79:80], v[79:80], v[93:94]
	s_cbranch_execz .LBB38_192
	s_branch .LBB38_193
.LBB38_191:
                                        ; implicit-def: $vgpr79_vgpr80
.LBB38_192:
	ds_load_b64 v[79:80], v82
.LBB38_193:
	s_and_saveexec_b32 s4, s1
	s_cbranch_execz .LBB38_197
; %bb.194:
	v_mov_b32_e32 v93, 0
	v_subrev_nc_u32_e32 v94, 19, v0
	s_movk_i32 s5, 0x1d8
	s_mov_b32 s1, 0
	s_delay_alu instid0(VALU_DEP_2)
	v_add_nc_u32_e32 v93, 0x98, v93
.LBB38_195:                             ; =>This Inner Loop Header: Depth=1
	scratch_load_b64 v[95:96], v93, off
	v_dual_mov_b32 v97, s5 :: v_dual_add_nc_u32 v94, -1, v94
	v_add_nc_u32_e32 v93, 8, v93
	s_add_i32 s5, s5, 8
	ds_load_b64 v[97:98], v97
	v_cmp_eq_u32_e32 vcc_lo, 0, v94
	s_or_b32 s1, vcc_lo, s1
	s_waitcnt vmcnt(0) lgkmcnt(0)
	v_fma_f64 v[79:80], v[95:96], v[97:98], v[79:80]
	s_and_not1_b32 exec_lo, exec_lo, s1
	s_cbranch_execnz .LBB38_195
; %bb.196:
	s_or_b32 exec_lo, exec_lo, s1
.LBB38_197:
	s_delay_alu instid0(SALU_CYCLE_1)
	s_or_b32 exec_lo, exec_lo, s4
	v_mov_b32_e32 v93, 0
	ds_load_b64 v[93:94], v93 offset:144
	s_waitcnt lgkmcnt(0)
	v_mul_f64 v[79:80], v[79:80], v[93:94]
	scratch_store_b64 off, v[79:80], off offset:144
.LBB38_198:
	s_or_b32 exec_lo, exec_lo, s2
	scratch_load_b64 v[79:80], off, off offset:136
	v_cmp_lt_u32_e64 s1, 17, v0
	s_waitcnt vmcnt(0)
	ds_store_b64 v82, v[79:80]
	s_waitcnt lgkmcnt(0)
	s_waitcnt_vscnt null, 0x0
	s_barrier
	buffer_gl0_inv
	s_and_saveexec_b32 s2, s1
	s_cbranch_execz .LBB38_208
; %bb.199:
	s_and_not1_b32 vcc_lo, exec_lo, s3
	s_cbranch_vccnz .LBB38_201
; %bb.200:
	scratch_load_b64 v[79:80], v83, off
	ds_load_b64 v[93:94], v82
	s_waitcnt vmcnt(0) lgkmcnt(0)
	v_mul_f64 v[79:80], v[79:80], v[93:94]
	s_cbranch_execz .LBB38_202
	s_branch .LBB38_203
.LBB38_201:
                                        ; implicit-def: $vgpr79_vgpr80
.LBB38_202:
	ds_load_b64 v[79:80], v82
.LBB38_203:
	s_and_saveexec_b32 s4, s0
	s_cbranch_execz .LBB38_207
; %bb.204:
	v_subrev_nc_u32_e32 v93, 18, v0
	s_movk_i32 s5, 0x1d0
	s_mov_b32 s0, 0
.LBB38_205:                             ; =>This Inner Loop Header: Depth=1
	scratch_load_b64 v[94:95], v92, off
	v_dual_mov_b32 v96, s5 :: v_dual_add_nc_u32 v93, -1, v93
	v_add_nc_u32_e32 v92, 8, v92
	s_add_i32 s5, s5, 8
	ds_load_b64 v[96:97], v96
	v_cmp_eq_u32_e32 vcc_lo, 0, v93
	s_or_b32 s0, vcc_lo, s0
	s_waitcnt vmcnt(0) lgkmcnt(0)
	v_fma_f64 v[79:80], v[94:95], v[96:97], v[79:80]
	s_and_not1_b32 exec_lo, exec_lo, s0
	s_cbranch_execnz .LBB38_205
; %bb.206:
	s_or_b32 exec_lo, exec_lo, s0
.LBB38_207:
	s_delay_alu instid0(SALU_CYCLE_1)
	s_or_b32 exec_lo, exec_lo, s4
	v_mov_b32_e32 v92, 0
	ds_load_b64 v[92:93], v92 offset:136
	s_waitcnt lgkmcnt(0)
	v_mul_f64 v[79:80], v[79:80], v[92:93]
	scratch_store_b64 off, v[79:80], off offset:136
.LBB38_208:
	s_or_b32 exec_lo, exec_lo, s2
	scratch_load_b64 v[79:80], off, off offset:128
	v_cmp_lt_u32_e64 s0, 16, v0
	s_waitcnt vmcnt(0)
	ds_store_b64 v82, v[79:80]
	s_waitcnt lgkmcnt(0)
	s_waitcnt_vscnt null, 0x0
	s_barrier
	buffer_gl0_inv
	s_and_saveexec_b32 s2, s0
	s_cbranch_execz .LBB38_218
; %bb.209:
	s_and_not1_b32 vcc_lo, exec_lo, s3
	s_cbranch_vccnz .LBB38_211
; %bb.210:
	scratch_load_b64 v[79:80], v83, off
	ds_load_b64 v[92:93], v82
	s_waitcnt vmcnt(0) lgkmcnt(0)
	v_mul_f64 v[79:80], v[79:80], v[92:93]
	s_cbranch_execz .LBB38_212
	s_branch .LBB38_213
.LBB38_211:
                                        ; implicit-def: $vgpr79_vgpr80
.LBB38_212:
	ds_load_b64 v[79:80], v82
.LBB38_213:
	s_and_saveexec_b32 s4, s1
	s_cbranch_execz .LBB38_217
; %bb.214:
	v_mov_b32_e32 v92, 0
	v_subrev_nc_u32_e32 v93, 17, v0
	s_movk_i32 s5, 0x1c8
	s_mov_b32 s1, 0
	s_delay_alu instid0(VALU_DEP_2)
	v_add_nc_u32_e32 v92, 0x88, v92
.LBB38_215:                             ; =>This Inner Loop Header: Depth=1
	scratch_load_b64 v[94:95], v92, off
	v_dual_mov_b32 v96, s5 :: v_dual_add_nc_u32 v93, -1, v93
	v_add_nc_u32_e32 v92, 8, v92
	s_add_i32 s5, s5, 8
	ds_load_b64 v[96:97], v96
	v_cmp_eq_u32_e32 vcc_lo, 0, v93
	s_or_b32 s1, vcc_lo, s1
	s_waitcnt vmcnt(0) lgkmcnt(0)
	v_fma_f64 v[79:80], v[94:95], v[96:97], v[79:80]
	s_and_not1_b32 exec_lo, exec_lo, s1
	s_cbranch_execnz .LBB38_215
; %bb.216:
	s_or_b32 exec_lo, exec_lo, s1
.LBB38_217:
	s_delay_alu instid0(SALU_CYCLE_1)
	s_or_b32 exec_lo, exec_lo, s4
	v_mov_b32_e32 v92, 0
	ds_load_b64 v[92:93], v92 offset:128
	s_waitcnt lgkmcnt(0)
	v_mul_f64 v[79:80], v[79:80], v[92:93]
	scratch_store_b64 off, v[79:80], off offset:128
.LBB38_218:
	s_or_b32 exec_lo, exec_lo, s2
	scratch_load_b64 v[79:80], off, off offset:120
	v_cmp_lt_u32_e64 s1, 15, v0
	s_waitcnt vmcnt(0)
	ds_store_b64 v82, v[79:80]
	s_waitcnt lgkmcnt(0)
	s_waitcnt_vscnt null, 0x0
	s_barrier
	buffer_gl0_inv
	s_and_saveexec_b32 s2, s1
	s_cbranch_execz .LBB38_228
; %bb.219:
	s_and_not1_b32 vcc_lo, exec_lo, s3
	s_cbranch_vccnz .LBB38_221
; %bb.220:
	scratch_load_b64 v[79:80], v83, off
	ds_load_b64 v[92:93], v82
	s_waitcnt vmcnt(0) lgkmcnt(0)
	v_mul_f64 v[79:80], v[79:80], v[92:93]
	s_cbranch_execz .LBB38_222
	s_branch .LBB38_223
.LBB38_221:
                                        ; implicit-def: $vgpr79_vgpr80
.LBB38_222:
	ds_load_b64 v[79:80], v82
.LBB38_223:
	s_and_saveexec_b32 s4, s0
	s_cbranch_execz .LBB38_227
; %bb.224:
	v_add_nc_u32_e32 v92, -16, v0
	s_movk_i32 s5, 0x1c0
	s_mov_b32 s0, 0
.LBB38_225:                             ; =>This Inner Loop Header: Depth=1
	scratch_load_b64 v[93:94], v91, off
	v_dual_mov_b32 v95, s5 :: v_dual_add_nc_u32 v92, -1, v92
	v_add_nc_u32_e32 v91, 8, v91
	s_add_i32 s5, s5, 8
	ds_load_b64 v[95:96], v95
	v_cmp_eq_u32_e32 vcc_lo, 0, v92
	s_or_b32 s0, vcc_lo, s0
	s_waitcnt vmcnt(0) lgkmcnt(0)
	v_fma_f64 v[79:80], v[93:94], v[95:96], v[79:80]
	s_and_not1_b32 exec_lo, exec_lo, s0
	s_cbranch_execnz .LBB38_225
; %bb.226:
	s_or_b32 exec_lo, exec_lo, s0
.LBB38_227:
	s_delay_alu instid0(SALU_CYCLE_1)
	s_or_b32 exec_lo, exec_lo, s4
	v_mov_b32_e32 v91, 0
	ds_load_b64 v[91:92], v91 offset:120
	s_waitcnt lgkmcnt(0)
	v_mul_f64 v[79:80], v[79:80], v[91:92]
	scratch_store_b64 off, v[79:80], off offset:120
.LBB38_228:
	s_or_b32 exec_lo, exec_lo, s2
	scratch_load_b64 v[79:80], off, off offset:112
	v_cmp_lt_u32_e64 s0, 14, v0
	s_waitcnt vmcnt(0)
	ds_store_b64 v82, v[79:80]
	s_waitcnt lgkmcnt(0)
	s_waitcnt_vscnt null, 0x0
	s_barrier
	buffer_gl0_inv
	s_and_saveexec_b32 s2, s0
	s_cbranch_execz .LBB38_238
; %bb.229:
	s_and_not1_b32 vcc_lo, exec_lo, s3
	s_cbranch_vccnz .LBB38_231
; %bb.230:
	scratch_load_b64 v[79:80], v83, off
	ds_load_b64 v[91:92], v82
	s_waitcnt vmcnt(0) lgkmcnt(0)
	v_mul_f64 v[79:80], v[79:80], v[91:92]
	s_cbranch_execz .LBB38_232
	s_branch .LBB38_233
.LBB38_231:
                                        ; implicit-def: $vgpr79_vgpr80
.LBB38_232:
	ds_load_b64 v[79:80], v82
.LBB38_233:
	s_and_saveexec_b32 s4, s1
	s_cbranch_execz .LBB38_237
; %bb.234:
	v_dual_mov_b32 v91, 0 :: v_dual_add_nc_u32 v92, -15, v0
	s_movk_i32 s5, 0x1b8
	s_mov_b32 s1, 0
	s_delay_alu instid0(VALU_DEP_1)
	v_add_nc_u32_e32 v91, 0x78, v91
.LBB38_235:                             ; =>This Inner Loop Header: Depth=1
	scratch_load_b64 v[93:94], v91, off
	v_dual_mov_b32 v95, s5 :: v_dual_add_nc_u32 v92, -1, v92
	v_add_nc_u32_e32 v91, 8, v91
	s_add_i32 s5, s5, 8
	ds_load_b64 v[95:96], v95
	v_cmp_eq_u32_e32 vcc_lo, 0, v92
	s_or_b32 s1, vcc_lo, s1
	s_waitcnt vmcnt(0) lgkmcnt(0)
	v_fma_f64 v[79:80], v[93:94], v[95:96], v[79:80]
	s_and_not1_b32 exec_lo, exec_lo, s1
	s_cbranch_execnz .LBB38_235
; %bb.236:
	s_or_b32 exec_lo, exec_lo, s1
.LBB38_237:
	s_delay_alu instid0(SALU_CYCLE_1)
	s_or_b32 exec_lo, exec_lo, s4
	v_mov_b32_e32 v91, 0
	ds_load_b64 v[91:92], v91 offset:112
	s_waitcnt lgkmcnt(0)
	v_mul_f64 v[79:80], v[79:80], v[91:92]
	scratch_store_b64 off, v[79:80], off offset:112
.LBB38_238:
	s_or_b32 exec_lo, exec_lo, s2
	scratch_load_b64 v[79:80], off, off offset:104
	v_cmp_lt_u32_e64 s1, 13, v0
	s_waitcnt vmcnt(0)
	ds_store_b64 v82, v[79:80]
	s_waitcnt lgkmcnt(0)
	s_waitcnt_vscnt null, 0x0
	s_barrier
	buffer_gl0_inv
	s_and_saveexec_b32 s2, s1
	s_cbranch_execz .LBB38_248
; %bb.239:
	s_and_not1_b32 vcc_lo, exec_lo, s3
	s_cbranch_vccnz .LBB38_241
; %bb.240:
	scratch_load_b64 v[79:80], v83, off
	ds_load_b64 v[91:92], v82
	s_waitcnt vmcnt(0) lgkmcnt(0)
	v_mul_f64 v[79:80], v[79:80], v[91:92]
	s_cbranch_execz .LBB38_242
	s_branch .LBB38_243
.LBB38_241:
                                        ; implicit-def: $vgpr79_vgpr80
.LBB38_242:
	ds_load_b64 v[79:80], v82
.LBB38_243:
	s_and_saveexec_b32 s4, s0
	s_cbranch_execz .LBB38_247
; %bb.244:
	v_add_nc_u32_e32 v91, -14, v0
	s_movk_i32 s5, 0x1b0
	s_mov_b32 s0, 0
.LBB38_245:                             ; =>This Inner Loop Header: Depth=1
	scratch_load_b64 v[92:93], v90, off
	v_dual_mov_b32 v94, s5 :: v_dual_add_nc_u32 v91, -1, v91
	v_add_nc_u32_e32 v90, 8, v90
	s_add_i32 s5, s5, 8
	ds_load_b64 v[94:95], v94
	v_cmp_eq_u32_e32 vcc_lo, 0, v91
	s_or_b32 s0, vcc_lo, s0
	s_waitcnt vmcnt(0) lgkmcnt(0)
	v_fma_f64 v[79:80], v[92:93], v[94:95], v[79:80]
	s_and_not1_b32 exec_lo, exec_lo, s0
	s_cbranch_execnz .LBB38_245
; %bb.246:
	s_or_b32 exec_lo, exec_lo, s0
.LBB38_247:
	s_delay_alu instid0(SALU_CYCLE_1)
	s_or_b32 exec_lo, exec_lo, s4
	v_mov_b32_e32 v90, 0
	ds_load_b64 v[90:91], v90 offset:104
	s_waitcnt lgkmcnt(0)
	v_mul_f64 v[79:80], v[79:80], v[90:91]
	scratch_store_b64 off, v[79:80], off offset:104
.LBB38_248:
	s_or_b32 exec_lo, exec_lo, s2
	scratch_load_b64 v[79:80], off, off offset:96
	v_cmp_lt_u32_e64 s0, 12, v0
	s_waitcnt vmcnt(0)
	ds_store_b64 v82, v[79:80]
	s_waitcnt lgkmcnt(0)
	s_waitcnt_vscnt null, 0x0
	s_barrier
	buffer_gl0_inv
	s_and_saveexec_b32 s2, s0
	s_cbranch_execz .LBB38_258
; %bb.249:
	s_and_not1_b32 vcc_lo, exec_lo, s3
	s_cbranch_vccnz .LBB38_251
; %bb.250:
	scratch_load_b64 v[79:80], v83, off
	ds_load_b64 v[90:91], v82
	s_waitcnt vmcnt(0) lgkmcnt(0)
	v_mul_f64 v[79:80], v[79:80], v[90:91]
	s_cbranch_execz .LBB38_252
	s_branch .LBB38_253
.LBB38_251:
                                        ; implicit-def: $vgpr79_vgpr80
.LBB38_252:
	ds_load_b64 v[79:80], v82
.LBB38_253:
	s_and_saveexec_b32 s4, s1
	s_cbranch_execz .LBB38_257
; %bb.254:
	v_dual_mov_b32 v90, 0 :: v_dual_add_nc_u32 v91, -13, v0
	s_movk_i32 s5, 0x1a8
	s_mov_b32 s1, 0
	s_delay_alu instid0(VALU_DEP_1)
	v_add_nc_u32_e32 v90, 0x68, v90
.LBB38_255:                             ; =>This Inner Loop Header: Depth=1
	scratch_load_b64 v[92:93], v90, off
	v_dual_mov_b32 v94, s5 :: v_dual_add_nc_u32 v91, -1, v91
	v_add_nc_u32_e32 v90, 8, v90
	s_add_i32 s5, s5, 8
	ds_load_b64 v[94:95], v94
	v_cmp_eq_u32_e32 vcc_lo, 0, v91
	s_or_b32 s1, vcc_lo, s1
	s_waitcnt vmcnt(0) lgkmcnt(0)
	v_fma_f64 v[79:80], v[92:93], v[94:95], v[79:80]
	s_and_not1_b32 exec_lo, exec_lo, s1
	s_cbranch_execnz .LBB38_255
; %bb.256:
	s_or_b32 exec_lo, exec_lo, s1
.LBB38_257:
	s_delay_alu instid0(SALU_CYCLE_1)
	s_or_b32 exec_lo, exec_lo, s4
	v_mov_b32_e32 v90, 0
	ds_load_b64 v[90:91], v90 offset:96
	s_waitcnt lgkmcnt(0)
	v_mul_f64 v[79:80], v[79:80], v[90:91]
	scratch_store_b64 off, v[79:80], off offset:96
.LBB38_258:
	s_or_b32 exec_lo, exec_lo, s2
	scratch_load_b64 v[79:80], off, off offset:88
	v_cmp_lt_u32_e64 s1, 11, v0
	s_waitcnt vmcnt(0)
	ds_store_b64 v82, v[79:80]
	s_waitcnt lgkmcnt(0)
	s_waitcnt_vscnt null, 0x0
	s_barrier
	buffer_gl0_inv
	s_and_saveexec_b32 s2, s1
	s_cbranch_execz .LBB38_268
; %bb.259:
	s_and_not1_b32 vcc_lo, exec_lo, s3
	s_cbranch_vccnz .LBB38_261
; %bb.260:
	scratch_load_b64 v[79:80], v83, off
	ds_load_b64 v[90:91], v82
	s_waitcnt vmcnt(0) lgkmcnt(0)
	v_mul_f64 v[79:80], v[79:80], v[90:91]
	s_cbranch_execz .LBB38_262
	s_branch .LBB38_263
.LBB38_261:
                                        ; implicit-def: $vgpr79_vgpr80
.LBB38_262:
	ds_load_b64 v[79:80], v82
.LBB38_263:
	s_and_saveexec_b32 s4, s0
	s_cbranch_execz .LBB38_267
; %bb.264:
	v_add_nc_u32_e32 v90, -12, v0
	s_movk_i32 s5, 0x1a0
	s_mov_b32 s0, 0
.LBB38_265:                             ; =>This Inner Loop Header: Depth=1
	scratch_load_b64 v[91:92], v89, off
	v_dual_mov_b32 v93, s5 :: v_dual_add_nc_u32 v90, -1, v90
	v_add_nc_u32_e32 v89, 8, v89
	s_add_i32 s5, s5, 8
	ds_load_b64 v[93:94], v93
	v_cmp_eq_u32_e32 vcc_lo, 0, v90
	s_or_b32 s0, vcc_lo, s0
	s_waitcnt vmcnt(0) lgkmcnt(0)
	v_fma_f64 v[79:80], v[91:92], v[93:94], v[79:80]
	s_and_not1_b32 exec_lo, exec_lo, s0
	s_cbranch_execnz .LBB38_265
; %bb.266:
	s_or_b32 exec_lo, exec_lo, s0
.LBB38_267:
	s_delay_alu instid0(SALU_CYCLE_1)
	s_or_b32 exec_lo, exec_lo, s4
	v_mov_b32_e32 v89, 0
	ds_load_b64 v[89:90], v89 offset:88
	s_waitcnt lgkmcnt(0)
	v_mul_f64 v[79:80], v[79:80], v[89:90]
	scratch_store_b64 off, v[79:80], off offset:88
.LBB38_268:
	s_or_b32 exec_lo, exec_lo, s2
	scratch_load_b64 v[79:80], off, off offset:80
	v_cmp_lt_u32_e64 s0, 10, v0
	s_waitcnt vmcnt(0)
	ds_store_b64 v82, v[79:80]
	s_waitcnt lgkmcnt(0)
	s_waitcnt_vscnt null, 0x0
	s_barrier
	buffer_gl0_inv
	s_and_saveexec_b32 s2, s0
	s_cbranch_execz .LBB38_278
; %bb.269:
	s_and_not1_b32 vcc_lo, exec_lo, s3
	s_cbranch_vccnz .LBB38_271
; %bb.270:
	scratch_load_b64 v[79:80], v83, off
	ds_load_b64 v[89:90], v82
	s_waitcnt vmcnt(0) lgkmcnt(0)
	v_mul_f64 v[79:80], v[79:80], v[89:90]
	s_cbranch_execz .LBB38_272
	s_branch .LBB38_273
.LBB38_271:
                                        ; implicit-def: $vgpr79_vgpr80
.LBB38_272:
	ds_load_b64 v[79:80], v82
.LBB38_273:
	s_and_saveexec_b32 s4, s1
	s_cbranch_execz .LBB38_277
; %bb.274:
	v_dual_mov_b32 v89, 0 :: v_dual_add_nc_u32 v90, -11, v0
	s_movk_i32 s5, 0x198
	s_mov_b32 s1, 0
	s_delay_alu instid0(VALU_DEP_1)
	v_add_nc_u32_e32 v89, 0x58, v89
.LBB38_275:                             ; =>This Inner Loop Header: Depth=1
	scratch_load_b64 v[91:92], v89, off
	v_dual_mov_b32 v93, s5 :: v_dual_add_nc_u32 v90, -1, v90
	v_add_nc_u32_e32 v89, 8, v89
	s_add_i32 s5, s5, 8
	ds_load_b64 v[93:94], v93
	v_cmp_eq_u32_e32 vcc_lo, 0, v90
	s_or_b32 s1, vcc_lo, s1
	s_waitcnt vmcnt(0) lgkmcnt(0)
	v_fma_f64 v[79:80], v[91:92], v[93:94], v[79:80]
	s_and_not1_b32 exec_lo, exec_lo, s1
	s_cbranch_execnz .LBB38_275
; %bb.276:
	s_or_b32 exec_lo, exec_lo, s1
.LBB38_277:
	s_delay_alu instid0(SALU_CYCLE_1)
	s_or_b32 exec_lo, exec_lo, s4
	v_mov_b32_e32 v89, 0
	ds_load_b64 v[89:90], v89 offset:80
	s_waitcnt lgkmcnt(0)
	v_mul_f64 v[79:80], v[79:80], v[89:90]
	scratch_store_b64 off, v[79:80], off offset:80
.LBB38_278:
	s_or_b32 exec_lo, exec_lo, s2
	scratch_load_b64 v[79:80], off, off offset:72
	v_cmp_lt_u32_e64 s1, 9, v0
	s_waitcnt vmcnt(0)
	ds_store_b64 v82, v[79:80]
	s_waitcnt lgkmcnt(0)
	s_waitcnt_vscnt null, 0x0
	s_barrier
	buffer_gl0_inv
	s_and_saveexec_b32 s2, s1
	s_cbranch_execz .LBB38_288
; %bb.279:
	s_and_not1_b32 vcc_lo, exec_lo, s3
	s_cbranch_vccnz .LBB38_281
; %bb.280:
	scratch_load_b64 v[79:80], v83, off
	ds_load_b64 v[89:90], v82
	s_waitcnt vmcnt(0) lgkmcnt(0)
	v_mul_f64 v[79:80], v[79:80], v[89:90]
	s_cbranch_execz .LBB38_282
	s_branch .LBB38_283
.LBB38_281:
                                        ; implicit-def: $vgpr79_vgpr80
.LBB38_282:
	ds_load_b64 v[79:80], v82
.LBB38_283:
	s_and_saveexec_b32 s4, s0
	s_cbranch_execz .LBB38_287
; %bb.284:
	v_add_nc_u32_e32 v89, -10, v0
	s_movk_i32 s5, 0x190
	s_mov_b32 s0, 0
.LBB38_285:                             ; =>This Inner Loop Header: Depth=1
	scratch_load_b64 v[90:91], v88, off
	v_dual_mov_b32 v92, s5 :: v_dual_add_nc_u32 v89, -1, v89
	v_add_nc_u32_e32 v88, 8, v88
	s_add_i32 s5, s5, 8
	ds_load_b64 v[92:93], v92
	v_cmp_eq_u32_e32 vcc_lo, 0, v89
	s_or_b32 s0, vcc_lo, s0
	s_waitcnt vmcnt(0) lgkmcnt(0)
	v_fma_f64 v[79:80], v[90:91], v[92:93], v[79:80]
	s_and_not1_b32 exec_lo, exec_lo, s0
	s_cbranch_execnz .LBB38_285
; %bb.286:
	s_or_b32 exec_lo, exec_lo, s0
.LBB38_287:
	s_delay_alu instid0(SALU_CYCLE_1)
	s_or_b32 exec_lo, exec_lo, s4
	v_mov_b32_e32 v88, 0
	ds_load_b64 v[88:89], v88 offset:72
	s_waitcnt lgkmcnt(0)
	v_mul_f64 v[79:80], v[79:80], v[88:89]
	scratch_store_b64 off, v[79:80], off offset:72
.LBB38_288:
	s_or_b32 exec_lo, exec_lo, s2
	scratch_load_b64 v[79:80], off, off offset:64
	v_cmp_lt_u32_e64 s0, 8, v0
	s_waitcnt vmcnt(0)
	ds_store_b64 v82, v[79:80]
	s_waitcnt lgkmcnt(0)
	s_waitcnt_vscnt null, 0x0
	s_barrier
	buffer_gl0_inv
	s_and_saveexec_b32 s2, s0
	s_cbranch_execz .LBB38_298
; %bb.289:
	s_and_not1_b32 vcc_lo, exec_lo, s3
	s_cbranch_vccnz .LBB38_291
; %bb.290:
	scratch_load_b64 v[79:80], v83, off
	ds_load_b64 v[88:89], v82
	s_waitcnt vmcnt(0) lgkmcnt(0)
	v_mul_f64 v[79:80], v[79:80], v[88:89]
	s_cbranch_execz .LBB38_292
	s_branch .LBB38_293
.LBB38_291:
                                        ; implicit-def: $vgpr79_vgpr80
.LBB38_292:
	ds_load_b64 v[79:80], v82
.LBB38_293:
	s_and_saveexec_b32 s4, s1
	s_cbranch_execz .LBB38_297
; %bb.294:
	v_dual_mov_b32 v88, 0 :: v_dual_add_nc_u32 v89, -9, v0
	s_movk_i32 s5, 0x188
	s_mov_b32 s1, 0
	s_delay_alu instid0(VALU_DEP_1)
	v_add_nc_u32_e32 v88, 0x48, v88
.LBB38_295:                             ; =>This Inner Loop Header: Depth=1
	scratch_load_b64 v[90:91], v88, off
	v_dual_mov_b32 v92, s5 :: v_dual_add_nc_u32 v89, -1, v89
	v_add_nc_u32_e32 v88, 8, v88
	s_add_i32 s5, s5, 8
	ds_load_b64 v[92:93], v92
	v_cmp_eq_u32_e32 vcc_lo, 0, v89
	s_or_b32 s1, vcc_lo, s1
	s_waitcnt vmcnt(0) lgkmcnt(0)
	v_fma_f64 v[79:80], v[90:91], v[92:93], v[79:80]
	s_and_not1_b32 exec_lo, exec_lo, s1
	s_cbranch_execnz .LBB38_295
; %bb.296:
	s_or_b32 exec_lo, exec_lo, s1
.LBB38_297:
	s_delay_alu instid0(SALU_CYCLE_1)
	s_or_b32 exec_lo, exec_lo, s4
	v_mov_b32_e32 v88, 0
	ds_load_b64 v[88:89], v88 offset:64
	s_waitcnt lgkmcnt(0)
	v_mul_f64 v[79:80], v[79:80], v[88:89]
	scratch_store_b64 off, v[79:80], off offset:64
.LBB38_298:
	s_or_b32 exec_lo, exec_lo, s2
	scratch_load_b64 v[79:80], off, off offset:56
	v_cmp_lt_u32_e64 s1, 7, v0
	s_waitcnt vmcnt(0)
	ds_store_b64 v82, v[79:80]
	s_waitcnt lgkmcnt(0)
	s_waitcnt_vscnt null, 0x0
	s_barrier
	buffer_gl0_inv
	s_and_saveexec_b32 s2, s1
	s_cbranch_execz .LBB38_308
; %bb.299:
	s_and_not1_b32 vcc_lo, exec_lo, s3
	s_cbranch_vccnz .LBB38_301
; %bb.300:
	scratch_load_b64 v[79:80], v83, off
	ds_load_b64 v[88:89], v82
	s_waitcnt vmcnt(0) lgkmcnt(0)
	v_mul_f64 v[79:80], v[79:80], v[88:89]
	s_cbranch_execz .LBB38_302
	s_branch .LBB38_303
.LBB38_301:
                                        ; implicit-def: $vgpr79_vgpr80
.LBB38_302:
	ds_load_b64 v[79:80], v82
.LBB38_303:
	s_and_saveexec_b32 s4, s0
	s_cbranch_execz .LBB38_307
; %bb.304:
	v_add_nc_u32_e32 v88, -8, v0
	s_movk_i32 s5, 0x180
	s_mov_b32 s0, 0
.LBB38_305:                             ; =>This Inner Loop Header: Depth=1
	scratch_load_b64 v[89:90], v87, off
	v_dual_mov_b32 v91, s5 :: v_dual_add_nc_u32 v88, -1, v88
	v_add_nc_u32_e32 v87, 8, v87
	s_add_i32 s5, s5, 8
	ds_load_b64 v[91:92], v91
	v_cmp_eq_u32_e32 vcc_lo, 0, v88
	s_or_b32 s0, vcc_lo, s0
	s_waitcnt vmcnt(0) lgkmcnt(0)
	v_fma_f64 v[79:80], v[89:90], v[91:92], v[79:80]
	s_and_not1_b32 exec_lo, exec_lo, s0
	s_cbranch_execnz .LBB38_305
; %bb.306:
	s_or_b32 exec_lo, exec_lo, s0
.LBB38_307:
	s_delay_alu instid0(SALU_CYCLE_1)
	s_or_b32 exec_lo, exec_lo, s4
	v_mov_b32_e32 v87, 0
	ds_load_b64 v[87:88], v87 offset:56
	s_waitcnt lgkmcnt(0)
	v_mul_f64 v[79:80], v[79:80], v[87:88]
	scratch_store_b64 off, v[79:80], off offset:56
.LBB38_308:
	s_or_b32 exec_lo, exec_lo, s2
	scratch_load_b64 v[79:80], off, off offset:48
	v_cmp_lt_u32_e64 s0, 6, v0
	s_waitcnt vmcnt(0)
	ds_store_b64 v82, v[79:80]
	s_waitcnt lgkmcnt(0)
	s_waitcnt_vscnt null, 0x0
	s_barrier
	buffer_gl0_inv
	s_and_saveexec_b32 s2, s0
	s_cbranch_execz .LBB38_318
; %bb.309:
	s_and_not1_b32 vcc_lo, exec_lo, s3
	s_cbranch_vccnz .LBB38_311
; %bb.310:
	scratch_load_b64 v[79:80], v83, off
	ds_load_b64 v[87:88], v82
	s_waitcnt vmcnt(0) lgkmcnt(0)
	v_mul_f64 v[79:80], v[79:80], v[87:88]
	s_cbranch_execz .LBB38_312
	s_branch .LBB38_313
.LBB38_311:
                                        ; implicit-def: $vgpr79_vgpr80
.LBB38_312:
	ds_load_b64 v[79:80], v82
.LBB38_313:
	s_and_saveexec_b32 s4, s1
	s_cbranch_execz .LBB38_317
; %bb.314:
	v_add_nc_u32_e64 v87, 0, 56
	v_add_nc_u32_e32 v88, -7, v0
	s_movk_i32 s5, 0x178
	s_mov_b32 s1, 0
.LBB38_315:                             ; =>This Inner Loop Header: Depth=1
	scratch_load_b64 v[89:90], v87, off
	v_dual_mov_b32 v91, s5 :: v_dual_add_nc_u32 v88, -1, v88
	v_add_nc_u32_e32 v87, 8, v87
	s_add_i32 s5, s5, 8
	ds_load_b64 v[91:92], v91
	v_cmp_eq_u32_e32 vcc_lo, 0, v88
	s_or_b32 s1, vcc_lo, s1
	s_waitcnt vmcnt(0) lgkmcnt(0)
	v_fma_f64 v[79:80], v[89:90], v[91:92], v[79:80]
	s_and_not1_b32 exec_lo, exec_lo, s1
	s_cbranch_execnz .LBB38_315
; %bb.316:
	s_or_b32 exec_lo, exec_lo, s1
.LBB38_317:
	s_delay_alu instid0(SALU_CYCLE_1)
	s_or_b32 exec_lo, exec_lo, s4
	v_mov_b32_e32 v87, 0
	ds_load_b64 v[87:88], v87 offset:48
	s_waitcnt lgkmcnt(0)
	v_mul_f64 v[79:80], v[79:80], v[87:88]
	scratch_store_b64 off, v[79:80], off offset:48
.LBB38_318:
	s_or_b32 exec_lo, exec_lo, s2
	scratch_load_b64 v[79:80], off, off offset:40
	v_cmp_lt_u32_e64 s1, 5, v0
	s_waitcnt vmcnt(0)
	ds_store_b64 v82, v[79:80]
	s_waitcnt lgkmcnt(0)
	s_waitcnt_vscnt null, 0x0
	s_barrier
	buffer_gl0_inv
	s_and_saveexec_b32 s2, s1
	s_cbranch_execz .LBB38_328
; %bb.319:
	s_and_not1_b32 vcc_lo, exec_lo, s3
	s_cbranch_vccnz .LBB38_321
; %bb.320:
	scratch_load_b64 v[79:80], v83, off
	ds_load_b64 v[87:88], v82
	s_waitcnt vmcnt(0) lgkmcnt(0)
	v_mul_f64 v[79:80], v[79:80], v[87:88]
	s_cbranch_execz .LBB38_322
	s_branch .LBB38_323
.LBB38_321:
                                        ; implicit-def: $vgpr79_vgpr80
.LBB38_322:
	ds_load_b64 v[79:80], v82
.LBB38_323:
	s_and_saveexec_b32 s4, s0
	s_cbranch_execz .LBB38_327
; %bb.324:
	v_add_nc_u32_e32 v87, -6, v0
	s_movk_i32 s5, 0x170
	s_mov_b32 s0, 0
.LBB38_325:                             ; =>This Inner Loop Header: Depth=1
	scratch_load_b64 v[88:89], v86, off
	v_dual_mov_b32 v90, s5 :: v_dual_add_nc_u32 v87, -1, v87
	v_add_nc_u32_e32 v86, 8, v86
	s_add_i32 s5, s5, 8
	ds_load_b64 v[90:91], v90
	v_cmp_eq_u32_e32 vcc_lo, 0, v87
	s_or_b32 s0, vcc_lo, s0
	s_waitcnt vmcnt(0) lgkmcnt(0)
	v_fma_f64 v[79:80], v[88:89], v[90:91], v[79:80]
	s_and_not1_b32 exec_lo, exec_lo, s0
	s_cbranch_execnz .LBB38_325
; %bb.326:
	s_or_b32 exec_lo, exec_lo, s0
.LBB38_327:
	s_delay_alu instid0(SALU_CYCLE_1)
	s_or_b32 exec_lo, exec_lo, s4
	v_mov_b32_e32 v86, 0
	ds_load_b64 v[86:87], v86 offset:40
	s_waitcnt lgkmcnt(0)
	v_mul_f64 v[79:80], v[79:80], v[86:87]
	scratch_store_b64 off, v[79:80], off offset:40
.LBB38_328:
	s_or_b32 exec_lo, exec_lo, s2
	scratch_load_b64 v[79:80], off, off offset:32
	v_cmp_lt_u32_e64 s0, 4, v0
	s_waitcnt vmcnt(0)
	ds_store_b64 v82, v[79:80]
	s_waitcnt lgkmcnt(0)
	s_waitcnt_vscnt null, 0x0
	s_barrier
	buffer_gl0_inv
	s_and_saveexec_b32 s2, s0
	s_cbranch_execz .LBB38_338
; %bb.329:
	s_and_not1_b32 vcc_lo, exec_lo, s3
	s_cbranch_vccnz .LBB38_331
; %bb.330:
	scratch_load_b64 v[79:80], v83, off
	ds_load_b64 v[86:87], v82
	s_waitcnt vmcnt(0) lgkmcnt(0)
	v_mul_f64 v[79:80], v[79:80], v[86:87]
	s_cbranch_execz .LBB38_332
	s_branch .LBB38_333
.LBB38_331:
                                        ; implicit-def: $vgpr79_vgpr80
.LBB38_332:
	ds_load_b64 v[79:80], v82
.LBB38_333:
	s_and_saveexec_b32 s4, s1
	s_cbranch_execz .LBB38_337
; %bb.334:
	v_add_nc_u32_e64 v86, 0, 40
	v_add_nc_u32_e32 v87, -5, v0
	s_movk_i32 s5, 0x168
	s_mov_b32 s1, 0
.LBB38_335:                             ; =>This Inner Loop Header: Depth=1
	scratch_load_b64 v[88:89], v86, off
	v_dual_mov_b32 v90, s5 :: v_dual_add_nc_u32 v87, -1, v87
	v_add_nc_u32_e32 v86, 8, v86
	s_add_i32 s5, s5, 8
	ds_load_b64 v[90:91], v90
	v_cmp_eq_u32_e32 vcc_lo, 0, v87
	s_or_b32 s1, vcc_lo, s1
	s_waitcnt vmcnt(0) lgkmcnt(0)
	v_fma_f64 v[79:80], v[88:89], v[90:91], v[79:80]
	s_and_not1_b32 exec_lo, exec_lo, s1
	s_cbranch_execnz .LBB38_335
; %bb.336:
	s_or_b32 exec_lo, exec_lo, s1
.LBB38_337:
	s_delay_alu instid0(SALU_CYCLE_1)
	s_or_b32 exec_lo, exec_lo, s4
	v_mov_b32_e32 v86, 0
	ds_load_b64 v[86:87], v86 offset:32
	s_waitcnt lgkmcnt(0)
	v_mul_f64 v[79:80], v[79:80], v[86:87]
	scratch_store_b64 off, v[79:80], off offset:32
.LBB38_338:
	s_or_b32 exec_lo, exec_lo, s2
	scratch_load_b64 v[79:80], off, off offset:24
	v_cmp_lt_u32_e64 s1, 3, v0
	s_waitcnt vmcnt(0)
	ds_store_b64 v82, v[79:80]
	s_waitcnt lgkmcnt(0)
	s_waitcnt_vscnt null, 0x0
	s_barrier
	buffer_gl0_inv
	s_and_saveexec_b32 s2, s1
	s_cbranch_execz .LBB38_348
; %bb.339:
	s_and_not1_b32 vcc_lo, exec_lo, s3
	s_cbranch_vccnz .LBB38_341
; %bb.340:
	scratch_load_b64 v[79:80], v83, off
	ds_load_b64 v[86:87], v82
	s_waitcnt vmcnt(0) lgkmcnt(0)
	v_mul_f64 v[79:80], v[79:80], v[86:87]
	s_cbranch_execz .LBB38_342
	s_branch .LBB38_343
.LBB38_341:
                                        ; implicit-def: $vgpr79_vgpr80
.LBB38_342:
	ds_load_b64 v[79:80], v82
.LBB38_343:
	s_and_saveexec_b32 s4, s0
	s_cbranch_execz .LBB38_347
; %bb.344:
	v_add_nc_u32_e32 v86, -4, v0
	s_movk_i32 s5, 0x160
	s_mov_b32 s0, 0
.LBB38_345:                             ; =>This Inner Loop Header: Depth=1
	scratch_load_b64 v[87:88], v85, off
	v_dual_mov_b32 v89, s5 :: v_dual_add_nc_u32 v86, -1, v86
	v_add_nc_u32_e32 v85, 8, v85
	s_add_i32 s5, s5, 8
	ds_load_b64 v[89:90], v89
	v_cmp_eq_u32_e32 vcc_lo, 0, v86
	s_or_b32 s0, vcc_lo, s0
	s_waitcnt vmcnt(0) lgkmcnt(0)
	v_fma_f64 v[79:80], v[87:88], v[89:90], v[79:80]
	s_and_not1_b32 exec_lo, exec_lo, s0
	s_cbranch_execnz .LBB38_345
; %bb.346:
	s_or_b32 exec_lo, exec_lo, s0
.LBB38_347:
	s_delay_alu instid0(SALU_CYCLE_1)
	s_or_b32 exec_lo, exec_lo, s4
	v_mov_b32_e32 v85, 0
	ds_load_b64 v[85:86], v85 offset:24
	s_waitcnt lgkmcnt(0)
	v_mul_f64 v[79:80], v[79:80], v[85:86]
	scratch_store_b64 off, v[79:80], off offset:24
.LBB38_348:
	s_or_b32 exec_lo, exec_lo, s2
	scratch_load_b64 v[79:80], off, off offset:16
	v_cmp_lt_u32_e64 s0, 2, v0
	s_waitcnt vmcnt(0)
	ds_store_b64 v82, v[79:80]
	s_waitcnt lgkmcnt(0)
	s_waitcnt_vscnt null, 0x0
	s_barrier
	buffer_gl0_inv
	s_and_saveexec_b32 s2, s0
	s_cbranch_execz .LBB38_358
; %bb.349:
	s_and_not1_b32 vcc_lo, exec_lo, s3
	s_cbranch_vccnz .LBB38_351
; %bb.350:
	scratch_load_b64 v[79:80], v83, off
	ds_load_b64 v[85:86], v82
	s_waitcnt vmcnt(0) lgkmcnt(0)
	v_mul_f64 v[79:80], v[79:80], v[85:86]
	s_cbranch_execz .LBB38_352
	s_branch .LBB38_353
.LBB38_351:
                                        ; implicit-def: $vgpr79_vgpr80
.LBB38_352:
	ds_load_b64 v[79:80], v82
.LBB38_353:
	s_and_saveexec_b32 s4, s1
	s_cbranch_execz .LBB38_357
; %bb.354:
	v_add_nc_u32_e64 v85, 0, 24
	v_add_nc_u32_e32 v86, -3, v0
	s_movk_i32 s5, 0x158
	s_mov_b32 s1, 0
.LBB38_355:                             ; =>This Inner Loop Header: Depth=1
	scratch_load_b64 v[87:88], v85, off
	v_dual_mov_b32 v89, s5 :: v_dual_add_nc_u32 v86, -1, v86
	v_add_nc_u32_e32 v85, 8, v85
	s_add_i32 s5, s5, 8
	ds_load_b64 v[89:90], v89
	v_cmp_eq_u32_e32 vcc_lo, 0, v86
	s_or_b32 s1, vcc_lo, s1
	s_waitcnt vmcnt(0) lgkmcnt(0)
	v_fma_f64 v[79:80], v[87:88], v[89:90], v[79:80]
	s_and_not1_b32 exec_lo, exec_lo, s1
	s_cbranch_execnz .LBB38_355
; %bb.356:
	s_or_b32 exec_lo, exec_lo, s1
.LBB38_357:
	s_delay_alu instid0(SALU_CYCLE_1)
	s_or_b32 exec_lo, exec_lo, s4
	v_mov_b32_e32 v85, 0
	ds_load_b64 v[85:86], v85 offset:16
	s_waitcnt lgkmcnt(0)
	v_mul_f64 v[79:80], v[79:80], v[85:86]
	scratch_store_b64 off, v[79:80], off offset:16
.LBB38_358:
	s_or_b32 exec_lo, exec_lo, s2
	scratch_load_b64 v[79:80], off, off offset:8
	v_cmp_lt_u32_e64 s1, 1, v0
	s_waitcnt vmcnt(0)
	ds_store_b64 v82, v[79:80]
	s_waitcnt lgkmcnt(0)
	s_waitcnt_vscnt null, 0x0
	s_barrier
	buffer_gl0_inv
	s_and_saveexec_b32 s2, s1
	s_cbranch_execz .LBB38_368
; %bb.359:
	s_and_not1_b32 vcc_lo, exec_lo, s3
	s_cbranch_vccnz .LBB38_361
; %bb.360:
	scratch_load_b64 v[79:80], v83, off
	ds_load_b64 v[85:86], v82
	s_waitcnt vmcnt(0) lgkmcnt(0)
	v_mul_f64 v[79:80], v[79:80], v[85:86]
	s_cbranch_execz .LBB38_362
	s_branch .LBB38_363
.LBB38_361:
                                        ; implicit-def: $vgpr79_vgpr80
.LBB38_362:
	ds_load_b64 v[79:80], v82
.LBB38_363:
	s_and_saveexec_b32 s4, s0
	s_cbranch_execz .LBB38_367
; %bb.364:
	v_add_nc_u32_e32 v85, -2, v0
	s_movk_i32 s5, 0x150
	s_mov_b32 s0, 0
.LBB38_365:                             ; =>This Inner Loop Header: Depth=1
	scratch_load_b64 v[86:87], v84, off
	v_dual_mov_b32 v88, s5 :: v_dual_add_nc_u32 v85, -1, v85
	v_add_nc_u32_e32 v84, 8, v84
	s_add_i32 s5, s5, 8
	ds_load_b64 v[88:89], v88
	v_cmp_eq_u32_e32 vcc_lo, 0, v85
	s_or_b32 s0, vcc_lo, s0
	s_waitcnt vmcnt(0) lgkmcnt(0)
	v_fma_f64 v[79:80], v[86:87], v[88:89], v[79:80]
	s_and_not1_b32 exec_lo, exec_lo, s0
	s_cbranch_execnz .LBB38_365
; %bb.366:
	s_or_b32 exec_lo, exec_lo, s0
.LBB38_367:
	s_delay_alu instid0(SALU_CYCLE_1)
	s_or_b32 exec_lo, exec_lo, s4
	v_mov_b32_e32 v84, 0
	ds_load_b64 v[84:85], v84 offset:8
	s_waitcnt lgkmcnt(0)
	v_mul_f64 v[79:80], v[79:80], v[84:85]
	scratch_store_b64 off, v[79:80], off offset:8
.LBB38_368:
	s_or_b32 exec_lo, exec_lo, s2
	scratch_load_b64 v[79:80], off, off
	s_mov_b32 s0, 0
	s_mov_b32 s2, exec_lo
	s_waitcnt vmcnt(0)
	ds_store_b64 v82, v[79:80]
	s_waitcnt lgkmcnt(0)
	s_waitcnt_vscnt null, 0x0
	s_barrier
	buffer_gl0_inv
	v_cmpx_ne_u32_e32 0, v0
	s_cbranch_execz .LBB38_378
; %bb.369:
	s_and_not1_b32 vcc_lo, exec_lo, s3
	s_cbranch_vccnz .LBB38_371
; %bb.370:
	scratch_load_b64 v[79:80], v83, off
	ds_load_b64 v[84:85], v82
	s_waitcnt vmcnt(0) lgkmcnt(0)
	v_mul_f64 v[79:80], v[79:80], v[84:85]
	s_cbranch_execz .LBB38_372
	s_branch .LBB38_373
.LBB38_371:
                                        ; implicit-def: $vgpr79_vgpr80
.LBB38_372:
	ds_load_b64 v[79:80], v82
.LBB38_373:
	s_and_saveexec_b32 s4, s1
	s_cbranch_execz .LBB38_377
; %bb.374:
	v_or_b32_e64 v84, 0, 8
	v_add_nc_u32_e32 v85, -1, v0
	s_movk_i32 s5, 0x148
	s_mov_b32 s1, 0
.LBB38_375:                             ; =>This Inner Loop Header: Depth=1
	scratch_load_b64 v[86:87], v84, off
	v_dual_mov_b32 v88, s5 :: v_dual_add_nc_u32 v85, -1, v85
	v_add_nc_u32_e32 v84, 8, v84
	s_add_i32 s5, s5, 8
	ds_load_b64 v[88:89], v88
	v_cmp_eq_u32_e32 vcc_lo, 0, v85
	s_or_b32 s1, vcc_lo, s1
	s_waitcnt vmcnt(0) lgkmcnt(0)
	v_fma_f64 v[79:80], v[86:87], v[88:89], v[79:80]
	s_and_not1_b32 exec_lo, exec_lo, s1
	s_cbranch_execnz .LBB38_375
; %bb.376:
	s_or_b32 exec_lo, exec_lo, s1
.LBB38_377:
	s_delay_alu instid0(SALU_CYCLE_1)
	s_or_b32 exec_lo, exec_lo, s4
	v_mov_b32_e32 v84, 0
	ds_load_b64 v[84:85], v84
	s_waitcnt lgkmcnt(0)
	v_mul_f64 v[79:80], v[79:80], v[84:85]
	scratch_store_b64 off, v[79:80], off
.LBB38_378:
	s_or_b32 exec_lo, exec_lo, s2
.LBB38_379:
	s_delay_alu instid0(SALU_CYCLE_1)
	s_and_b32 vcc_lo, exec_lo, s0
	s_cbranch_vccz .LBB38_755
; %bb.380:
	scratch_load_b64 v[79:80], off, off offset:8
	v_cmp_eq_u32_e64 s0, 0, v0
	s_waitcnt vmcnt(0)
	ds_store_b64 v82, v[79:80]
	s_waitcnt lgkmcnt(0)
	s_waitcnt_vscnt null, 0x0
	s_barrier
	buffer_gl0_inv
	s_and_saveexec_b32 s1, s0
	s_cbranch_execz .LBB38_386
; %bb.381:
	s_and_b32 vcc_lo, exec_lo, s3
	s_cbranch_vccz .LBB38_383
; %bb.382:
	scratch_load_b64 v[79:80], v83, off
	ds_load_b64 v[84:85], v82
	s_waitcnt vmcnt(0) lgkmcnt(0)
	v_mul_f64 v[79:80], v[79:80], v[84:85]
	s_cbranch_execz .LBB38_384
	s_branch .LBB38_385
.LBB38_383:
                                        ; implicit-def: $vgpr79_vgpr80
.LBB38_384:
	ds_load_b64 v[79:80], v82
.LBB38_385:
	v_mov_b32_e32 v84, 0
	ds_load_b64 v[84:85], v84 offset:8
	s_waitcnt lgkmcnt(0)
	v_mul_f64 v[79:80], v[79:80], v[84:85]
	scratch_store_b64 off, v[79:80], off offset:8
.LBB38_386:
	s_or_b32 exec_lo, exec_lo, s1
	scratch_load_b64 v[79:80], off, off offset:16
	v_cndmask_b32_e64 v84, 0, 1, s3
	s_mov_b32 s1, exec_lo
	s_waitcnt vmcnt(0)
	ds_store_b64 v82, v[79:80]
	s_waitcnt lgkmcnt(0)
	s_waitcnt_vscnt null, 0x0
	s_barrier
	buffer_gl0_inv
	v_cmpx_gt_u32_e32 2, v0
	s_cbranch_execz .LBB38_394
; %bb.387:
	s_and_not1_b32 vcc_lo, exec_lo, s3
	s_cbranch_vccnz .LBB38_389
; %bb.388:
	scratch_load_b64 v[79:80], v83, off
	ds_load_b64 v[85:86], v82
	s_waitcnt vmcnt(0) lgkmcnt(0)
	v_mul_f64 v[79:80], v[79:80], v[85:86]
	s_cbranch_execz .LBB38_390
	s_branch .LBB38_391
.LBB38_389:
                                        ; implicit-def: $vgpr79_vgpr80
.LBB38_390:
	ds_load_b64 v[79:80], v82
.LBB38_391:
	s_and_saveexec_b32 s2, s0
	s_cbranch_execz .LBB38_393
; %bb.392:
	scratch_load_b64 v[85:86], v83, off offset:8
	ds_load_b64 v[87:88], v82 offset:8
	s_waitcnt vmcnt(0) lgkmcnt(0)
	v_fma_f64 v[79:80], v[85:86], v[87:88], v[79:80]
.LBB38_393:
	s_or_b32 exec_lo, exec_lo, s2
	v_mov_b32_e32 v85, 0
	ds_load_b64 v[85:86], v85 offset:16
	s_waitcnt lgkmcnt(0)
	v_mul_f64 v[79:80], v[79:80], v[85:86]
	scratch_store_b64 off, v[79:80], off offset:16
.LBB38_394:
	s_or_b32 exec_lo, exec_lo, s1
	scratch_load_b64 v[79:80], off, off offset:24
	s_mov_b32 s1, exec_lo
	s_waitcnt vmcnt(0)
	ds_store_b64 v82, v[79:80]
	s_waitcnt lgkmcnt(0)
	s_waitcnt_vscnt null, 0x0
	s_barrier
	buffer_gl0_inv
	v_cmpx_gt_u32_e32 3, v0
	s_cbranch_execz .LBB38_404
; %bb.395:
	v_cmp_ne_u32_e32 vcc_lo, 1, v84
	s_cbranch_vccnz .LBB38_397
; %bb.396:
	scratch_load_b64 v[79:80], v83, off
	ds_load_b64 v[85:86], v82
	s_waitcnt vmcnt(0) lgkmcnt(0)
	v_mul_f64 v[79:80], v[79:80], v[85:86]
	s_cbranch_execz .LBB38_398
	s_branch .LBB38_399
.LBB38_397:
                                        ; implicit-def: $vgpr79_vgpr80
.LBB38_398:
	ds_load_b64 v[79:80], v82
.LBB38_399:
	s_mov_b32 s2, exec_lo
	v_cmpx_ne_u32_e32 2, v0
	s_cbranch_execz .LBB38_403
; %bb.400:
	scratch_load_b64 v[85:86], v83, off offset:8
	ds_load_b64 v[87:88], v82 offset:8
	s_waitcnt vmcnt(0) lgkmcnt(0)
	v_fma_f64 v[79:80], v[85:86], v[87:88], v[79:80]
	s_and_saveexec_b32 s3, s0
	s_cbranch_execz .LBB38_402
; %bb.401:
	scratch_load_b64 v[85:86], off, off offset:16
	v_mov_b32_e32 v87, 0
	ds_load_b64 v[87:88], v87 offset:336
	s_waitcnt vmcnt(0) lgkmcnt(0)
	v_fma_f64 v[79:80], v[85:86], v[87:88], v[79:80]
.LBB38_402:
	s_or_b32 exec_lo, exec_lo, s3
.LBB38_403:
	s_delay_alu instid0(SALU_CYCLE_1)
	s_or_b32 exec_lo, exec_lo, s2
	v_mov_b32_e32 v85, 0
	ds_load_b64 v[85:86], v85 offset:24
	s_waitcnt lgkmcnt(0)
	v_mul_f64 v[79:80], v[79:80], v[85:86]
	scratch_store_b64 off, v[79:80], off offset:24
.LBB38_404:
	s_or_b32 exec_lo, exec_lo, s1
	scratch_load_b64 v[79:80], off, off offset:32
	s_mov_b32 s0, exec_lo
	s_waitcnt vmcnt(0)
	ds_store_b64 v82, v[79:80]
	s_waitcnt lgkmcnt(0)
	s_waitcnt_vscnt null, 0x0
	s_barrier
	buffer_gl0_inv
	v_cmpx_gt_u32_e32 4, v0
	s_cbranch_execz .LBB38_414
; %bb.405:
	v_cmp_ne_u32_e32 vcc_lo, 1, v84
	s_cbranch_vccnz .LBB38_407
; %bb.406:
	scratch_load_b64 v[79:80], v83, off
	ds_load_b64 v[85:86], v82
	s_waitcnt vmcnt(0) lgkmcnt(0)
	v_mul_f64 v[79:80], v[79:80], v[85:86]
	s_cbranch_execz .LBB38_408
	s_branch .LBB38_409
.LBB38_407:
                                        ; implicit-def: $vgpr79_vgpr80
.LBB38_408:
	ds_load_b64 v[79:80], v82
.LBB38_409:
	s_mov_b32 s1, exec_lo
	v_cmpx_ne_u32_e32 3, v0
	s_cbranch_execz .LBB38_413
; %bb.410:
	v_add_nc_u32_e32 v85, 0x148, v81
	v_add3_u32 v86, 0, v81, 8
	v_mov_b32_e32 v87, v0
	s_mov_b32 s2, 0
.LBB38_411:                             ; =>This Inner Loop Header: Depth=1
	scratch_load_b64 v[88:89], v86, off
	ds_load_b64 v[90:91], v85
	v_add_nc_u32_e32 v87, 1, v87
	v_add_nc_u32_e32 v85, 8, v85
	v_add_nc_u32_e32 v86, 8, v86
	s_delay_alu instid0(VALU_DEP_3)
	v_cmp_lt_u32_e32 vcc_lo, 2, v87
	s_or_b32 s2, vcc_lo, s2
	s_waitcnt vmcnt(0) lgkmcnt(0)
	v_fma_f64 v[79:80], v[88:89], v[90:91], v[79:80]
	s_and_not1_b32 exec_lo, exec_lo, s2
	s_cbranch_execnz .LBB38_411
; %bb.412:
	s_or_b32 exec_lo, exec_lo, s2
.LBB38_413:
	s_delay_alu instid0(SALU_CYCLE_1)
	s_or_b32 exec_lo, exec_lo, s1
	v_mov_b32_e32 v85, 0
	ds_load_b64 v[85:86], v85 offset:32
	s_waitcnt lgkmcnt(0)
	v_mul_f64 v[79:80], v[79:80], v[85:86]
	scratch_store_b64 off, v[79:80], off offset:32
.LBB38_414:
	s_or_b32 exec_lo, exec_lo, s0
	scratch_load_b64 v[79:80], off, off offset:40
	s_mov_b32 s0, exec_lo
	s_waitcnt vmcnt(0)
	ds_store_b64 v82, v[79:80]
	s_waitcnt lgkmcnt(0)
	s_waitcnt_vscnt null, 0x0
	s_barrier
	buffer_gl0_inv
	v_cmpx_gt_u32_e32 5, v0
	s_cbranch_execz .LBB38_424
; %bb.415:
	v_cmp_ne_u32_e32 vcc_lo, 1, v84
	s_cbranch_vccnz .LBB38_417
; %bb.416:
	scratch_load_b64 v[79:80], v83, off
	ds_load_b64 v[85:86], v82
	s_waitcnt vmcnt(0) lgkmcnt(0)
	v_mul_f64 v[79:80], v[79:80], v[85:86]
	s_cbranch_execz .LBB38_418
	s_branch .LBB38_419
.LBB38_417:
                                        ; implicit-def: $vgpr79_vgpr80
.LBB38_418:
	ds_load_b64 v[79:80], v82
.LBB38_419:
	s_mov_b32 s1, exec_lo
	v_cmpx_ne_u32_e32 4, v0
	s_cbranch_execz .LBB38_423
; %bb.420:
	v_add_nc_u32_e32 v85, 0x148, v81
	v_add3_u32 v86, 0, v81, 8
	v_mov_b32_e32 v87, v0
	s_mov_b32 s2, 0
.LBB38_421:                             ; =>This Inner Loop Header: Depth=1
	scratch_load_b64 v[88:89], v86, off
	ds_load_b64 v[90:91], v85
	v_add_nc_u32_e32 v87, 1, v87
	v_add_nc_u32_e32 v85, 8, v85
	v_add_nc_u32_e32 v86, 8, v86
	s_delay_alu instid0(VALU_DEP_3)
	v_cmp_lt_u32_e32 vcc_lo, 3, v87
	s_or_b32 s2, vcc_lo, s2
	s_waitcnt vmcnt(0) lgkmcnt(0)
	v_fma_f64 v[79:80], v[88:89], v[90:91], v[79:80]
	s_and_not1_b32 exec_lo, exec_lo, s2
	s_cbranch_execnz .LBB38_421
; %bb.422:
	s_or_b32 exec_lo, exec_lo, s2
.LBB38_423:
	s_delay_alu instid0(SALU_CYCLE_1)
	s_or_b32 exec_lo, exec_lo, s1
	v_mov_b32_e32 v85, 0
	ds_load_b64 v[85:86], v85 offset:40
	s_waitcnt lgkmcnt(0)
	v_mul_f64 v[79:80], v[79:80], v[85:86]
	scratch_store_b64 off, v[79:80], off offset:40
.LBB38_424:
	;; [unrolled: 58-line block ×33, first 2 shown]
	s_or_b32 exec_lo, exec_lo, s0
	scratch_load_b64 v[79:80], off, off offset:296
	v_cmp_gt_u32_e64 s0, 37, v0
	s_waitcnt vmcnt(0)
	ds_store_b64 v82, v[79:80]
	s_waitcnt lgkmcnt(0)
	s_waitcnt_vscnt null, 0x0
	s_barrier
	buffer_gl0_inv
	s_and_saveexec_b32 s1, s0
	s_cbranch_execz .LBB38_744
; %bb.735:
	v_cmp_ne_u32_e32 vcc_lo, 1, v84
	s_cbranch_vccnz .LBB38_737
; %bb.736:
	scratch_load_b64 v[79:80], v83, off
	ds_load_b64 v[85:86], v82
	s_waitcnt vmcnt(0) lgkmcnt(0)
	v_mul_f64 v[79:80], v[79:80], v[85:86]
	s_cbranch_execz .LBB38_738
	s_branch .LBB38_739
.LBB38_737:
                                        ; implicit-def: $vgpr79_vgpr80
.LBB38_738:
	ds_load_b64 v[79:80], v82
.LBB38_739:
	s_mov_b32 s2, exec_lo
	v_cmpx_ne_u32_e32 36, v0
	s_cbranch_execz .LBB38_743
; %bb.740:
	v_add_nc_u32_e32 v85, 0x148, v81
	v_add3_u32 v86, 0, v81, 8
	v_mov_b32_e32 v87, v0
	s_mov_b32 s3, 0
.LBB38_741:                             ; =>This Inner Loop Header: Depth=1
	scratch_load_b64 v[88:89], v86, off
	ds_load_b64 v[90:91], v85
	v_add_nc_u32_e32 v87, 1, v87
	v_add_nc_u32_e32 v85, 8, v85
	;; [unrolled: 1-line block ×3, first 2 shown]
	s_delay_alu instid0(VALU_DEP_3)
	v_cmp_lt_u32_e32 vcc_lo, 35, v87
	s_or_b32 s3, vcc_lo, s3
	s_waitcnt vmcnt(0) lgkmcnt(0)
	v_fma_f64 v[79:80], v[88:89], v[90:91], v[79:80]
	s_and_not1_b32 exec_lo, exec_lo, s3
	s_cbranch_execnz .LBB38_741
; %bb.742:
	s_or_b32 exec_lo, exec_lo, s3
.LBB38_743:
	s_delay_alu instid0(SALU_CYCLE_1)
	s_or_b32 exec_lo, exec_lo, s2
	v_mov_b32_e32 v85, 0
	ds_load_b64 v[85:86], v85 offset:296
	s_waitcnt lgkmcnt(0)
	v_mul_f64 v[79:80], v[79:80], v[85:86]
	scratch_store_b64 off, v[79:80], off offset:296
.LBB38_744:
	s_or_b32 exec_lo, exec_lo, s1
	scratch_load_b64 v[79:80], off, off offset:304
	s_mov_b32 s1, exec_lo
	s_waitcnt vmcnt(0)
	ds_store_b64 v82, v[79:80]
	s_waitcnt lgkmcnt(0)
	s_waitcnt_vscnt null, 0x0
	s_barrier
	buffer_gl0_inv
	v_cmpx_ne_u32_e32 38, v0
	s_cbranch_execz .LBB38_754
; %bb.745:
	v_cmp_ne_u32_e32 vcc_lo, 1, v84
	s_cbranch_vccnz .LBB38_747
; %bb.746:
	scratch_load_b64 v[79:80], v83, off
	ds_load_b64 v[83:84], v82
	s_waitcnt vmcnt(0) lgkmcnt(0)
	v_mul_f64 v[79:80], v[79:80], v[83:84]
	s_cbranch_execz .LBB38_748
	s_branch .LBB38_749
.LBB38_747:
                                        ; implicit-def: $vgpr79_vgpr80
.LBB38_748:
	ds_load_b64 v[79:80], v82
.LBB38_749:
	s_and_saveexec_b32 s2, s0
	s_cbranch_execz .LBB38_753
; %bb.750:
	v_add_nc_u32_e32 v82, 0x148, v81
	v_add3_u32 v81, 0, v81, 8
	s_mov_b32 s0, 0
.LBB38_751:                             ; =>This Inner Loop Header: Depth=1
	scratch_load_b64 v[83:84], v81, off
	ds_load_b64 v[85:86], v82
	v_add_nc_u32_e32 v0, 1, v0
	v_add_nc_u32_e32 v82, 8, v82
	;; [unrolled: 1-line block ×3, first 2 shown]
	s_delay_alu instid0(VALU_DEP_3)
	v_cmp_lt_u32_e32 vcc_lo, 36, v0
	s_or_b32 s0, vcc_lo, s0
	s_waitcnt vmcnt(0) lgkmcnt(0)
	v_fma_f64 v[79:80], v[83:84], v[85:86], v[79:80]
	s_and_not1_b32 exec_lo, exec_lo, s0
	s_cbranch_execnz .LBB38_751
; %bb.752:
	s_or_b32 exec_lo, exec_lo, s0
.LBB38_753:
	s_delay_alu instid0(SALU_CYCLE_1)
	s_or_b32 exec_lo, exec_lo, s2
	v_mov_b32_e32 v0, 0
	ds_load_b64 v[81:82], v0 offset:304
	s_waitcnt lgkmcnt(0)
	v_mul_f64 v[79:80], v[79:80], v[81:82]
	scratch_store_b64 off, v[79:80], off offset:304
.LBB38_754:
	s_or_b32 exec_lo, exec_lo, s1
.LBB38_755:
	s_clause 0xa
	scratch_load_b128 v[79:82], off, off
	scratch_load_b128 v[83:86], off, off offset:16
	scratch_load_b128 v[87:90], off, off offset:32
	;; [unrolled: 1-line block ×10, first 2 shown]
	s_waitcnt vmcnt(10)
	s_clause 0x1
	global_store_b64 v[3:4], v[79:80], off
	global_store_b64 v[1:2], v[81:82], off
	s_waitcnt vmcnt(9)
	s_clause 0x1
	global_store_b64 v[9:10], v[83:84], off
	global_store_b64 v[17:18], v[85:86], off
	;; [unrolled: 4-line block ×4, first 2 shown]
	scratch_load_b128 v[23:26], off, off offset:256
	s_waitcnt vmcnt(7)
	s_clause 0x1
	global_store_b64 v[19:20], v[95:96], off
	global_store_b64 v[13:14], v[97:98], off
	s_clause 0x7
	scratch_load_b128 v[0:3], off, off offset:160
	scratch_load_b128 v[79:82], off, off offset:176
	;; [unrolled: 1-line block ×7, first 2 shown]
	scratch_load_b64 v[4:5], off, off offset:304
	s_waitcnt vmcnt(14)
	s_clause 0x1
	global_store_b64 v[7:8], v[99:100], off
	global_store_b64 v[15:16], v[101:102], off
	s_waitcnt vmcnt(13)
	s_clause 0x1
	global_store_b64 v[21:22], v[103:104], off
	global_store_b64 v[27:28], v[105:106], off
	;; [unrolled: 4-line block ×10, first 2 shown]
	global_store_b64 v[63:64], v[119:120], off
	global_store_b64 v[65:66], v[121:122], off
	;; [unrolled: 1-line block ×4, first 2 shown]
	s_waitcnt vmcnt(2)
	s_clause 0x1
	global_store_b64 v[71:72], v[17:18], off
	global_store_b64 v[73:74], v[19:20], off
	s_waitcnt vmcnt(1)
	s_clause 0x1
	global_store_b64 v[75:76], v[91:92], off
	global_store_b64 v[77:78], v[93:94], off
	s_waitcnt vmcnt(0)
	global_store_b64 v[31:32], v[4:5], off
.LBB38_756:
	s_endpgm
	.section	.rodata,"a",@progbits
	.p2align	6, 0x0
	.amdhsa_kernel _ZN9rocsolver6v33100L18trti2_kernel_smallILi39EdPdEEv13rocblas_fill_17rocblas_diagonal_T1_iil
		.amdhsa_group_segment_fixed_size 632
		.amdhsa_private_segment_fixed_size 320
		.amdhsa_kernarg_size 32
		.amdhsa_user_sgpr_count 15
		.amdhsa_user_sgpr_dispatch_ptr 0
		.amdhsa_user_sgpr_queue_ptr 0
		.amdhsa_user_sgpr_kernarg_segment_ptr 1
		.amdhsa_user_sgpr_dispatch_id 0
		.amdhsa_user_sgpr_private_segment_size 0
		.amdhsa_wavefront_size32 1
		.amdhsa_uses_dynamic_stack 0
		.amdhsa_enable_private_segment 1
		.amdhsa_system_sgpr_workgroup_id_x 1
		.amdhsa_system_sgpr_workgroup_id_y 0
		.amdhsa_system_sgpr_workgroup_id_z 0
		.amdhsa_system_sgpr_workgroup_info 0
		.amdhsa_system_vgpr_workitem_id 0
		.amdhsa_next_free_vgpr 124
		.amdhsa_next_free_sgpr 17
		.amdhsa_reserve_vcc 1
		.amdhsa_float_round_mode_32 0
		.amdhsa_float_round_mode_16_64 0
		.amdhsa_float_denorm_mode_32 3
		.amdhsa_float_denorm_mode_16_64 3
		.amdhsa_dx10_clamp 1
		.amdhsa_ieee_mode 1
		.amdhsa_fp16_overflow 0
		.amdhsa_workgroup_processor_mode 1
		.amdhsa_memory_ordered 1
		.amdhsa_forward_progress 0
		.amdhsa_shared_vgpr_count 0
		.amdhsa_exception_fp_ieee_invalid_op 0
		.amdhsa_exception_fp_denorm_src 0
		.amdhsa_exception_fp_ieee_div_zero 0
		.amdhsa_exception_fp_ieee_overflow 0
		.amdhsa_exception_fp_ieee_underflow 0
		.amdhsa_exception_fp_ieee_inexact 0
		.amdhsa_exception_int_div_zero 0
	.end_amdhsa_kernel
	.section	.text._ZN9rocsolver6v33100L18trti2_kernel_smallILi39EdPdEEv13rocblas_fill_17rocblas_diagonal_T1_iil,"axG",@progbits,_ZN9rocsolver6v33100L18trti2_kernel_smallILi39EdPdEEv13rocblas_fill_17rocblas_diagonal_T1_iil,comdat
.Lfunc_end38:
	.size	_ZN9rocsolver6v33100L18trti2_kernel_smallILi39EdPdEEv13rocblas_fill_17rocblas_diagonal_T1_iil, .Lfunc_end38-_ZN9rocsolver6v33100L18trti2_kernel_smallILi39EdPdEEv13rocblas_fill_17rocblas_diagonal_T1_iil
                                        ; -- End function
	.section	.AMDGPU.csdata,"",@progbits
; Kernel info:
; codeLenInByte = 21196
; NumSgprs: 19
; NumVgprs: 124
; ScratchSize: 320
; MemoryBound: 0
; FloatMode: 240
; IeeeMode: 1
; LDSByteSize: 632 bytes/workgroup (compile time only)
; SGPRBlocks: 2
; VGPRBlocks: 15
; NumSGPRsForWavesPerEU: 19
; NumVGPRsForWavesPerEU: 124
; Occupancy: 10
; WaveLimiterHint : 0
; COMPUTE_PGM_RSRC2:SCRATCH_EN: 1
; COMPUTE_PGM_RSRC2:USER_SGPR: 15
; COMPUTE_PGM_RSRC2:TRAP_HANDLER: 0
; COMPUTE_PGM_RSRC2:TGID_X_EN: 1
; COMPUTE_PGM_RSRC2:TGID_Y_EN: 0
; COMPUTE_PGM_RSRC2:TGID_Z_EN: 0
; COMPUTE_PGM_RSRC2:TIDIG_COMP_CNT: 0
	.section	.text._ZN9rocsolver6v33100L18trti2_kernel_smallILi40EdPdEEv13rocblas_fill_17rocblas_diagonal_T1_iil,"axG",@progbits,_ZN9rocsolver6v33100L18trti2_kernel_smallILi40EdPdEEv13rocblas_fill_17rocblas_diagonal_T1_iil,comdat
	.globl	_ZN9rocsolver6v33100L18trti2_kernel_smallILi40EdPdEEv13rocblas_fill_17rocblas_diagonal_T1_iil ; -- Begin function _ZN9rocsolver6v33100L18trti2_kernel_smallILi40EdPdEEv13rocblas_fill_17rocblas_diagonal_T1_iil
	.p2align	8
	.type	_ZN9rocsolver6v33100L18trti2_kernel_smallILi40EdPdEEv13rocblas_fill_17rocblas_diagonal_T1_iil,@function
_ZN9rocsolver6v33100L18trti2_kernel_smallILi40EdPdEEv13rocblas_fill_17rocblas_diagonal_T1_iil: ; @_ZN9rocsolver6v33100L18trti2_kernel_smallILi40EdPdEEv13rocblas_fill_17rocblas_diagonal_T1_iil
; %bb.0:
	s_mov_b32 s2, exec_lo
	v_cmpx_gt_u32_e32 40, v0
	s_cbranch_execz .LBB39_776
; %bb.1:
	s_load_b256 s[0:7], s[0:1], 0x0
	s_ashr_i32 s10, s15, 31
	v_lshlrev_b32_e32 v83, 3, v0
	s_waitcnt lgkmcnt(0)
	s_ashr_i32 s9, s4, 31
	s_mov_b32 s8, s4
	s_mul_i32 s4, s15, s7
	s_mul_hi_u32 s7, s15, s6
	s_mul_i32 s10, s10, s6
	s_add_i32 s4, s7, s4
	v_add3_u32 v9, s5, s5, v0
	s_mul_i32 s6, s15, s6
	s_add_i32 s7, s4, s10
	s_mov_b32 s10, s5
	s_lshl_b64 s[6:7], s[6:7], 3
	v_add_nc_u32_e32 v13, s5, v9
	s_add_u32 s4, s2, s6
	s_addc_u32 s6, s3, s7
	s_lshl_b64 s[2:3], s[8:9], 3
	v_ashrrev_i32_e32 v10, 31, v9
	s_add_u32 s2, s4, s2
	s_addc_u32 s3, s6, s3
	v_add_co_u32 v7, s4, s2, v83
	v_ashrrev_i32_e32 v14, 31, v13
	v_add_nc_u32_e32 v12, s5, v13
	s_ashr_i32 s11, s5, 31
	v_add_co_ci_u32_e64 v8, null, s3, 0, s4
	v_lshlrev_b64 v[15:16], 3, v[9:10]
	s_lshl_b64 s[6:7], s[10:11], 3
	v_lshlrev_b64 v[9:10], 3, v[13:14]
	v_add_co_u32 v5, vcc_lo, v7, s6
	v_add_nc_u32_e32 v11, s5, v12
	v_ashrrev_i32_e32 v13, 31, v12
	v_add_co_ci_u32_e32 v6, vcc_lo, s7, v8, vcc_lo
	v_add_co_u32 v19, vcc_lo, s2, v15
	v_add_co_ci_u32_e32 v20, vcc_lo, s3, v16, vcc_lo
	s_delay_alu instid0(VALU_DEP_4)
	v_lshlrev_b64 v[15:16], 3, v[12:13]
	v_ashrrev_i32_e32 v12, 31, v11
	v_add_co_u32 v25, vcc_lo, s2, v9
	s_clause 0x1
	global_load_b64 v[1:2], v83, s[2:3]
	global_load_b64 v[3:4], v[5:6], off
	v_add_co_ci_u32_e32 v26, vcc_lo, s3, v10, vcc_lo
	v_lshlrev_b64 v[9:10], 3, v[11:12]
	v_add_nc_u32_e32 v14, s5, v11
	v_add_co_u32 v17, vcc_lo, s2, v15
	v_add_co_ci_u32_e32 v18, vcc_lo, s3, v16, vcc_lo
	s_delay_alu instid0(VALU_DEP_4) | instskip(NEXT) | instid1(VALU_DEP_4)
	v_add_co_u32 v11, vcc_lo, s2, v9
	v_add_nc_u32_e32 v9, s5, v14
	v_ashrrev_i32_e32 v15, 31, v14
	v_add_co_ci_u32_e32 v12, vcc_lo, s3, v10, vcc_lo
	s_clause 0x3
	global_load_b64 v[43:44], v[19:20], off
	global_load_b64 v[45:46], v[25:26], off
	;; [unrolled: 1-line block ×4, first 2 shown]
	v_ashrrev_i32_e32 v10, 31, v9
	v_add_nc_u32_e32 v23, s5, v9
	v_lshlrev_b64 v[13:14], 3, v[14:15]
	s_cmpk_lg_i32 s1, 0x84
	s_delay_alu instid0(VALU_DEP_3) | instskip(NEXT) | instid1(VALU_DEP_3)
	v_lshlrev_b64 v[9:10], 3, v[9:10]
	v_add_nc_u32_e32 v27, s5, v23
	v_ashrrev_i32_e32 v24, 31, v23
	s_delay_alu instid0(VALU_DEP_4)
	v_add_co_u32 v21, vcc_lo, s2, v13
	v_add_co_ci_u32_e32 v22, vcc_lo, s3, v14, vcc_lo
	v_add_co_u32 v13, vcc_lo, s2, v9
	v_ashrrev_i32_e32 v28, 31, v27
	v_add_co_ci_u32_e32 v14, vcc_lo, s3, v10, vcc_lo
	v_lshlrev_b64 v[9:10], 3, v[23:24]
	s_clause 0x1
	global_load_b64 v[51:52], v[21:22], off
	global_load_b64 v[53:54], v[13:14], off
	v_lshlrev_b64 v[23:24], 3, v[27:28]
	v_add_co_u32 v15, vcc_lo, s2, v9
	v_add_co_ci_u32_e32 v16, vcc_lo, s3, v10, vcc_lo
	s_delay_alu instid0(VALU_DEP_3) | instskip(NEXT) | instid1(VALU_DEP_4)
	v_add_co_u32 v9, vcc_lo, s2, v23
	v_add_co_ci_u32_e32 v10, vcc_lo, s3, v24, vcc_lo
	s_clause 0x1
	global_load_b64 v[55:56], v[15:16], off
	global_load_b64 v[57:58], v[9:10], off
	v_add_nc_u32_e32 v23, s5, v27
	s_delay_alu instid0(VALU_DEP_1) | instskip(SKIP_1) | instid1(VALU_DEP_2)
	v_add_nc_u32_e32 v27, s5, v23
	v_ashrrev_i32_e32 v24, 31, v23
	v_add_nc_u32_e32 v29, s5, v27
	v_ashrrev_i32_e32 v28, 31, v27
	s_delay_alu instid0(VALU_DEP_3) | instskip(NEXT) | instid1(VALU_DEP_3)
	v_lshlrev_b64 v[23:24], 3, v[23:24]
	v_add_nc_u32_e32 v31, s5, v29
	v_ashrrev_i32_e32 v30, 31, v29
	s_delay_alu instid0(VALU_DEP_4) | instskip(NEXT) | instid1(VALU_DEP_4)
	v_lshlrev_b64 v[27:28], 3, v[27:28]
	v_add_co_u32 v33, vcc_lo, s2, v23
	s_delay_alu instid0(VALU_DEP_4) | instskip(SKIP_3) | instid1(VALU_DEP_4)
	v_add_nc_u32_e32 v35, s5, v31
	v_add_co_ci_u32_e32 v34, vcc_lo, s3, v24, vcc_lo
	v_lshlrev_b64 v[23:24], 3, v[29:30]
	v_add_co_u32 v29, vcc_lo, s2, v27
	v_add_nc_u32_e32 v37, s5, v35
	v_ashrrev_i32_e32 v36, 31, v35
	v_add_co_ci_u32_e32 v30, vcc_lo, s3, v28, vcc_lo
	v_add_co_u32 v27, vcc_lo, s2, v23
	s_delay_alu instid0(VALU_DEP_4) | instskip(SKIP_3) | instid1(VALU_DEP_4)
	v_add_nc_u32_e32 v39, s5, v37
	v_ashrrev_i32_e32 v32, 31, v31
	v_add_co_ci_u32_e32 v28, vcc_lo, s3, v24, vcc_lo
	v_lshlrev_b64 v[23:24], 3, v[35:36]
	v_add_nc_u32_e32 v41, s5, v39
	s_delay_alu instid0(VALU_DEP_4)
	v_lshlrev_b64 v[31:32], 3, v[31:32]
	v_ashrrev_i32_e32 v38, 31, v37
	v_ashrrev_i32_e32 v40, 31, v39
	s_clause 0x2
	global_load_b64 v[59:60], v[33:34], off
	global_load_b64 v[61:62], v[29:30], off
	;; [unrolled: 1-line block ×3, first 2 shown]
	v_add_nc_u32_e32 v71, s5, v41
	v_ashrrev_i32_e32 v42, 31, v41
	v_add_co_u32 v31, vcc_lo, s2, v31
	v_add_co_ci_u32_e32 v32, vcc_lo, s3, v32, vcc_lo
	s_delay_alu instid0(VALU_DEP_4) | instskip(SKIP_2) | instid1(VALU_DEP_3)
	v_add_nc_u32_e32 v73, s5, v71
	v_lshlrev_b64 v[37:38], 3, v[37:38]
	v_ashrrev_i32_e32 v72, 31, v71
	v_add_nc_u32_e32 v79, s5, v73
	v_ashrrev_i32_e32 v74, 31, v73
	s_delay_alu instid0(VALU_DEP_2) | instskip(SKIP_1) | instid1(VALU_DEP_2)
	v_add_nc_u32_e32 v81, s5, v79
	v_ashrrev_i32_e32 v80, 31, v79
	v_add_nc_u32_e32 v84, s5, v81
	v_ashrrev_i32_e32 v82, 31, v81
	s_delay_alu instid0(VALU_DEP_2) | instskip(SKIP_1) | instid1(VALU_DEP_2)
	v_add_nc_u32_e32 v90, s5, v84
	;; [unrolled: 5-line block ×10, first 2 shown]
	v_ashrrev_i32_e32 v125, 31, v124
	v_ashrrev_i32_e32 v36, 31, v35
	s_delay_alu instid0(VALU_DEP_1) | instskip(SKIP_2) | instid1(VALU_DEP_3)
	v_lshlrev_b64 v[65:66], 3, v[35:36]
	v_add_co_u32 v35, vcc_lo, s2, v23
	v_add_co_ci_u32_e32 v36, vcc_lo, s3, v24, vcc_lo
	v_add_co_u32 v23, vcc_lo, s2, v65
	s_delay_alu instid0(VALU_DEP_4)
	v_add_co_ci_u32_e32 v24, vcc_lo, s3, v66, vcc_lo
	v_add_co_u32 v37, vcc_lo, s2, v37
	v_add_co_ci_u32_e32 v38, vcc_lo, s3, v38, vcc_lo
	global_load_b64 v[86:87], v[23:24], off
	s_waitcnt vmcnt(12)
	scratch_store_b128 off, v[1:4], off
	v_lshlrev_b64 v[1:2], 3, v[39:40]
	v_lshlrev_b64 v[3:4], 3, v[41:42]
	v_lshlrev_b64 v[39:40], 3, v[71:72]
	s_clause 0x2
	global_load_b64 v[65:66], v[31:32], off
	global_load_b64 v[67:68], v[35:36], off
	;; [unrolled: 1-line block ×3, first 2 shown]
	v_lshlrev_b64 v[41:42], 3, v[73:74]
	v_add_co_u32 v1, vcc_lo, s2, v1
	v_add_co_ci_u32_e32 v2, vcc_lo, s3, v2, vcc_lo
	v_add_co_u32 v3, vcc_lo, s2, v3
	v_add_co_ci_u32_e32 v4, vcc_lo, s3, v4, vcc_lo
	;; [unrolled: 2-line block ×4, first 2 shown]
	s_waitcnt vmcnt(13)
	scratch_store_b128 off, v[43:46], off offset:16
	s_waitcnt vmcnt(11)
	scratch_store_b128 off, v[47:50], off offset:32
	s_clause 0x3
	global_load_b64 v[71:72], v[1:2], off
	global_load_b64 v[73:74], v[3:4], off
	;; [unrolled: 1-line block ×4, first 2 shown]
	v_lshlrev_b64 v[43:44], 3, v[79:80]
	v_lshlrev_b64 v[45:46], 3, v[81:82]
	;; [unrolled: 1-line block ×6, first 2 shown]
	v_add_co_u32 v43, vcc_lo, s2, v43
	v_add_co_ci_u32_e32 v44, vcc_lo, s3, v44, vcc_lo
	v_add_co_u32 v45, vcc_lo, s2, v45
	v_add_co_ci_u32_e32 v46, vcc_lo, s3, v46, vcc_lo
	v_add_co_u32 v47, vcc_lo, s2, v47
	v_add_co_ci_u32_e32 v48, vcc_lo, s3, v48, vcc_lo
	v_add_co_u32 v49, vcc_lo, s2, v49
	v_add_co_ci_u32_e32 v50, vcc_lo, s3, v50, vcc_lo
	s_waitcnt vmcnt(13)
	scratch_store_b128 off, v[51:54], off offset:48
	s_waitcnt vmcnt(11)
	scratch_store_b128 off, v[55:58], off offset:64
	s_clause 0x3
	global_load_b64 v[88:89], v[43:44], off
	global_load_b64 v[90:91], v[45:46], off
	;; [unrolled: 1-line block ×4, first 2 shown]
	v_lshlrev_b64 v[51:52], 3, v[96:97]
	v_lshlrev_b64 v[53:54], 3, v[98:99]
	v_lshlrev_b64 v[55:56], 3, v[100:101]
	v_lshlrev_b64 v[57:58], 3, v[102:103]
	s_delay_alu instid0(VALU_DEP_4)
	v_add_co_u32 v51, vcc_lo, s2, v51
	v_add_co_ci_u32_e32 v52, vcc_lo, s3, v52, vcc_lo
	v_add_co_u32 v53, vcc_lo, s2, v53
	v_add_co_ci_u32_e32 v54, vcc_lo, s3, v54, vcc_lo
	;; [unrolled: 2-line block ×4, first 2 shown]
	global_load_b64 v[96:97], v[51:52], off
	s_waitcnt vmcnt(14)
	scratch_store_b128 off, v[59:62], off offset:80
	v_lshlrev_b64 v[59:60], 3, v[104:105]
	v_lshlrev_b64 v[61:62], 3, v[106:107]
	s_waitcnt vmcnt(11)
	scratch_store_b128 off, v[63:66], off offset:96
	s_waitcnt vmcnt(9)
	scratch_store_b128 off, v[67:70], off offset:112
	v_add_co_u32 v59, vcc_lo, s2, v59
	v_add_co_ci_u32_e32 v60, vcc_lo, s3, v60, vcc_lo
	v_add_co_u32 v61, vcc_lo, s2, v61
	v_lshlrev_b64 v[65:66], 3, v[110:111]
	v_add_co_ci_u32_e32 v62, vcc_lo, s3, v62, vcc_lo
	v_add_co_u32 v63, vcc_lo, s2, v79
	v_lshlrev_b64 v[67:68], 3, v[112:113]
	;; [unrolled: 3-line block ×4, first 2 shown]
	v_add_co_ci_u32_e32 v68, vcc_lo, s3, v68, vcc_lo
	s_clause 0x3
	global_load_b64 v[98:99], v[53:54], off
	global_load_b64 v[100:101], v[55:56], off
	;; [unrolled: 1-line block ×4, first 2 shown]
	s_waitcnt vmcnt(11)
	scratch_store_b128 off, v[71:74], off offset:128
	s_waitcnt vmcnt(9)
	scratch_store_b128 off, v[75:78], off offset:144
	v_add_co_u32 v69, vcc_lo, s2, v69
	v_lshlrev_b64 v[73:74], 3, v[118:119]
	v_add_co_ci_u32_e32 v70, vcc_lo, s3, v70, vcc_lo
	v_add_co_u32 v71, vcc_lo, s2, v79
	v_add_co_ci_u32_e32 v72, vcc_lo, s3, v80, vcc_lo
	v_lshlrev_b64 v[77:78], 3, v[120:121]
	v_add_co_u32 v75, vcc_lo, s2, v73
	v_add_co_ci_u32_e32 v76, vcc_lo, s3, v74, vcc_lo
	v_lshlrev_b64 v[73:74], 3, v[122:123]
	s_delay_alu instid0(VALU_DEP_4)
	v_add_co_u32 v77, vcc_lo, s2, v77
	v_add_co_ci_u32_e32 v78, vcc_lo, s3, v78, vcc_lo
	s_clause 0x3
	global_load_b64 v[106:107], v[61:62], off
	global_load_b64 v[108:109], v[63:64], off
	;; [unrolled: 1-line block ×4, first 2 shown]
	v_add_co_u32 v79, vcc_lo, s2, v73
	v_add_co_ci_u32_e32 v80, vcc_lo, s3, v74, vcc_lo
	v_add_co_u32 v73, vcc_lo, s2, v81
	v_add_co_ci_u32_e32 v74, vcc_lo, s3, v82, vcc_lo
	s_waitcnt vmcnt(11)
	scratch_store_b128 off, v[88:91], off offset:160
	s_clause 0x2
	global_load_b64 v[114:115], v[69:70], off
	global_load_b64 v[88:89], v[71:72], off
	;; [unrolled: 1-line block ×3, first 2 shown]
	s_waitcnt vmcnt(12)
	scratch_store_b128 off, v[92:95], off offset:176
	s_clause 0x2
	global_load_b64 v[92:93], v[77:78], off
	global_load_b64 v[94:95], v[79:80], off
	;; [unrolled: 1-line block ×3, first 2 shown]
	v_mov_b32_e32 v81, 0
	v_mov_b32_e32 v82, 0xbff00000
	s_cselect_b32 s2, -1, 0
	s_cmpk_eq_i32 s1, 0x84
	s_waitcnt vmcnt(13)
	scratch_store_b128 off, v[96:99], off offset:192
	s_waitcnt vmcnt(11)
	scratch_store_b128 off, v[100:103], off offset:208
	s_waitcnt vmcnt(9)
	scratch_store_b128 off, v[104:107], off offset:224
	s_waitcnt vmcnt(7)
	scratch_store_b128 off, v[108:111], off offset:240
	s_waitcnt vmcnt(5)
	scratch_store_b128 off, v[112:115], off offset:256
	s_waitcnt vmcnt(3)
	scratch_store_b128 off, v[88:91], off offset:272
	s_waitcnt vmcnt(1)
	scratch_store_b128 off, v[92:95], off offset:288
	s_waitcnt vmcnt(0)
	scratch_store_b128 off, v[84:87], off offset:304
	s_cbranch_scc1 .LBB39_3
; %bb.2:
	scratch_load_b64 v[81:82], v83, off
	s_waitcnt vmcnt(0)
	v_div_scale_f64 v[84:85], null, v[81:82], v[81:82], 1.0
	v_div_scale_f64 v[90:91], vcc_lo, 1.0, v[81:82], 1.0
	s_delay_alu instid0(VALU_DEP_2) | instskip(SKIP_2) | instid1(VALU_DEP_1)
	v_rcp_f64_e32 v[86:87], v[84:85]
	s_waitcnt_depctr 0xfff
	v_fma_f64 v[88:89], -v[84:85], v[86:87], 1.0
	v_fma_f64 v[86:87], v[86:87], v[88:89], v[86:87]
	s_delay_alu instid0(VALU_DEP_1) | instskip(NEXT) | instid1(VALU_DEP_1)
	v_fma_f64 v[88:89], -v[84:85], v[86:87], 1.0
	v_fma_f64 v[86:87], v[86:87], v[88:89], v[86:87]
	s_delay_alu instid0(VALU_DEP_1) | instskip(NEXT) | instid1(VALU_DEP_1)
	v_mul_f64 v[88:89], v[90:91], v[86:87]
	v_fma_f64 v[84:85], -v[84:85], v[88:89], v[90:91]
	s_delay_alu instid0(VALU_DEP_1) | instskip(NEXT) | instid1(VALU_DEP_1)
	v_div_fmas_f64 v[84:85], v[84:85], v[86:87], v[88:89]
	v_div_fixup_f64 v[81:82], v[84:85], v[81:82], 1.0
	scratch_store_b64 v83, v[81:82], off
	v_xor_b32_e32 v82, 0x80000000, v82
.LBB39_3:
	v_add_nc_u32_e32 v84, 0x140, v83
	v_add_nc_u32_e32 v85, 0, v83
	s_cmpk_eq_i32 s0, 0x79
	s_mov_b32 s0, -1
	ds_store_b64 v83, v[81:82]
	s_cbranch_scc1 .LBB39_389
; %bb.4:
	scratch_load_b64 v[81:82], off, off offset:304
	v_cmp_eq_u32_e64 s0, 39, v0
	s_movk_i32 s1, 0x50
	s_movk_i32 s3, 0x60
	s_movk_i32 s4, 0x70
	s_movk_i32 s5, 0x80
	s_movk_i32 s6, 0x90
	s_movk_i32 s7, 0xa0
	s_movk_i32 s8, 0xb0
	s_movk_i32 s9, 0xc0
	s_movk_i32 s10, 0xd0
	s_movk_i32 s11, 0xe0
	s_movk_i32 s12, 0xf0
	s_movk_i32 s13, 0x100
	s_movk_i32 s14, 0x110
	s_movk_i32 s15, 0x120
	s_waitcnt vmcnt(0)
	ds_store_b64 v84, v[81:82]
	s_waitcnt lgkmcnt(0)
	s_waitcnt_vscnt null, 0x0
	s_barrier
	buffer_gl0_inv
	s_and_saveexec_b32 s16, s0
	s_cbranch_execz .LBB39_10
; %bb.5:
	s_and_b32 vcc_lo, exec_lo, s2
	s_cbranch_vccz .LBB39_7
; %bb.6:
	scratch_load_b64 v[81:82], v85, off
	ds_load_b64 v[86:87], v84
	s_waitcnt vmcnt(0) lgkmcnt(0)
	v_mul_f64 v[81:82], v[81:82], v[86:87]
	s_cbranch_execz .LBB39_8
	s_branch .LBB39_9
.LBB39_7:
                                        ; implicit-def: $vgpr81_vgpr82
.LBB39_8:
	ds_load_b64 v[81:82], v84
.LBB39_9:
	v_mov_b32_e32 v86, 0
	ds_load_b64 v[86:87], v86 offset:304
	s_waitcnt lgkmcnt(0)
	v_mul_f64 v[81:82], v[81:82], v[86:87]
	scratch_store_b64 off, v[81:82], off offset:304
.LBB39_10:
	s_or_b32 exec_lo, exec_lo, s16
	scratch_load_b64 v[81:82], off, off offset:296
	v_add_nc_u32_e64 v86, 0, 16
	v_add_nc_u32_e64 v87, 0, 32
	v_add_nc_u32_e64 v88, 0, 48
	v_add_nc_u32_e64 v89, 0, 64
	v_add_nc_u32_e64 v90, s1, 0
	v_add_nc_u32_e64 v91, s3, 0
	v_add_nc_u32_e64 v92, s4, 0
	v_add_nc_u32_e64 v93, s5, 0
	v_add_nc_u32_e64 v94, s6, 0
	v_add_nc_u32_e64 v95, s7, 0
	v_add_nc_u32_e64 v96, s8, 0
	v_add_nc_u32_e64 v97, s9, 0
	v_add_nc_u32_e64 v98, s10, 0
	v_add_nc_u32_e64 v99, s11, 0
	v_add_nc_u32_e64 v100, s12, 0
	v_add_nc_u32_e64 v101, s13, 0
	v_add_nc_u32_e64 v102, s14, 0
	v_add_nc_u32_e64 v103, s15, 0
	v_cmp_lt_u32_e64 s1, 37, v0
	s_waitcnt vmcnt(0)
	ds_store_b64 v84, v[81:82]
	s_waitcnt lgkmcnt(0)
	s_waitcnt_vscnt null, 0x0
	s_barrier
	buffer_gl0_inv
	s_and_saveexec_b32 s3, s1
	s_cbranch_execz .LBB39_18
; %bb.11:
	s_and_not1_b32 vcc_lo, exec_lo, s2
	s_cbranch_vccnz .LBB39_13
; %bb.12:
	scratch_load_b64 v[81:82], v85, off
	ds_load_b64 v[104:105], v84
	s_waitcnt vmcnt(0) lgkmcnt(0)
	v_mul_f64 v[81:82], v[81:82], v[104:105]
	s_cbranch_execz .LBB39_14
	s_branch .LBB39_15
.LBB39_13:
                                        ; implicit-def: $vgpr81_vgpr82
.LBB39_14:
	ds_load_b64 v[81:82], v84
.LBB39_15:
	s_and_saveexec_b32 s4, s0
	s_cbranch_execz .LBB39_17
; %bb.16:
	scratch_load_b64 v[104:105], off, off offset:304
	v_mov_b32_e32 v106, 0
	ds_load_b64 v[106:107], v106 offset:624
	s_waitcnt vmcnt(0) lgkmcnt(0)
	v_fma_f64 v[81:82], v[104:105], v[106:107], v[81:82]
.LBB39_17:
	s_or_b32 exec_lo, exec_lo, s4
	v_mov_b32_e32 v104, 0
	ds_load_b64 v[104:105], v104 offset:296
	s_waitcnt lgkmcnt(0)
	v_mul_f64 v[81:82], v[81:82], v[104:105]
	scratch_store_b64 off, v[81:82], off offset:296
.LBB39_18:
	s_or_b32 exec_lo, exec_lo, s3
	scratch_load_b64 v[81:82], off, off offset:288
	v_cmp_lt_u32_e64 s0, 36, v0
	s_waitcnt vmcnt(0)
	ds_store_b64 v84, v[81:82]
	s_waitcnt lgkmcnt(0)
	s_waitcnt_vscnt null, 0x0
	s_barrier
	buffer_gl0_inv
	s_and_saveexec_b32 s3, s0
	s_cbranch_execz .LBB39_28
; %bb.19:
	s_and_not1_b32 vcc_lo, exec_lo, s2
	s_cbranch_vccnz .LBB39_21
; %bb.20:
	scratch_load_b64 v[81:82], v85, off
	ds_load_b64 v[104:105], v84
	s_waitcnt vmcnt(0) lgkmcnt(0)
	v_mul_f64 v[81:82], v[81:82], v[104:105]
	s_cbranch_execz .LBB39_22
	s_branch .LBB39_23
.LBB39_21:
                                        ; implicit-def: $vgpr81_vgpr82
.LBB39_22:
	ds_load_b64 v[81:82], v84
.LBB39_23:
	s_and_saveexec_b32 s4, s1
	s_cbranch_execz .LBB39_27
; %bb.24:
	v_mov_b32_e32 v104, 0
	v_subrev_nc_u32_e32 v105, 37, v0
	s_movk_i32 s5, 0x268
	s_mov_b32 s1, 0
	s_delay_alu instid0(VALU_DEP_2)
	v_add_nc_u32_e32 v104, 0x128, v104
.LBB39_25:                              ; =>This Inner Loop Header: Depth=1
	scratch_load_b64 v[106:107], v104, off
	v_dual_mov_b32 v108, s5 :: v_dual_add_nc_u32 v105, -1, v105
	v_add_nc_u32_e32 v104, 8, v104
	s_add_i32 s5, s5, 8
	ds_load_b64 v[108:109], v108
	v_cmp_eq_u32_e32 vcc_lo, 0, v105
	s_or_b32 s1, vcc_lo, s1
	s_waitcnt vmcnt(0) lgkmcnt(0)
	v_fma_f64 v[81:82], v[106:107], v[108:109], v[81:82]
	s_and_not1_b32 exec_lo, exec_lo, s1
	s_cbranch_execnz .LBB39_25
; %bb.26:
	s_or_b32 exec_lo, exec_lo, s1
.LBB39_27:
	s_delay_alu instid0(SALU_CYCLE_1)
	s_or_b32 exec_lo, exec_lo, s4
	v_mov_b32_e32 v104, 0
	ds_load_b64 v[104:105], v104 offset:288
	s_waitcnt lgkmcnt(0)
	v_mul_f64 v[81:82], v[81:82], v[104:105]
	scratch_store_b64 off, v[81:82], off offset:288
.LBB39_28:
	s_or_b32 exec_lo, exec_lo, s3
	scratch_load_b64 v[81:82], off, off offset:280
	v_cmp_lt_u32_e64 s1, 35, v0
	s_waitcnt vmcnt(0)
	ds_store_b64 v84, v[81:82]
	s_waitcnt lgkmcnt(0)
	s_waitcnt_vscnt null, 0x0
	s_barrier
	buffer_gl0_inv
	s_and_saveexec_b32 s3, s1
	s_cbranch_execz .LBB39_38
; %bb.29:
	s_and_not1_b32 vcc_lo, exec_lo, s2
	s_cbranch_vccnz .LBB39_31
; %bb.30:
	scratch_load_b64 v[81:82], v85, off
	ds_load_b64 v[104:105], v84
	s_waitcnt vmcnt(0) lgkmcnt(0)
	v_mul_f64 v[81:82], v[81:82], v[104:105]
	s_cbranch_execz .LBB39_32
	s_branch .LBB39_33
.LBB39_31:
                                        ; implicit-def: $vgpr81_vgpr82
.LBB39_32:
	ds_load_b64 v[81:82], v84
.LBB39_33:
	s_and_saveexec_b32 s4, s0
	s_cbranch_execz .LBB39_37
; %bb.34:
	v_subrev_nc_u32_e32 v104, 36, v0
	s_movk_i32 s5, 0x260
	s_mov_b32 s0, 0
.LBB39_35:                              ; =>This Inner Loop Header: Depth=1
	scratch_load_b64 v[105:106], v103, off
	v_dual_mov_b32 v107, s5 :: v_dual_add_nc_u32 v104, -1, v104
	v_add_nc_u32_e32 v103, 8, v103
	s_add_i32 s5, s5, 8
	ds_load_b64 v[107:108], v107
	v_cmp_eq_u32_e32 vcc_lo, 0, v104
	s_or_b32 s0, vcc_lo, s0
	s_waitcnt vmcnt(0) lgkmcnt(0)
	v_fma_f64 v[81:82], v[105:106], v[107:108], v[81:82]
	s_and_not1_b32 exec_lo, exec_lo, s0
	s_cbranch_execnz .LBB39_35
; %bb.36:
	s_or_b32 exec_lo, exec_lo, s0
.LBB39_37:
	s_delay_alu instid0(SALU_CYCLE_1)
	s_or_b32 exec_lo, exec_lo, s4
	v_mov_b32_e32 v103, 0
	ds_load_b64 v[103:104], v103 offset:280
	s_waitcnt lgkmcnt(0)
	v_mul_f64 v[81:82], v[81:82], v[103:104]
	scratch_store_b64 off, v[81:82], off offset:280
.LBB39_38:
	s_or_b32 exec_lo, exec_lo, s3
	scratch_load_b64 v[81:82], off, off offset:272
	v_cmp_lt_u32_e64 s0, 34, v0
	s_waitcnt vmcnt(0)
	ds_store_b64 v84, v[81:82]
	s_waitcnt lgkmcnt(0)
	s_waitcnt_vscnt null, 0x0
	s_barrier
	buffer_gl0_inv
	s_and_saveexec_b32 s3, s0
	s_cbranch_execz .LBB39_48
; %bb.39:
	s_and_not1_b32 vcc_lo, exec_lo, s2
	s_cbranch_vccnz .LBB39_41
; %bb.40:
	scratch_load_b64 v[81:82], v85, off
	ds_load_b64 v[103:104], v84
	s_waitcnt vmcnt(0) lgkmcnt(0)
	v_mul_f64 v[81:82], v[81:82], v[103:104]
	s_cbranch_execz .LBB39_42
	s_branch .LBB39_43
.LBB39_41:
                                        ; implicit-def: $vgpr81_vgpr82
.LBB39_42:
	ds_load_b64 v[81:82], v84
.LBB39_43:
	s_and_saveexec_b32 s4, s1
	s_cbranch_execz .LBB39_47
; %bb.44:
	v_mov_b32_e32 v103, 0
	v_subrev_nc_u32_e32 v104, 35, v0
	s_movk_i32 s5, 0x258
	s_mov_b32 s1, 0
	s_delay_alu instid0(VALU_DEP_2)
	v_add_nc_u32_e32 v103, 0x118, v103
.LBB39_45:                              ; =>This Inner Loop Header: Depth=1
	scratch_load_b64 v[105:106], v103, off
	v_dual_mov_b32 v107, s5 :: v_dual_add_nc_u32 v104, -1, v104
	v_add_nc_u32_e32 v103, 8, v103
	s_add_i32 s5, s5, 8
	ds_load_b64 v[107:108], v107
	v_cmp_eq_u32_e32 vcc_lo, 0, v104
	s_or_b32 s1, vcc_lo, s1
	s_waitcnt vmcnt(0) lgkmcnt(0)
	v_fma_f64 v[81:82], v[105:106], v[107:108], v[81:82]
	s_and_not1_b32 exec_lo, exec_lo, s1
	s_cbranch_execnz .LBB39_45
; %bb.46:
	s_or_b32 exec_lo, exec_lo, s1
.LBB39_47:
	s_delay_alu instid0(SALU_CYCLE_1)
	s_or_b32 exec_lo, exec_lo, s4
	v_mov_b32_e32 v103, 0
	ds_load_b64 v[103:104], v103 offset:272
	s_waitcnt lgkmcnt(0)
	v_mul_f64 v[81:82], v[81:82], v[103:104]
	scratch_store_b64 off, v[81:82], off offset:272
.LBB39_48:
	s_or_b32 exec_lo, exec_lo, s3
	scratch_load_b64 v[81:82], off, off offset:264
	v_cmp_lt_u32_e64 s1, 33, v0
	s_waitcnt vmcnt(0)
	ds_store_b64 v84, v[81:82]
	s_waitcnt lgkmcnt(0)
	s_waitcnt_vscnt null, 0x0
	s_barrier
	buffer_gl0_inv
	s_and_saveexec_b32 s3, s1
	s_cbranch_execz .LBB39_58
; %bb.49:
	s_and_not1_b32 vcc_lo, exec_lo, s2
	s_cbranch_vccnz .LBB39_51
; %bb.50:
	scratch_load_b64 v[81:82], v85, off
	ds_load_b64 v[103:104], v84
	s_waitcnt vmcnt(0) lgkmcnt(0)
	v_mul_f64 v[81:82], v[81:82], v[103:104]
	s_cbranch_execz .LBB39_52
	s_branch .LBB39_53
.LBB39_51:
                                        ; implicit-def: $vgpr81_vgpr82
.LBB39_52:
	ds_load_b64 v[81:82], v84
.LBB39_53:
	s_and_saveexec_b32 s4, s0
	s_cbranch_execz .LBB39_57
; %bb.54:
	v_subrev_nc_u32_e32 v103, 34, v0
	s_movk_i32 s5, 0x250
	s_mov_b32 s0, 0
.LBB39_55:                              ; =>This Inner Loop Header: Depth=1
	scratch_load_b64 v[104:105], v102, off
	v_dual_mov_b32 v106, s5 :: v_dual_add_nc_u32 v103, -1, v103
	v_add_nc_u32_e32 v102, 8, v102
	s_add_i32 s5, s5, 8
	ds_load_b64 v[106:107], v106
	v_cmp_eq_u32_e32 vcc_lo, 0, v103
	s_or_b32 s0, vcc_lo, s0
	s_waitcnt vmcnt(0) lgkmcnt(0)
	v_fma_f64 v[81:82], v[104:105], v[106:107], v[81:82]
	s_and_not1_b32 exec_lo, exec_lo, s0
	s_cbranch_execnz .LBB39_55
; %bb.56:
	s_or_b32 exec_lo, exec_lo, s0
.LBB39_57:
	s_delay_alu instid0(SALU_CYCLE_1)
	s_or_b32 exec_lo, exec_lo, s4
	v_mov_b32_e32 v102, 0
	ds_load_b64 v[102:103], v102 offset:264
	s_waitcnt lgkmcnt(0)
	v_mul_f64 v[81:82], v[81:82], v[102:103]
	scratch_store_b64 off, v[81:82], off offset:264
.LBB39_58:
	s_or_b32 exec_lo, exec_lo, s3
	scratch_load_b64 v[81:82], off, off offset:256
	v_cmp_lt_u32_e64 s0, 32, v0
	s_waitcnt vmcnt(0)
	ds_store_b64 v84, v[81:82]
	s_waitcnt lgkmcnt(0)
	s_waitcnt_vscnt null, 0x0
	s_barrier
	buffer_gl0_inv
	s_and_saveexec_b32 s3, s0
	s_cbranch_execz .LBB39_68
; %bb.59:
	s_and_not1_b32 vcc_lo, exec_lo, s2
	s_cbranch_vccnz .LBB39_61
; %bb.60:
	scratch_load_b64 v[81:82], v85, off
	ds_load_b64 v[102:103], v84
	s_waitcnt vmcnt(0) lgkmcnt(0)
	v_mul_f64 v[81:82], v[81:82], v[102:103]
	s_cbranch_execz .LBB39_62
	s_branch .LBB39_63
.LBB39_61:
                                        ; implicit-def: $vgpr81_vgpr82
.LBB39_62:
	ds_load_b64 v[81:82], v84
.LBB39_63:
	s_and_saveexec_b32 s4, s1
	s_cbranch_execz .LBB39_67
; %bb.64:
	v_mov_b32_e32 v102, 0
	v_subrev_nc_u32_e32 v103, 33, v0
	s_movk_i32 s5, 0x248
	s_mov_b32 s1, 0
	s_delay_alu instid0(VALU_DEP_2)
	v_add_nc_u32_e32 v102, 0x108, v102
.LBB39_65:                              ; =>This Inner Loop Header: Depth=1
	scratch_load_b64 v[104:105], v102, off
	v_dual_mov_b32 v106, s5 :: v_dual_add_nc_u32 v103, -1, v103
	v_add_nc_u32_e32 v102, 8, v102
	s_add_i32 s5, s5, 8
	ds_load_b64 v[106:107], v106
	v_cmp_eq_u32_e32 vcc_lo, 0, v103
	s_or_b32 s1, vcc_lo, s1
	s_waitcnt vmcnt(0) lgkmcnt(0)
	v_fma_f64 v[81:82], v[104:105], v[106:107], v[81:82]
	s_and_not1_b32 exec_lo, exec_lo, s1
	s_cbranch_execnz .LBB39_65
; %bb.66:
	s_or_b32 exec_lo, exec_lo, s1
.LBB39_67:
	s_delay_alu instid0(SALU_CYCLE_1)
	s_or_b32 exec_lo, exec_lo, s4
	v_mov_b32_e32 v102, 0
	ds_load_b64 v[102:103], v102 offset:256
	s_waitcnt lgkmcnt(0)
	v_mul_f64 v[81:82], v[81:82], v[102:103]
	scratch_store_b64 off, v[81:82], off offset:256
.LBB39_68:
	s_or_b32 exec_lo, exec_lo, s3
	scratch_load_b64 v[81:82], off, off offset:248
	v_cmp_lt_u32_e64 s1, 31, v0
	s_waitcnt vmcnt(0)
	ds_store_b64 v84, v[81:82]
	s_waitcnt lgkmcnt(0)
	s_waitcnt_vscnt null, 0x0
	s_barrier
	buffer_gl0_inv
	s_and_saveexec_b32 s3, s1
	s_cbranch_execz .LBB39_78
; %bb.69:
	s_and_not1_b32 vcc_lo, exec_lo, s2
	s_cbranch_vccnz .LBB39_71
; %bb.70:
	scratch_load_b64 v[81:82], v85, off
	ds_load_b64 v[102:103], v84
	s_waitcnt vmcnt(0) lgkmcnt(0)
	v_mul_f64 v[81:82], v[81:82], v[102:103]
	s_cbranch_execz .LBB39_72
	s_branch .LBB39_73
.LBB39_71:
                                        ; implicit-def: $vgpr81_vgpr82
.LBB39_72:
	ds_load_b64 v[81:82], v84
.LBB39_73:
	s_and_saveexec_b32 s4, s0
	s_cbranch_execz .LBB39_77
; %bb.74:
	v_subrev_nc_u32_e32 v102, 32, v0
	s_movk_i32 s5, 0x240
	s_mov_b32 s0, 0
.LBB39_75:                              ; =>This Inner Loop Header: Depth=1
	scratch_load_b64 v[103:104], v101, off
	v_dual_mov_b32 v105, s5 :: v_dual_add_nc_u32 v102, -1, v102
	v_add_nc_u32_e32 v101, 8, v101
	s_add_i32 s5, s5, 8
	ds_load_b64 v[105:106], v105
	v_cmp_eq_u32_e32 vcc_lo, 0, v102
	s_or_b32 s0, vcc_lo, s0
	s_waitcnt vmcnt(0) lgkmcnt(0)
	v_fma_f64 v[81:82], v[103:104], v[105:106], v[81:82]
	s_and_not1_b32 exec_lo, exec_lo, s0
	s_cbranch_execnz .LBB39_75
; %bb.76:
	s_or_b32 exec_lo, exec_lo, s0
.LBB39_77:
	s_delay_alu instid0(SALU_CYCLE_1)
	s_or_b32 exec_lo, exec_lo, s4
	v_mov_b32_e32 v101, 0
	ds_load_b64 v[101:102], v101 offset:248
	s_waitcnt lgkmcnt(0)
	v_mul_f64 v[81:82], v[81:82], v[101:102]
	scratch_store_b64 off, v[81:82], off offset:248
.LBB39_78:
	s_or_b32 exec_lo, exec_lo, s3
	scratch_load_b64 v[81:82], off, off offset:240
	v_cmp_lt_u32_e64 s0, 30, v0
	s_waitcnt vmcnt(0)
	ds_store_b64 v84, v[81:82]
	s_waitcnt lgkmcnt(0)
	s_waitcnt_vscnt null, 0x0
	s_barrier
	buffer_gl0_inv
	s_and_saveexec_b32 s3, s0
	s_cbranch_execz .LBB39_88
; %bb.79:
	s_and_not1_b32 vcc_lo, exec_lo, s2
	s_cbranch_vccnz .LBB39_81
; %bb.80:
	scratch_load_b64 v[81:82], v85, off
	ds_load_b64 v[101:102], v84
	s_waitcnt vmcnt(0) lgkmcnt(0)
	v_mul_f64 v[81:82], v[81:82], v[101:102]
	s_cbranch_execz .LBB39_82
	s_branch .LBB39_83
.LBB39_81:
                                        ; implicit-def: $vgpr81_vgpr82
.LBB39_82:
	ds_load_b64 v[81:82], v84
.LBB39_83:
	s_and_saveexec_b32 s4, s1
	s_cbranch_execz .LBB39_87
; %bb.84:
	v_mov_b32_e32 v101, 0
	v_subrev_nc_u32_e32 v102, 31, v0
	s_movk_i32 s5, 0x238
	s_mov_b32 s1, 0
	s_delay_alu instid0(VALU_DEP_2)
	v_add_nc_u32_e32 v101, 0xf8, v101
.LBB39_85:                              ; =>This Inner Loop Header: Depth=1
	scratch_load_b64 v[103:104], v101, off
	v_dual_mov_b32 v105, s5 :: v_dual_add_nc_u32 v102, -1, v102
	v_add_nc_u32_e32 v101, 8, v101
	s_add_i32 s5, s5, 8
	ds_load_b64 v[105:106], v105
	v_cmp_eq_u32_e32 vcc_lo, 0, v102
	s_or_b32 s1, vcc_lo, s1
	s_waitcnt vmcnt(0) lgkmcnt(0)
	v_fma_f64 v[81:82], v[103:104], v[105:106], v[81:82]
	s_and_not1_b32 exec_lo, exec_lo, s1
	s_cbranch_execnz .LBB39_85
; %bb.86:
	s_or_b32 exec_lo, exec_lo, s1
.LBB39_87:
	s_delay_alu instid0(SALU_CYCLE_1)
	s_or_b32 exec_lo, exec_lo, s4
	v_mov_b32_e32 v101, 0
	ds_load_b64 v[101:102], v101 offset:240
	s_waitcnt lgkmcnt(0)
	v_mul_f64 v[81:82], v[81:82], v[101:102]
	scratch_store_b64 off, v[81:82], off offset:240
.LBB39_88:
	s_or_b32 exec_lo, exec_lo, s3
	scratch_load_b64 v[81:82], off, off offset:232
	v_cmp_lt_u32_e64 s1, 29, v0
	s_waitcnt vmcnt(0)
	ds_store_b64 v84, v[81:82]
	s_waitcnt lgkmcnt(0)
	s_waitcnt_vscnt null, 0x0
	s_barrier
	buffer_gl0_inv
	s_and_saveexec_b32 s3, s1
	s_cbranch_execz .LBB39_98
; %bb.89:
	s_and_not1_b32 vcc_lo, exec_lo, s2
	s_cbranch_vccnz .LBB39_91
; %bb.90:
	scratch_load_b64 v[81:82], v85, off
	ds_load_b64 v[101:102], v84
	s_waitcnt vmcnt(0) lgkmcnt(0)
	v_mul_f64 v[81:82], v[81:82], v[101:102]
	s_cbranch_execz .LBB39_92
	s_branch .LBB39_93
.LBB39_91:
                                        ; implicit-def: $vgpr81_vgpr82
.LBB39_92:
	ds_load_b64 v[81:82], v84
.LBB39_93:
	s_and_saveexec_b32 s4, s0
	s_cbranch_execz .LBB39_97
; %bb.94:
	v_subrev_nc_u32_e32 v101, 30, v0
	s_movk_i32 s5, 0x230
	s_mov_b32 s0, 0
.LBB39_95:                              ; =>This Inner Loop Header: Depth=1
	scratch_load_b64 v[102:103], v100, off
	v_dual_mov_b32 v104, s5 :: v_dual_add_nc_u32 v101, -1, v101
	v_add_nc_u32_e32 v100, 8, v100
	s_add_i32 s5, s5, 8
	ds_load_b64 v[104:105], v104
	v_cmp_eq_u32_e32 vcc_lo, 0, v101
	s_or_b32 s0, vcc_lo, s0
	s_waitcnt vmcnt(0) lgkmcnt(0)
	v_fma_f64 v[81:82], v[102:103], v[104:105], v[81:82]
	s_and_not1_b32 exec_lo, exec_lo, s0
	s_cbranch_execnz .LBB39_95
; %bb.96:
	s_or_b32 exec_lo, exec_lo, s0
.LBB39_97:
	s_delay_alu instid0(SALU_CYCLE_1)
	s_or_b32 exec_lo, exec_lo, s4
	v_mov_b32_e32 v100, 0
	ds_load_b64 v[100:101], v100 offset:232
	s_waitcnt lgkmcnt(0)
	v_mul_f64 v[81:82], v[81:82], v[100:101]
	scratch_store_b64 off, v[81:82], off offset:232
.LBB39_98:
	s_or_b32 exec_lo, exec_lo, s3
	scratch_load_b64 v[81:82], off, off offset:224
	v_cmp_lt_u32_e64 s0, 28, v0
	s_waitcnt vmcnt(0)
	ds_store_b64 v84, v[81:82]
	s_waitcnt lgkmcnt(0)
	s_waitcnt_vscnt null, 0x0
	s_barrier
	buffer_gl0_inv
	s_and_saveexec_b32 s3, s0
	s_cbranch_execz .LBB39_108
; %bb.99:
	s_and_not1_b32 vcc_lo, exec_lo, s2
	s_cbranch_vccnz .LBB39_101
; %bb.100:
	scratch_load_b64 v[81:82], v85, off
	ds_load_b64 v[100:101], v84
	s_waitcnt vmcnt(0) lgkmcnt(0)
	v_mul_f64 v[81:82], v[81:82], v[100:101]
	s_cbranch_execz .LBB39_102
	s_branch .LBB39_103
.LBB39_101:
                                        ; implicit-def: $vgpr81_vgpr82
.LBB39_102:
	ds_load_b64 v[81:82], v84
.LBB39_103:
	s_and_saveexec_b32 s4, s1
	s_cbranch_execz .LBB39_107
; %bb.104:
	v_mov_b32_e32 v100, 0
	v_subrev_nc_u32_e32 v101, 29, v0
	s_movk_i32 s5, 0x228
	s_mov_b32 s1, 0
	s_delay_alu instid0(VALU_DEP_2)
	v_add_nc_u32_e32 v100, 0xe8, v100
.LBB39_105:                             ; =>This Inner Loop Header: Depth=1
	scratch_load_b64 v[102:103], v100, off
	v_dual_mov_b32 v104, s5 :: v_dual_add_nc_u32 v101, -1, v101
	v_add_nc_u32_e32 v100, 8, v100
	s_add_i32 s5, s5, 8
	ds_load_b64 v[104:105], v104
	v_cmp_eq_u32_e32 vcc_lo, 0, v101
	s_or_b32 s1, vcc_lo, s1
	s_waitcnt vmcnt(0) lgkmcnt(0)
	v_fma_f64 v[81:82], v[102:103], v[104:105], v[81:82]
	s_and_not1_b32 exec_lo, exec_lo, s1
	s_cbranch_execnz .LBB39_105
; %bb.106:
	s_or_b32 exec_lo, exec_lo, s1
.LBB39_107:
	s_delay_alu instid0(SALU_CYCLE_1)
	s_or_b32 exec_lo, exec_lo, s4
	v_mov_b32_e32 v100, 0
	ds_load_b64 v[100:101], v100 offset:224
	s_waitcnt lgkmcnt(0)
	v_mul_f64 v[81:82], v[81:82], v[100:101]
	scratch_store_b64 off, v[81:82], off offset:224
.LBB39_108:
	s_or_b32 exec_lo, exec_lo, s3
	scratch_load_b64 v[81:82], off, off offset:216
	v_cmp_lt_u32_e64 s1, 27, v0
	s_waitcnt vmcnt(0)
	ds_store_b64 v84, v[81:82]
	s_waitcnt lgkmcnt(0)
	s_waitcnt_vscnt null, 0x0
	s_barrier
	buffer_gl0_inv
	s_and_saveexec_b32 s3, s1
	s_cbranch_execz .LBB39_118
; %bb.109:
	s_and_not1_b32 vcc_lo, exec_lo, s2
	s_cbranch_vccnz .LBB39_111
; %bb.110:
	scratch_load_b64 v[81:82], v85, off
	ds_load_b64 v[100:101], v84
	s_waitcnt vmcnt(0) lgkmcnt(0)
	v_mul_f64 v[81:82], v[81:82], v[100:101]
	s_cbranch_execz .LBB39_112
	s_branch .LBB39_113
.LBB39_111:
                                        ; implicit-def: $vgpr81_vgpr82
.LBB39_112:
	ds_load_b64 v[81:82], v84
.LBB39_113:
	s_and_saveexec_b32 s4, s0
	s_cbranch_execz .LBB39_117
; %bb.114:
	v_subrev_nc_u32_e32 v100, 28, v0
	s_movk_i32 s5, 0x220
	s_mov_b32 s0, 0
.LBB39_115:                             ; =>This Inner Loop Header: Depth=1
	scratch_load_b64 v[101:102], v99, off
	v_dual_mov_b32 v103, s5 :: v_dual_add_nc_u32 v100, -1, v100
	v_add_nc_u32_e32 v99, 8, v99
	s_add_i32 s5, s5, 8
	ds_load_b64 v[103:104], v103
	v_cmp_eq_u32_e32 vcc_lo, 0, v100
	s_or_b32 s0, vcc_lo, s0
	s_waitcnt vmcnt(0) lgkmcnt(0)
	v_fma_f64 v[81:82], v[101:102], v[103:104], v[81:82]
	s_and_not1_b32 exec_lo, exec_lo, s0
	s_cbranch_execnz .LBB39_115
; %bb.116:
	s_or_b32 exec_lo, exec_lo, s0
.LBB39_117:
	s_delay_alu instid0(SALU_CYCLE_1)
	s_or_b32 exec_lo, exec_lo, s4
	v_mov_b32_e32 v99, 0
	ds_load_b64 v[99:100], v99 offset:216
	s_waitcnt lgkmcnt(0)
	v_mul_f64 v[81:82], v[81:82], v[99:100]
	scratch_store_b64 off, v[81:82], off offset:216
.LBB39_118:
	s_or_b32 exec_lo, exec_lo, s3
	scratch_load_b64 v[81:82], off, off offset:208
	v_cmp_lt_u32_e64 s0, 26, v0
	s_waitcnt vmcnt(0)
	ds_store_b64 v84, v[81:82]
	s_waitcnt lgkmcnt(0)
	s_waitcnt_vscnt null, 0x0
	s_barrier
	buffer_gl0_inv
	s_and_saveexec_b32 s3, s0
	s_cbranch_execz .LBB39_128
; %bb.119:
	s_and_not1_b32 vcc_lo, exec_lo, s2
	s_cbranch_vccnz .LBB39_121
; %bb.120:
	scratch_load_b64 v[81:82], v85, off
	ds_load_b64 v[99:100], v84
	s_waitcnt vmcnt(0) lgkmcnt(0)
	v_mul_f64 v[81:82], v[81:82], v[99:100]
	s_cbranch_execz .LBB39_122
	s_branch .LBB39_123
.LBB39_121:
                                        ; implicit-def: $vgpr81_vgpr82
.LBB39_122:
	ds_load_b64 v[81:82], v84
.LBB39_123:
	s_and_saveexec_b32 s4, s1
	s_cbranch_execz .LBB39_127
; %bb.124:
	v_mov_b32_e32 v99, 0
	v_subrev_nc_u32_e32 v100, 27, v0
	s_movk_i32 s5, 0x218
	s_mov_b32 s1, 0
	s_delay_alu instid0(VALU_DEP_2)
	v_add_nc_u32_e32 v99, 0xd8, v99
.LBB39_125:                             ; =>This Inner Loop Header: Depth=1
	scratch_load_b64 v[101:102], v99, off
	v_dual_mov_b32 v103, s5 :: v_dual_add_nc_u32 v100, -1, v100
	v_add_nc_u32_e32 v99, 8, v99
	s_add_i32 s5, s5, 8
	ds_load_b64 v[103:104], v103
	v_cmp_eq_u32_e32 vcc_lo, 0, v100
	s_or_b32 s1, vcc_lo, s1
	s_waitcnt vmcnt(0) lgkmcnt(0)
	v_fma_f64 v[81:82], v[101:102], v[103:104], v[81:82]
	s_and_not1_b32 exec_lo, exec_lo, s1
	s_cbranch_execnz .LBB39_125
; %bb.126:
	s_or_b32 exec_lo, exec_lo, s1
.LBB39_127:
	s_delay_alu instid0(SALU_CYCLE_1)
	s_or_b32 exec_lo, exec_lo, s4
	v_mov_b32_e32 v99, 0
	ds_load_b64 v[99:100], v99 offset:208
	s_waitcnt lgkmcnt(0)
	v_mul_f64 v[81:82], v[81:82], v[99:100]
	scratch_store_b64 off, v[81:82], off offset:208
.LBB39_128:
	s_or_b32 exec_lo, exec_lo, s3
	scratch_load_b64 v[81:82], off, off offset:200
	v_cmp_lt_u32_e64 s1, 25, v0
	s_waitcnt vmcnt(0)
	ds_store_b64 v84, v[81:82]
	s_waitcnt lgkmcnt(0)
	s_waitcnt_vscnt null, 0x0
	s_barrier
	buffer_gl0_inv
	s_and_saveexec_b32 s3, s1
	s_cbranch_execz .LBB39_138
; %bb.129:
	s_and_not1_b32 vcc_lo, exec_lo, s2
	s_cbranch_vccnz .LBB39_131
; %bb.130:
	scratch_load_b64 v[81:82], v85, off
	ds_load_b64 v[99:100], v84
	s_waitcnt vmcnt(0) lgkmcnt(0)
	v_mul_f64 v[81:82], v[81:82], v[99:100]
	s_cbranch_execz .LBB39_132
	s_branch .LBB39_133
.LBB39_131:
                                        ; implicit-def: $vgpr81_vgpr82
.LBB39_132:
	ds_load_b64 v[81:82], v84
.LBB39_133:
	s_and_saveexec_b32 s4, s0
	s_cbranch_execz .LBB39_137
; %bb.134:
	v_subrev_nc_u32_e32 v99, 26, v0
	s_movk_i32 s5, 0x210
	s_mov_b32 s0, 0
.LBB39_135:                             ; =>This Inner Loop Header: Depth=1
	scratch_load_b64 v[100:101], v98, off
	v_dual_mov_b32 v102, s5 :: v_dual_add_nc_u32 v99, -1, v99
	v_add_nc_u32_e32 v98, 8, v98
	s_add_i32 s5, s5, 8
	ds_load_b64 v[102:103], v102
	v_cmp_eq_u32_e32 vcc_lo, 0, v99
	s_or_b32 s0, vcc_lo, s0
	s_waitcnt vmcnt(0) lgkmcnt(0)
	v_fma_f64 v[81:82], v[100:101], v[102:103], v[81:82]
	s_and_not1_b32 exec_lo, exec_lo, s0
	s_cbranch_execnz .LBB39_135
; %bb.136:
	s_or_b32 exec_lo, exec_lo, s0
.LBB39_137:
	s_delay_alu instid0(SALU_CYCLE_1)
	s_or_b32 exec_lo, exec_lo, s4
	v_mov_b32_e32 v98, 0
	ds_load_b64 v[98:99], v98 offset:200
	s_waitcnt lgkmcnt(0)
	v_mul_f64 v[81:82], v[81:82], v[98:99]
	scratch_store_b64 off, v[81:82], off offset:200
.LBB39_138:
	s_or_b32 exec_lo, exec_lo, s3
	scratch_load_b64 v[81:82], off, off offset:192
	v_cmp_lt_u32_e64 s0, 24, v0
	s_waitcnt vmcnt(0)
	ds_store_b64 v84, v[81:82]
	s_waitcnt lgkmcnt(0)
	s_waitcnt_vscnt null, 0x0
	s_barrier
	buffer_gl0_inv
	s_and_saveexec_b32 s3, s0
	s_cbranch_execz .LBB39_148
; %bb.139:
	s_and_not1_b32 vcc_lo, exec_lo, s2
	s_cbranch_vccnz .LBB39_141
; %bb.140:
	scratch_load_b64 v[81:82], v85, off
	ds_load_b64 v[98:99], v84
	s_waitcnt vmcnt(0) lgkmcnt(0)
	v_mul_f64 v[81:82], v[81:82], v[98:99]
	s_cbranch_execz .LBB39_142
	s_branch .LBB39_143
.LBB39_141:
                                        ; implicit-def: $vgpr81_vgpr82
.LBB39_142:
	ds_load_b64 v[81:82], v84
.LBB39_143:
	s_and_saveexec_b32 s4, s1
	s_cbranch_execz .LBB39_147
; %bb.144:
	v_mov_b32_e32 v98, 0
	v_subrev_nc_u32_e32 v99, 25, v0
	s_movk_i32 s5, 0x208
	s_mov_b32 s1, 0
	s_delay_alu instid0(VALU_DEP_2)
	v_add_nc_u32_e32 v98, 0xc8, v98
.LBB39_145:                             ; =>This Inner Loop Header: Depth=1
	scratch_load_b64 v[100:101], v98, off
	v_dual_mov_b32 v102, s5 :: v_dual_add_nc_u32 v99, -1, v99
	v_add_nc_u32_e32 v98, 8, v98
	s_add_i32 s5, s5, 8
	ds_load_b64 v[102:103], v102
	v_cmp_eq_u32_e32 vcc_lo, 0, v99
	s_or_b32 s1, vcc_lo, s1
	s_waitcnt vmcnt(0) lgkmcnt(0)
	v_fma_f64 v[81:82], v[100:101], v[102:103], v[81:82]
	s_and_not1_b32 exec_lo, exec_lo, s1
	s_cbranch_execnz .LBB39_145
; %bb.146:
	s_or_b32 exec_lo, exec_lo, s1
.LBB39_147:
	s_delay_alu instid0(SALU_CYCLE_1)
	s_or_b32 exec_lo, exec_lo, s4
	v_mov_b32_e32 v98, 0
	ds_load_b64 v[98:99], v98 offset:192
	s_waitcnt lgkmcnt(0)
	v_mul_f64 v[81:82], v[81:82], v[98:99]
	scratch_store_b64 off, v[81:82], off offset:192
.LBB39_148:
	s_or_b32 exec_lo, exec_lo, s3
	scratch_load_b64 v[81:82], off, off offset:184
	v_cmp_lt_u32_e64 s1, 23, v0
	s_waitcnt vmcnt(0)
	ds_store_b64 v84, v[81:82]
	s_waitcnt lgkmcnt(0)
	s_waitcnt_vscnt null, 0x0
	s_barrier
	buffer_gl0_inv
	s_and_saveexec_b32 s3, s1
	s_cbranch_execz .LBB39_158
; %bb.149:
	s_and_not1_b32 vcc_lo, exec_lo, s2
	s_cbranch_vccnz .LBB39_151
; %bb.150:
	scratch_load_b64 v[81:82], v85, off
	ds_load_b64 v[98:99], v84
	s_waitcnt vmcnt(0) lgkmcnt(0)
	v_mul_f64 v[81:82], v[81:82], v[98:99]
	s_cbranch_execz .LBB39_152
	s_branch .LBB39_153
.LBB39_151:
                                        ; implicit-def: $vgpr81_vgpr82
.LBB39_152:
	ds_load_b64 v[81:82], v84
.LBB39_153:
	s_and_saveexec_b32 s4, s0
	s_cbranch_execz .LBB39_157
; %bb.154:
	v_subrev_nc_u32_e32 v98, 24, v0
	s_movk_i32 s5, 0x200
	s_mov_b32 s0, 0
.LBB39_155:                             ; =>This Inner Loop Header: Depth=1
	scratch_load_b64 v[99:100], v97, off
	v_dual_mov_b32 v101, s5 :: v_dual_add_nc_u32 v98, -1, v98
	v_add_nc_u32_e32 v97, 8, v97
	s_add_i32 s5, s5, 8
	ds_load_b64 v[101:102], v101
	v_cmp_eq_u32_e32 vcc_lo, 0, v98
	s_or_b32 s0, vcc_lo, s0
	s_waitcnt vmcnt(0) lgkmcnt(0)
	v_fma_f64 v[81:82], v[99:100], v[101:102], v[81:82]
	s_and_not1_b32 exec_lo, exec_lo, s0
	s_cbranch_execnz .LBB39_155
; %bb.156:
	s_or_b32 exec_lo, exec_lo, s0
.LBB39_157:
	s_delay_alu instid0(SALU_CYCLE_1)
	s_or_b32 exec_lo, exec_lo, s4
	v_mov_b32_e32 v97, 0
	ds_load_b64 v[97:98], v97 offset:184
	s_waitcnt lgkmcnt(0)
	v_mul_f64 v[81:82], v[81:82], v[97:98]
	scratch_store_b64 off, v[81:82], off offset:184
.LBB39_158:
	s_or_b32 exec_lo, exec_lo, s3
	scratch_load_b64 v[81:82], off, off offset:176
	v_cmp_lt_u32_e64 s0, 22, v0
	s_waitcnt vmcnt(0)
	ds_store_b64 v84, v[81:82]
	s_waitcnt lgkmcnt(0)
	s_waitcnt_vscnt null, 0x0
	s_barrier
	buffer_gl0_inv
	s_and_saveexec_b32 s3, s0
	s_cbranch_execz .LBB39_168
; %bb.159:
	s_and_not1_b32 vcc_lo, exec_lo, s2
	s_cbranch_vccnz .LBB39_161
; %bb.160:
	scratch_load_b64 v[81:82], v85, off
	ds_load_b64 v[97:98], v84
	s_waitcnt vmcnt(0) lgkmcnt(0)
	v_mul_f64 v[81:82], v[81:82], v[97:98]
	s_cbranch_execz .LBB39_162
	s_branch .LBB39_163
.LBB39_161:
                                        ; implicit-def: $vgpr81_vgpr82
.LBB39_162:
	ds_load_b64 v[81:82], v84
.LBB39_163:
	s_and_saveexec_b32 s4, s1
	s_cbranch_execz .LBB39_167
; %bb.164:
	v_mov_b32_e32 v97, 0
	v_subrev_nc_u32_e32 v98, 23, v0
	s_movk_i32 s5, 0x1f8
	s_mov_b32 s1, 0
	s_delay_alu instid0(VALU_DEP_2)
	v_add_nc_u32_e32 v97, 0xb8, v97
.LBB39_165:                             ; =>This Inner Loop Header: Depth=1
	scratch_load_b64 v[99:100], v97, off
	v_dual_mov_b32 v101, s5 :: v_dual_add_nc_u32 v98, -1, v98
	v_add_nc_u32_e32 v97, 8, v97
	s_add_i32 s5, s5, 8
	ds_load_b64 v[101:102], v101
	v_cmp_eq_u32_e32 vcc_lo, 0, v98
	s_or_b32 s1, vcc_lo, s1
	s_waitcnt vmcnt(0) lgkmcnt(0)
	v_fma_f64 v[81:82], v[99:100], v[101:102], v[81:82]
	s_and_not1_b32 exec_lo, exec_lo, s1
	s_cbranch_execnz .LBB39_165
; %bb.166:
	s_or_b32 exec_lo, exec_lo, s1
.LBB39_167:
	s_delay_alu instid0(SALU_CYCLE_1)
	s_or_b32 exec_lo, exec_lo, s4
	v_mov_b32_e32 v97, 0
	ds_load_b64 v[97:98], v97 offset:176
	s_waitcnt lgkmcnt(0)
	v_mul_f64 v[81:82], v[81:82], v[97:98]
	scratch_store_b64 off, v[81:82], off offset:176
.LBB39_168:
	s_or_b32 exec_lo, exec_lo, s3
	scratch_load_b64 v[81:82], off, off offset:168
	v_cmp_lt_u32_e64 s1, 21, v0
	s_waitcnt vmcnt(0)
	ds_store_b64 v84, v[81:82]
	s_waitcnt lgkmcnt(0)
	s_waitcnt_vscnt null, 0x0
	s_barrier
	buffer_gl0_inv
	s_and_saveexec_b32 s3, s1
	s_cbranch_execz .LBB39_178
; %bb.169:
	s_and_not1_b32 vcc_lo, exec_lo, s2
	s_cbranch_vccnz .LBB39_171
; %bb.170:
	scratch_load_b64 v[81:82], v85, off
	ds_load_b64 v[97:98], v84
	s_waitcnt vmcnt(0) lgkmcnt(0)
	v_mul_f64 v[81:82], v[81:82], v[97:98]
	s_cbranch_execz .LBB39_172
	s_branch .LBB39_173
.LBB39_171:
                                        ; implicit-def: $vgpr81_vgpr82
.LBB39_172:
	ds_load_b64 v[81:82], v84
.LBB39_173:
	s_and_saveexec_b32 s4, s0
	s_cbranch_execz .LBB39_177
; %bb.174:
	v_subrev_nc_u32_e32 v97, 22, v0
	s_movk_i32 s5, 0x1f0
	s_mov_b32 s0, 0
.LBB39_175:                             ; =>This Inner Loop Header: Depth=1
	scratch_load_b64 v[98:99], v96, off
	v_dual_mov_b32 v100, s5 :: v_dual_add_nc_u32 v97, -1, v97
	v_add_nc_u32_e32 v96, 8, v96
	s_add_i32 s5, s5, 8
	ds_load_b64 v[100:101], v100
	v_cmp_eq_u32_e32 vcc_lo, 0, v97
	s_or_b32 s0, vcc_lo, s0
	s_waitcnt vmcnt(0) lgkmcnt(0)
	v_fma_f64 v[81:82], v[98:99], v[100:101], v[81:82]
	s_and_not1_b32 exec_lo, exec_lo, s0
	s_cbranch_execnz .LBB39_175
; %bb.176:
	s_or_b32 exec_lo, exec_lo, s0
.LBB39_177:
	s_delay_alu instid0(SALU_CYCLE_1)
	s_or_b32 exec_lo, exec_lo, s4
	v_mov_b32_e32 v96, 0
	ds_load_b64 v[96:97], v96 offset:168
	s_waitcnt lgkmcnt(0)
	v_mul_f64 v[81:82], v[81:82], v[96:97]
	scratch_store_b64 off, v[81:82], off offset:168
.LBB39_178:
	s_or_b32 exec_lo, exec_lo, s3
	scratch_load_b64 v[81:82], off, off offset:160
	v_cmp_lt_u32_e64 s0, 20, v0
	s_waitcnt vmcnt(0)
	ds_store_b64 v84, v[81:82]
	s_waitcnt lgkmcnt(0)
	s_waitcnt_vscnt null, 0x0
	s_barrier
	buffer_gl0_inv
	s_and_saveexec_b32 s3, s0
	s_cbranch_execz .LBB39_188
; %bb.179:
	s_and_not1_b32 vcc_lo, exec_lo, s2
	s_cbranch_vccnz .LBB39_181
; %bb.180:
	scratch_load_b64 v[81:82], v85, off
	ds_load_b64 v[96:97], v84
	s_waitcnt vmcnt(0) lgkmcnt(0)
	v_mul_f64 v[81:82], v[81:82], v[96:97]
	s_cbranch_execz .LBB39_182
	s_branch .LBB39_183
.LBB39_181:
                                        ; implicit-def: $vgpr81_vgpr82
.LBB39_182:
	ds_load_b64 v[81:82], v84
.LBB39_183:
	s_and_saveexec_b32 s4, s1
	s_cbranch_execz .LBB39_187
; %bb.184:
	v_mov_b32_e32 v96, 0
	v_subrev_nc_u32_e32 v97, 21, v0
	s_movk_i32 s5, 0x1e8
	s_mov_b32 s1, 0
	s_delay_alu instid0(VALU_DEP_2)
	v_add_nc_u32_e32 v96, 0xa8, v96
.LBB39_185:                             ; =>This Inner Loop Header: Depth=1
	scratch_load_b64 v[98:99], v96, off
	v_dual_mov_b32 v100, s5 :: v_dual_add_nc_u32 v97, -1, v97
	v_add_nc_u32_e32 v96, 8, v96
	s_add_i32 s5, s5, 8
	ds_load_b64 v[100:101], v100
	v_cmp_eq_u32_e32 vcc_lo, 0, v97
	s_or_b32 s1, vcc_lo, s1
	s_waitcnt vmcnt(0) lgkmcnt(0)
	v_fma_f64 v[81:82], v[98:99], v[100:101], v[81:82]
	s_and_not1_b32 exec_lo, exec_lo, s1
	s_cbranch_execnz .LBB39_185
; %bb.186:
	s_or_b32 exec_lo, exec_lo, s1
.LBB39_187:
	s_delay_alu instid0(SALU_CYCLE_1)
	s_or_b32 exec_lo, exec_lo, s4
	v_mov_b32_e32 v96, 0
	ds_load_b64 v[96:97], v96 offset:160
	s_waitcnt lgkmcnt(0)
	v_mul_f64 v[81:82], v[81:82], v[96:97]
	scratch_store_b64 off, v[81:82], off offset:160
.LBB39_188:
	s_or_b32 exec_lo, exec_lo, s3
	scratch_load_b64 v[81:82], off, off offset:152
	v_cmp_lt_u32_e64 s1, 19, v0
	s_waitcnt vmcnt(0)
	ds_store_b64 v84, v[81:82]
	s_waitcnt lgkmcnt(0)
	s_waitcnt_vscnt null, 0x0
	s_barrier
	buffer_gl0_inv
	s_and_saveexec_b32 s3, s1
	s_cbranch_execz .LBB39_198
; %bb.189:
	s_and_not1_b32 vcc_lo, exec_lo, s2
	s_cbranch_vccnz .LBB39_191
; %bb.190:
	scratch_load_b64 v[81:82], v85, off
	ds_load_b64 v[96:97], v84
	s_waitcnt vmcnt(0) lgkmcnt(0)
	v_mul_f64 v[81:82], v[81:82], v[96:97]
	s_cbranch_execz .LBB39_192
	s_branch .LBB39_193
.LBB39_191:
                                        ; implicit-def: $vgpr81_vgpr82
.LBB39_192:
	ds_load_b64 v[81:82], v84
.LBB39_193:
	s_and_saveexec_b32 s4, s0
	s_cbranch_execz .LBB39_197
; %bb.194:
	v_subrev_nc_u32_e32 v96, 20, v0
	s_movk_i32 s5, 0x1e0
	s_mov_b32 s0, 0
.LBB39_195:                             ; =>This Inner Loop Header: Depth=1
	scratch_load_b64 v[97:98], v95, off
	v_dual_mov_b32 v99, s5 :: v_dual_add_nc_u32 v96, -1, v96
	v_add_nc_u32_e32 v95, 8, v95
	s_add_i32 s5, s5, 8
	ds_load_b64 v[99:100], v99
	v_cmp_eq_u32_e32 vcc_lo, 0, v96
	s_or_b32 s0, vcc_lo, s0
	s_waitcnt vmcnt(0) lgkmcnt(0)
	v_fma_f64 v[81:82], v[97:98], v[99:100], v[81:82]
	s_and_not1_b32 exec_lo, exec_lo, s0
	s_cbranch_execnz .LBB39_195
; %bb.196:
	s_or_b32 exec_lo, exec_lo, s0
.LBB39_197:
	s_delay_alu instid0(SALU_CYCLE_1)
	s_or_b32 exec_lo, exec_lo, s4
	v_mov_b32_e32 v95, 0
	ds_load_b64 v[95:96], v95 offset:152
	s_waitcnt lgkmcnt(0)
	v_mul_f64 v[81:82], v[81:82], v[95:96]
	scratch_store_b64 off, v[81:82], off offset:152
.LBB39_198:
	s_or_b32 exec_lo, exec_lo, s3
	scratch_load_b64 v[81:82], off, off offset:144
	v_cmp_lt_u32_e64 s0, 18, v0
	s_waitcnt vmcnt(0)
	ds_store_b64 v84, v[81:82]
	s_waitcnt lgkmcnt(0)
	s_waitcnt_vscnt null, 0x0
	s_barrier
	buffer_gl0_inv
	s_and_saveexec_b32 s3, s0
	s_cbranch_execz .LBB39_208
; %bb.199:
	s_and_not1_b32 vcc_lo, exec_lo, s2
	s_cbranch_vccnz .LBB39_201
; %bb.200:
	scratch_load_b64 v[81:82], v85, off
	ds_load_b64 v[95:96], v84
	s_waitcnt vmcnt(0) lgkmcnt(0)
	v_mul_f64 v[81:82], v[81:82], v[95:96]
	s_cbranch_execz .LBB39_202
	s_branch .LBB39_203
.LBB39_201:
                                        ; implicit-def: $vgpr81_vgpr82
.LBB39_202:
	ds_load_b64 v[81:82], v84
.LBB39_203:
	s_and_saveexec_b32 s4, s1
	s_cbranch_execz .LBB39_207
; %bb.204:
	v_mov_b32_e32 v95, 0
	v_subrev_nc_u32_e32 v96, 19, v0
	s_movk_i32 s5, 0x1d8
	s_mov_b32 s1, 0
	s_delay_alu instid0(VALU_DEP_2)
	v_add_nc_u32_e32 v95, 0x98, v95
.LBB39_205:                             ; =>This Inner Loop Header: Depth=1
	scratch_load_b64 v[97:98], v95, off
	v_dual_mov_b32 v99, s5 :: v_dual_add_nc_u32 v96, -1, v96
	v_add_nc_u32_e32 v95, 8, v95
	s_add_i32 s5, s5, 8
	ds_load_b64 v[99:100], v99
	v_cmp_eq_u32_e32 vcc_lo, 0, v96
	s_or_b32 s1, vcc_lo, s1
	s_waitcnt vmcnt(0) lgkmcnt(0)
	v_fma_f64 v[81:82], v[97:98], v[99:100], v[81:82]
	s_and_not1_b32 exec_lo, exec_lo, s1
	s_cbranch_execnz .LBB39_205
; %bb.206:
	s_or_b32 exec_lo, exec_lo, s1
.LBB39_207:
	s_delay_alu instid0(SALU_CYCLE_1)
	s_or_b32 exec_lo, exec_lo, s4
	v_mov_b32_e32 v95, 0
	ds_load_b64 v[95:96], v95 offset:144
	s_waitcnt lgkmcnt(0)
	v_mul_f64 v[81:82], v[81:82], v[95:96]
	scratch_store_b64 off, v[81:82], off offset:144
.LBB39_208:
	s_or_b32 exec_lo, exec_lo, s3
	scratch_load_b64 v[81:82], off, off offset:136
	v_cmp_lt_u32_e64 s1, 17, v0
	s_waitcnt vmcnt(0)
	ds_store_b64 v84, v[81:82]
	s_waitcnt lgkmcnt(0)
	s_waitcnt_vscnt null, 0x0
	s_barrier
	buffer_gl0_inv
	s_and_saveexec_b32 s3, s1
	s_cbranch_execz .LBB39_218
; %bb.209:
	s_and_not1_b32 vcc_lo, exec_lo, s2
	s_cbranch_vccnz .LBB39_211
; %bb.210:
	scratch_load_b64 v[81:82], v85, off
	ds_load_b64 v[95:96], v84
	s_waitcnt vmcnt(0) lgkmcnt(0)
	v_mul_f64 v[81:82], v[81:82], v[95:96]
	s_cbranch_execz .LBB39_212
	s_branch .LBB39_213
.LBB39_211:
                                        ; implicit-def: $vgpr81_vgpr82
.LBB39_212:
	ds_load_b64 v[81:82], v84
.LBB39_213:
	s_and_saveexec_b32 s4, s0
	s_cbranch_execz .LBB39_217
; %bb.214:
	v_subrev_nc_u32_e32 v95, 18, v0
	s_movk_i32 s5, 0x1d0
	s_mov_b32 s0, 0
.LBB39_215:                             ; =>This Inner Loop Header: Depth=1
	scratch_load_b64 v[96:97], v94, off
	v_dual_mov_b32 v98, s5 :: v_dual_add_nc_u32 v95, -1, v95
	v_add_nc_u32_e32 v94, 8, v94
	s_add_i32 s5, s5, 8
	ds_load_b64 v[98:99], v98
	v_cmp_eq_u32_e32 vcc_lo, 0, v95
	s_or_b32 s0, vcc_lo, s0
	s_waitcnt vmcnt(0) lgkmcnt(0)
	v_fma_f64 v[81:82], v[96:97], v[98:99], v[81:82]
	s_and_not1_b32 exec_lo, exec_lo, s0
	s_cbranch_execnz .LBB39_215
; %bb.216:
	s_or_b32 exec_lo, exec_lo, s0
.LBB39_217:
	s_delay_alu instid0(SALU_CYCLE_1)
	s_or_b32 exec_lo, exec_lo, s4
	v_mov_b32_e32 v94, 0
	ds_load_b64 v[94:95], v94 offset:136
	s_waitcnt lgkmcnt(0)
	v_mul_f64 v[81:82], v[81:82], v[94:95]
	scratch_store_b64 off, v[81:82], off offset:136
.LBB39_218:
	s_or_b32 exec_lo, exec_lo, s3
	scratch_load_b64 v[81:82], off, off offset:128
	v_cmp_lt_u32_e64 s0, 16, v0
	s_waitcnt vmcnt(0)
	ds_store_b64 v84, v[81:82]
	s_waitcnt lgkmcnt(0)
	s_waitcnt_vscnt null, 0x0
	s_barrier
	buffer_gl0_inv
	s_and_saveexec_b32 s3, s0
	s_cbranch_execz .LBB39_228
; %bb.219:
	s_and_not1_b32 vcc_lo, exec_lo, s2
	s_cbranch_vccnz .LBB39_221
; %bb.220:
	scratch_load_b64 v[81:82], v85, off
	ds_load_b64 v[94:95], v84
	s_waitcnt vmcnt(0) lgkmcnt(0)
	v_mul_f64 v[81:82], v[81:82], v[94:95]
	s_cbranch_execz .LBB39_222
	s_branch .LBB39_223
.LBB39_221:
                                        ; implicit-def: $vgpr81_vgpr82
.LBB39_222:
	ds_load_b64 v[81:82], v84
.LBB39_223:
	s_and_saveexec_b32 s4, s1
	s_cbranch_execz .LBB39_227
; %bb.224:
	v_mov_b32_e32 v94, 0
	v_subrev_nc_u32_e32 v95, 17, v0
	s_movk_i32 s5, 0x1c8
	s_mov_b32 s1, 0
	s_delay_alu instid0(VALU_DEP_2)
	v_add_nc_u32_e32 v94, 0x88, v94
.LBB39_225:                             ; =>This Inner Loop Header: Depth=1
	scratch_load_b64 v[96:97], v94, off
	v_dual_mov_b32 v98, s5 :: v_dual_add_nc_u32 v95, -1, v95
	v_add_nc_u32_e32 v94, 8, v94
	s_add_i32 s5, s5, 8
	ds_load_b64 v[98:99], v98
	v_cmp_eq_u32_e32 vcc_lo, 0, v95
	s_or_b32 s1, vcc_lo, s1
	s_waitcnt vmcnt(0) lgkmcnt(0)
	v_fma_f64 v[81:82], v[96:97], v[98:99], v[81:82]
	s_and_not1_b32 exec_lo, exec_lo, s1
	s_cbranch_execnz .LBB39_225
; %bb.226:
	s_or_b32 exec_lo, exec_lo, s1
.LBB39_227:
	s_delay_alu instid0(SALU_CYCLE_1)
	s_or_b32 exec_lo, exec_lo, s4
	v_mov_b32_e32 v94, 0
	ds_load_b64 v[94:95], v94 offset:128
	s_waitcnt lgkmcnt(0)
	v_mul_f64 v[81:82], v[81:82], v[94:95]
	scratch_store_b64 off, v[81:82], off offset:128
.LBB39_228:
	s_or_b32 exec_lo, exec_lo, s3
	scratch_load_b64 v[81:82], off, off offset:120
	v_cmp_lt_u32_e64 s1, 15, v0
	s_waitcnt vmcnt(0)
	ds_store_b64 v84, v[81:82]
	s_waitcnt lgkmcnt(0)
	s_waitcnt_vscnt null, 0x0
	s_barrier
	buffer_gl0_inv
	s_and_saveexec_b32 s3, s1
	s_cbranch_execz .LBB39_238
; %bb.229:
	s_and_not1_b32 vcc_lo, exec_lo, s2
	s_cbranch_vccnz .LBB39_231
; %bb.230:
	scratch_load_b64 v[81:82], v85, off
	ds_load_b64 v[94:95], v84
	s_waitcnt vmcnt(0) lgkmcnt(0)
	v_mul_f64 v[81:82], v[81:82], v[94:95]
	s_cbranch_execz .LBB39_232
	s_branch .LBB39_233
.LBB39_231:
                                        ; implicit-def: $vgpr81_vgpr82
.LBB39_232:
	ds_load_b64 v[81:82], v84
.LBB39_233:
	s_and_saveexec_b32 s4, s0
	s_cbranch_execz .LBB39_237
; %bb.234:
	v_add_nc_u32_e32 v94, -16, v0
	s_movk_i32 s5, 0x1c0
	s_mov_b32 s0, 0
.LBB39_235:                             ; =>This Inner Loop Header: Depth=1
	scratch_load_b64 v[95:96], v93, off
	v_dual_mov_b32 v97, s5 :: v_dual_add_nc_u32 v94, -1, v94
	v_add_nc_u32_e32 v93, 8, v93
	s_add_i32 s5, s5, 8
	ds_load_b64 v[97:98], v97
	v_cmp_eq_u32_e32 vcc_lo, 0, v94
	s_or_b32 s0, vcc_lo, s0
	s_waitcnt vmcnt(0) lgkmcnt(0)
	v_fma_f64 v[81:82], v[95:96], v[97:98], v[81:82]
	s_and_not1_b32 exec_lo, exec_lo, s0
	s_cbranch_execnz .LBB39_235
; %bb.236:
	s_or_b32 exec_lo, exec_lo, s0
.LBB39_237:
	s_delay_alu instid0(SALU_CYCLE_1)
	s_or_b32 exec_lo, exec_lo, s4
	v_mov_b32_e32 v93, 0
	ds_load_b64 v[93:94], v93 offset:120
	s_waitcnt lgkmcnt(0)
	v_mul_f64 v[81:82], v[81:82], v[93:94]
	scratch_store_b64 off, v[81:82], off offset:120
.LBB39_238:
	s_or_b32 exec_lo, exec_lo, s3
	scratch_load_b64 v[81:82], off, off offset:112
	v_cmp_lt_u32_e64 s0, 14, v0
	s_waitcnt vmcnt(0)
	ds_store_b64 v84, v[81:82]
	s_waitcnt lgkmcnt(0)
	s_waitcnt_vscnt null, 0x0
	s_barrier
	buffer_gl0_inv
	s_and_saveexec_b32 s3, s0
	s_cbranch_execz .LBB39_248
; %bb.239:
	s_and_not1_b32 vcc_lo, exec_lo, s2
	s_cbranch_vccnz .LBB39_241
; %bb.240:
	scratch_load_b64 v[81:82], v85, off
	ds_load_b64 v[93:94], v84
	s_waitcnt vmcnt(0) lgkmcnt(0)
	v_mul_f64 v[81:82], v[81:82], v[93:94]
	s_cbranch_execz .LBB39_242
	s_branch .LBB39_243
.LBB39_241:
                                        ; implicit-def: $vgpr81_vgpr82
.LBB39_242:
	ds_load_b64 v[81:82], v84
.LBB39_243:
	s_and_saveexec_b32 s4, s1
	s_cbranch_execz .LBB39_247
; %bb.244:
	v_dual_mov_b32 v93, 0 :: v_dual_add_nc_u32 v94, -15, v0
	s_movk_i32 s5, 0x1b8
	s_mov_b32 s1, 0
	s_delay_alu instid0(VALU_DEP_1)
	v_add_nc_u32_e32 v93, 0x78, v93
.LBB39_245:                             ; =>This Inner Loop Header: Depth=1
	scratch_load_b64 v[95:96], v93, off
	v_dual_mov_b32 v97, s5 :: v_dual_add_nc_u32 v94, -1, v94
	v_add_nc_u32_e32 v93, 8, v93
	s_add_i32 s5, s5, 8
	ds_load_b64 v[97:98], v97
	v_cmp_eq_u32_e32 vcc_lo, 0, v94
	s_or_b32 s1, vcc_lo, s1
	s_waitcnt vmcnt(0) lgkmcnt(0)
	v_fma_f64 v[81:82], v[95:96], v[97:98], v[81:82]
	s_and_not1_b32 exec_lo, exec_lo, s1
	s_cbranch_execnz .LBB39_245
; %bb.246:
	s_or_b32 exec_lo, exec_lo, s1
.LBB39_247:
	s_delay_alu instid0(SALU_CYCLE_1)
	s_or_b32 exec_lo, exec_lo, s4
	v_mov_b32_e32 v93, 0
	ds_load_b64 v[93:94], v93 offset:112
	s_waitcnt lgkmcnt(0)
	v_mul_f64 v[81:82], v[81:82], v[93:94]
	scratch_store_b64 off, v[81:82], off offset:112
.LBB39_248:
	s_or_b32 exec_lo, exec_lo, s3
	scratch_load_b64 v[81:82], off, off offset:104
	v_cmp_lt_u32_e64 s1, 13, v0
	s_waitcnt vmcnt(0)
	ds_store_b64 v84, v[81:82]
	s_waitcnt lgkmcnt(0)
	s_waitcnt_vscnt null, 0x0
	s_barrier
	buffer_gl0_inv
	s_and_saveexec_b32 s3, s1
	s_cbranch_execz .LBB39_258
; %bb.249:
	s_and_not1_b32 vcc_lo, exec_lo, s2
	s_cbranch_vccnz .LBB39_251
; %bb.250:
	scratch_load_b64 v[81:82], v85, off
	ds_load_b64 v[93:94], v84
	s_waitcnt vmcnt(0) lgkmcnt(0)
	v_mul_f64 v[81:82], v[81:82], v[93:94]
	s_cbranch_execz .LBB39_252
	s_branch .LBB39_253
.LBB39_251:
                                        ; implicit-def: $vgpr81_vgpr82
.LBB39_252:
	ds_load_b64 v[81:82], v84
.LBB39_253:
	s_and_saveexec_b32 s4, s0
	s_cbranch_execz .LBB39_257
; %bb.254:
	v_add_nc_u32_e32 v93, -14, v0
	s_movk_i32 s5, 0x1b0
	s_mov_b32 s0, 0
.LBB39_255:                             ; =>This Inner Loop Header: Depth=1
	scratch_load_b64 v[94:95], v92, off
	v_dual_mov_b32 v96, s5 :: v_dual_add_nc_u32 v93, -1, v93
	v_add_nc_u32_e32 v92, 8, v92
	s_add_i32 s5, s5, 8
	ds_load_b64 v[96:97], v96
	v_cmp_eq_u32_e32 vcc_lo, 0, v93
	s_or_b32 s0, vcc_lo, s0
	s_waitcnt vmcnt(0) lgkmcnt(0)
	v_fma_f64 v[81:82], v[94:95], v[96:97], v[81:82]
	s_and_not1_b32 exec_lo, exec_lo, s0
	s_cbranch_execnz .LBB39_255
; %bb.256:
	s_or_b32 exec_lo, exec_lo, s0
.LBB39_257:
	s_delay_alu instid0(SALU_CYCLE_1)
	s_or_b32 exec_lo, exec_lo, s4
	v_mov_b32_e32 v92, 0
	ds_load_b64 v[92:93], v92 offset:104
	s_waitcnt lgkmcnt(0)
	v_mul_f64 v[81:82], v[81:82], v[92:93]
	scratch_store_b64 off, v[81:82], off offset:104
.LBB39_258:
	s_or_b32 exec_lo, exec_lo, s3
	scratch_load_b64 v[81:82], off, off offset:96
	v_cmp_lt_u32_e64 s0, 12, v0
	s_waitcnt vmcnt(0)
	ds_store_b64 v84, v[81:82]
	s_waitcnt lgkmcnt(0)
	s_waitcnt_vscnt null, 0x0
	s_barrier
	buffer_gl0_inv
	s_and_saveexec_b32 s3, s0
	s_cbranch_execz .LBB39_268
; %bb.259:
	s_and_not1_b32 vcc_lo, exec_lo, s2
	s_cbranch_vccnz .LBB39_261
; %bb.260:
	scratch_load_b64 v[81:82], v85, off
	ds_load_b64 v[92:93], v84
	s_waitcnt vmcnt(0) lgkmcnt(0)
	v_mul_f64 v[81:82], v[81:82], v[92:93]
	s_cbranch_execz .LBB39_262
	s_branch .LBB39_263
.LBB39_261:
                                        ; implicit-def: $vgpr81_vgpr82
.LBB39_262:
	ds_load_b64 v[81:82], v84
.LBB39_263:
	s_and_saveexec_b32 s4, s1
	s_cbranch_execz .LBB39_267
; %bb.264:
	v_dual_mov_b32 v92, 0 :: v_dual_add_nc_u32 v93, -13, v0
	s_movk_i32 s5, 0x1a8
	s_mov_b32 s1, 0
	s_delay_alu instid0(VALU_DEP_1)
	v_add_nc_u32_e32 v92, 0x68, v92
.LBB39_265:                             ; =>This Inner Loop Header: Depth=1
	scratch_load_b64 v[94:95], v92, off
	v_dual_mov_b32 v96, s5 :: v_dual_add_nc_u32 v93, -1, v93
	v_add_nc_u32_e32 v92, 8, v92
	s_add_i32 s5, s5, 8
	ds_load_b64 v[96:97], v96
	v_cmp_eq_u32_e32 vcc_lo, 0, v93
	s_or_b32 s1, vcc_lo, s1
	s_waitcnt vmcnt(0) lgkmcnt(0)
	v_fma_f64 v[81:82], v[94:95], v[96:97], v[81:82]
	s_and_not1_b32 exec_lo, exec_lo, s1
	s_cbranch_execnz .LBB39_265
; %bb.266:
	s_or_b32 exec_lo, exec_lo, s1
.LBB39_267:
	s_delay_alu instid0(SALU_CYCLE_1)
	s_or_b32 exec_lo, exec_lo, s4
	v_mov_b32_e32 v92, 0
	ds_load_b64 v[92:93], v92 offset:96
	s_waitcnt lgkmcnt(0)
	v_mul_f64 v[81:82], v[81:82], v[92:93]
	scratch_store_b64 off, v[81:82], off offset:96
.LBB39_268:
	s_or_b32 exec_lo, exec_lo, s3
	scratch_load_b64 v[81:82], off, off offset:88
	v_cmp_lt_u32_e64 s1, 11, v0
	s_waitcnt vmcnt(0)
	ds_store_b64 v84, v[81:82]
	s_waitcnt lgkmcnt(0)
	s_waitcnt_vscnt null, 0x0
	s_barrier
	buffer_gl0_inv
	s_and_saveexec_b32 s3, s1
	s_cbranch_execz .LBB39_278
; %bb.269:
	s_and_not1_b32 vcc_lo, exec_lo, s2
	s_cbranch_vccnz .LBB39_271
; %bb.270:
	scratch_load_b64 v[81:82], v85, off
	ds_load_b64 v[92:93], v84
	s_waitcnt vmcnt(0) lgkmcnt(0)
	v_mul_f64 v[81:82], v[81:82], v[92:93]
	s_cbranch_execz .LBB39_272
	s_branch .LBB39_273
.LBB39_271:
                                        ; implicit-def: $vgpr81_vgpr82
.LBB39_272:
	ds_load_b64 v[81:82], v84
.LBB39_273:
	s_and_saveexec_b32 s4, s0
	s_cbranch_execz .LBB39_277
; %bb.274:
	v_add_nc_u32_e32 v92, -12, v0
	s_movk_i32 s5, 0x1a0
	s_mov_b32 s0, 0
.LBB39_275:                             ; =>This Inner Loop Header: Depth=1
	scratch_load_b64 v[93:94], v91, off
	v_dual_mov_b32 v95, s5 :: v_dual_add_nc_u32 v92, -1, v92
	v_add_nc_u32_e32 v91, 8, v91
	s_add_i32 s5, s5, 8
	ds_load_b64 v[95:96], v95
	v_cmp_eq_u32_e32 vcc_lo, 0, v92
	s_or_b32 s0, vcc_lo, s0
	s_waitcnt vmcnt(0) lgkmcnt(0)
	v_fma_f64 v[81:82], v[93:94], v[95:96], v[81:82]
	s_and_not1_b32 exec_lo, exec_lo, s0
	s_cbranch_execnz .LBB39_275
; %bb.276:
	s_or_b32 exec_lo, exec_lo, s0
.LBB39_277:
	s_delay_alu instid0(SALU_CYCLE_1)
	s_or_b32 exec_lo, exec_lo, s4
	v_mov_b32_e32 v91, 0
	ds_load_b64 v[91:92], v91 offset:88
	s_waitcnt lgkmcnt(0)
	v_mul_f64 v[81:82], v[81:82], v[91:92]
	scratch_store_b64 off, v[81:82], off offset:88
.LBB39_278:
	s_or_b32 exec_lo, exec_lo, s3
	scratch_load_b64 v[81:82], off, off offset:80
	v_cmp_lt_u32_e64 s0, 10, v0
	s_waitcnt vmcnt(0)
	ds_store_b64 v84, v[81:82]
	s_waitcnt lgkmcnt(0)
	s_waitcnt_vscnt null, 0x0
	s_barrier
	buffer_gl0_inv
	s_and_saveexec_b32 s3, s0
	s_cbranch_execz .LBB39_288
; %bb.279:
	s_and_not1_b32 vcc_lo, exec_lo, s2
	s_cbranch_vccnz .LBB39_281
; %bb.280:
	scratch_load_b64 v[81:82], v85, off
	ds_load_b64 v[91:92], v84
	s_waitcnt vmcnt(0) lgkmcnt(0)
	v_mul_f64 v[81:82], v[81:82], v[91:92]
	s_cbranch_execz .LBB39_282
	s_branch .LBB39_283
.LBB39_281:
                                        ; implicit-def: $vgpr81_vgpr82
.LBB39_282:
	ds_load_b64 v[81:82], v84
.LBB39_283:
	s_and_saveexec_b32 s4, s1
	s_cbranch_execz .LBB39_287
; %bb.284:
	v_dual_mov_b32 v91, 0 :: v_dual_add_nc_u32 v92, -11, v0
	s_movk_i32 s5, 0x198
	s_mov_b32 s1, 0
	s_delay_alu instid0(VALU_DEP_1)
	v_add_nc_u32_e32 v91, 0x58, v91
.LBB39_285:                             ; =>This Inner Loop Header: Depth=1
	scratch_load_b64 v[93:94], v91, off
	v_dual_mov_b32 v95, s5 :: v_dual_add_nc_u32 v92, -1, v92
	v_add_nc_u32_e32 v91, 8, v91
	s_add_i32 s5, s5, 8
	ds_load_b64 v[95:96], v95
	v_cmp_eq_u32_e32 vcc_lo, 0, v92
	s_or_b32 s1, vcc_lo, s1
	s_waitcnt vmcnt(0) lgkmcnt(0)
	v_fma_f64 v[81:82], v[93:94], v[95:96], v[81:82]
	s_and_not1_b32 exec_lo, exec_lo, s1
	s_cbranch_execnz .LBB39_285
; %bb.286:
	s_or_b32 exec_lo, exec_lo, s1
.LBB39_287:
	s_delay_alu instid0(SALU_CYCLE_1)
	s_or_b32 exec_lo, exec_lo, s4
	v_mov_b32_e32 v91, 0
	ds_load_b64 v[91:92], v91 offset:80
	s_waitcnt lgkmcnt(0)
	v_mul_f64 v[81:82], v[81:82], v[91:92]
	scratch_store_b64 off, v[81:82], off offset:80
.LBB39_288:
	s_or_b32 exec_lo, exec_lo, s3
	scratch_load_b64 v[81:82], off, off offset:72
	v_cmp_lt_u32_e64 s1, 9, v0
	s_waitcnt vmcnt(0)
	ds_store_b64 v84, v[81:82]
	s_waitcnt lgkmcnt(0)
	s_waitcnt_vscnt null, 0x0
	s_barrier
	buffer_gl0_inv
	s_and_saveexec_b32 s3, s1
	s_cbranch_execz .LBB39_298
; %bb.289:
	s_and_not1_b32 vcc_lo, exec_lo, s2
	s_cbranch_vccnz .LBB39_291
; %bb.290:
	scratch_load_b64 v[81:82], v85, off
	ds_load_b64 v[91:92], v84
	s_waitcnt vmcnt(0) lgkmcnt(0)
	v_mul_f64 v[81:82], v[81:82], v[91:92]
	s_cbranch_execz .LBB39_292
	s_branch .LBB39_293
.LBB39_291:
                                        ; implicit-def: $vgpr81_vgpr82
.LBB39_292:
	ds_load_b64 v[81:82], v84
.LBB39_293:
	s_and_saveexec_b32 s4, s0
	s_cbranch_execz .LBB39_297
; %bb.294:
	v_add_nc_u32_e32 v91, -10, v0
	s_movk_i32 s5, 0x190
	s_mov_b32 s0, 0
.LBB39_295:                             ; =>This Inner Loop Header: Depth=1
	scratch_load_b64 v[92:93], v90, off
	v_dual_mov_b32 v94, s5 :: v_dual_add_nc_u32 v91, -1, v91
	v_add_nc_u32_e32 v90, 8, v90
	s_add_i32 s5, s5, 8
	ds_load_b64 v[94:95], v94
	v_cmp_eq_u32_e32 vcc_lo, 0, v91
	s_or_b32 s0, vcc_lo, s0
	s_waitcnt vmcnt(0) lgkmcnt(0)
	v_fma_f64 v[81:82], v[92:93], v[94:95], v[81:82]
	s_and_not1_b32 exec_lo, exec_lo, s0
	s_cbranch_execnz .LBB39_295
; %bb.296:
	s_or_b32 exec_lo, exec_lo, s0
.LBB39_297:
	s_delay_alu instid0(SALU_CYCLE_1)
	s_or_b32 exec_lo, exec_lo, s4
	v_mov_b32_e32 v90, 0
	ds_load_b64 v[90:91], v90 offset:72
	s_waitcnt lgkmcnt(0)
	v_mul_f64 v[81:82], v[81:82], v[90:91]
	scratch_store_b64 off, v[81:82], off offset:72
.LBB39_298:
	s_or_b32 exec_lo, exec_lo, s3
	scratch_load_b64 v[81:82], off, off offset:64
	v_cmp_lt_u32_e64 s0, 8, v0
	s_waitcnt vmcnt(0)
	ds_store_b64 v84, v[81:82]
	s_waitcnt lgkmcnt(0)
	s_waitcnt_vscnt null, 0x0
	s_barrier
	buffer_gl0_inv
	s_and_saveexec_b32 s3, s0
	s_cbranch_execz .LBB39_308
; %bb.299:
	s_and_not1_b32 vcc_lo, exec_lo, s2
	s_cbranch_vccnz .LBB39_301
; %bb.300:
	scratch_load_b64 v[81:82], v85, off
	ds_load_b64 v[90:91], v84
	s_waitcnt vmcnt(0) lgkmcnt(0)
	v_mul_f64 v[81:82], v[81:82], v[90:91]
	s_cbranch_execz .LBB39_302
	s_branch .LBB39_303
.LBB39_301:
                                        ; implicit-def: $vgpr81_vgpr82
.LBB39_302:
	ds_load_b64 v[81:82], v84
.LBB39_303:
	s_and_saveexec_b32 s4, s1
	s_cbranch_execz .LBB39_307
; %bb.304:
	v_dual_mov_b32 v90, 0 :: v_dual_add_nc_u32 v91, -9, v0
	s_movk_i32 s5, 0x188
	s_mov_b32 s1, 0
	s_delay_alu instid0(VALU_DEP_1)
	v_add_nc_u32_e32 v90, 0x48, v90
.LBB39_305:                             ; =>This Inner Loop Header: Depth=1
	scratch_load_b64 v[92:93], v90, off
	v_dual_mov_b32 v94, s5 :: v_dual_add_nc_u32 v91, -1, v91
	v_add_nc_u32_e32 v90, 8, v90
	s_add_i32 s5, s5, 8
	ds_load_b64 v[94:95], v94
	v_cmp_eq_u32_e32 vcc_lo, 0, v91
	s_or_b32 s1, vcc_lo, s1
	s_waitcnt vmcnt(0) lgkmcnt(0)
	v_fma_f64 v[81:82], v[92:93], v[94:95], v[81:82]
	s_and_not1_b32 exec_lo, exec_lo, s1
	s_cbranch_execnz .LBB39_305
; %bb.306:
	s_or_b32 exec_lo, exec_lo, s1
.LBB39_307:
	s_delay_alu instid0(SALU_CYCLE_1)
	s_or_b32 exec_lo, exec_lo, s4
	v_mov_b32_e32 v90, 0
	ds_load_b64 v[90:91], v90 offset:64
	s_waitcnt lgkmcnt(0)
	v_mul_f64 v[81:82], v[81:82], v[90:91]
	scratch_store_b64 off, v[81:82], off offset:64
.LBB39_308:
	s_or_b32 exec_lo, exec_lo, s3
	scratch_load_b64 v[81:82], off, off offset:56
	v_cmp_lt_u32_e64 s1, 7, v0
	s_waitcnt vmcnt(0)
	ds_store_b64 v84, v[81:82]
	s_waitcnt lgkmcnt(0)
	s_waitcnt_vscnt null, 0x0
	s_barrier
	buffer_gl0_inv
	s_and_saveexec_b32 s3, s1
	s_cbranch_execz .LBB39_318
; %bb.309:
	s_and_not1_b32 vcc_lo, exec_lo, s2
	s_cbranch_vccnz .LBB39_311
; %bb.310:
	scratch_load_b64 v[81:82], v85, off
	ds_load_b64 v[90:91], v84
	s_waitcnt vmcnt(0) lgkmcnt(0)
	v_mul_f64 v[81:82], v[81:82], v[90:91]
	s_cbranch_execz .LBB39_312
	s_branch .LBB39_313
.LBB39_311:
                                        ; implicit-def: $vgpr81_vgpr82
.LBB39_312:
	ds_load_b64 v[81:82], v84
.LBB39_313:
	s_and_saveexec_b32 s4, s0
	s_cbranch_execz .LBB39_317
; %bb.314:
	v_add_nc_u32_e32 v90, -8, v0
	s_movk_i32 s5, 0x180
	s_mov_b32 s0, 0
.LBB39_315:                             ; =>This Inner Loop Header: Depth=1
	scratch_load_b64 v[91:92], v89, off
	v_dual_mov_b32 v93, s5 :: v_dual_add_nc_u32 v90, -1, v90
	v_add_nc_u32_e32 v89, 8, v89
	s_add_i32 s5, s5, 8
	ds_load_b64 v[93:94], v93
	v_cmp_eq_u32_e32 vcc_lo, 0, v90
	s_or_b32 s0, vcc_lo, s0
	s_waitcnt vmcnt(0) lgkmcnt(0)
	v_fma_f64 v[81:82], v[91:92], v[93:94], v[81:82]
	s_and_not1_b32 exec_lo, exec_lo, s0
	s_cbranch_execnz .LBB39_315
; %bb.316:
	s_or_b32 exec_lo, exec_lo, s0
.LBB39_317:
	s_delay_alu instid0(SALU_CYCLE_1)
	s_or_b32 exec_lo, exec_lo, s4
	v_mov_b32_e32 v89, 0
	ds_load_b64 v[89:90], v89 offset:56
	s_waitcnt lgkmcnt(0)
	v_mul_f64 v[81:82], v[81:82], v[89:90]
	scratch_store_b64 off, v[81:82], off offset:56
.LBB39_318:
	s_or_b32 exec_lo, exec_lo, s3
	scratch_load_b64 v[81:82], off, off offset:48
	v_cmp_lt_u32_e64 s0, 6, v0
	s_waitcnt vmcnt(0)
	ds_store_b64 v84, v[81:82]
	s_waitcnt lgkmcnt(0)
	s_waitcnt_vscnt null, 0x0
	s_barrier
	buffer_gl0_inv
	s_and_saveexec_b32 s3, s0
	s_cbranch_execz .LBB39_328
; %bb.319:
	s_and_not1_b32 vcc_lo, exec_lo, s2
	s_cbranch_vccnz .LBB39_321
; %bb.320:
	scratch_load_b64 v[81:82], v85, off
	ds_load_b64 v[89:90], v84
	s_waitcnt vmcnt(0) lgkmcnt(0)
	v_mul_f64 v[81:82], v[81:82], v[89:90]
	s_cbranch_execz .LBB39_322
	s_branch .LBB39_323
.LBB39_321:
                                        ; implicit-def: $vgpr81_vgpr82
.LBB39_322:
	ds_load_b64 v[81:82], v84
.LBB39_323:
	s_and_saveexec_b32 s4, s1
	s_cbranch_execz .LBB39_327
; %bb.324:
	v_add_nc_u32_e64 v89, 0, 56
	v_add_nc_u32_e32 v90, -7, v0
	s_movk_i32 s5, 0x178
	s_mov_b32 s1, 0
.LBB39_325:                             ; =>This Inner Loop Header: Depth=1
	scratch_load_b64 v[91:92], v89, off
	v_dual_mov_b32 v93, s5 :: v_dual_add_nc_u32 v90, -1, v90
	v_add_nc_u32_e32 v89, 8, v89
	s_add_i32 s5, s5, 8
	ds_load_b64 v[93:94], v93
	v_cmp_eq_u32_e32 vcc_lo, 0, v90
	s_or_b32 s1, vcc_lo, s1
	s_waitcnt vmcnt(0) lgkmcnt(0)
	v_fma_f64 v[81:82], v[91:92], v[93:94], v[81:82]
	s_and_not1_b32 exec_lo, exec_lo, s1
	s_cbranch_execnz .LBB39_325
; %bb.326:
	s_or_b32 exec_lo, exec_lo, s1
.LBB39_327:
	s_delay_alu instid0(SALU_CYCLE_1)
	s_or_b32 exec_lo, exec_lo, s4
	v_mov_b32_e32 v89, 0
	ds_load_b64 v[89:90], v89 offset:48
	s_waitcnt lgkmcnt(0)
	v_mul_f64 v[81:82], v[81:82], v[89:90]
	scratch_store_b64 off, v[81:82], off offset:48
.LBB39_328:
	s_or_b32 exec_lo, exec_lo, s3
	scratch_load_b64 v[81:82], off, off offset:40
	v_cmp_lt_u32_e64 s1, 5, v0
	s_waitcnt vmcnt(0)
	ds_store_b64 v84, v[81:82]
	s_waitcnt lgkmcnt(0)
	s_waitcnt_vscnt null, 0x0
	s_barrier
	buffer_gl0_inv
	s_and_saveexec_b32 s3, s1
	s_cbranch_execz .LBB39_338
; %bb.329:
	s_and_not1_b32 vcc_lo, exec_lo, s2
	s_cbranch_vccnz .LBB39_331
; %bb.330:
	scratch_load_b64 v[81:82], v85, off
	ds_load_b64 v[89:90], v84
	s_waitcnt vmcnt(0) lgkmcnt(0)
	v_mul_f64 v[81:82], v[81:82], v[89:90]
	s_cbranch_execz .LBB39_332
	s_branch .LBB39_333
.LBB39_331:
                                        ; implicit-def: $vgpr81_vgpr82
.LBB39_332:
	ds_load_b64 v[81:82], v84
.LBB39_333:
	s_and_saveexec_b32 s4, s0
	s_cbranch_execz .LBB39_337
; %bb.334:
	v_add_nc_u32_e32 v89, -6, v0
	s_movk_i32 s5, 0x170
	s_mov_b32 s0, 0
.LBB39_335:                             ; =>This Inner Loop Header: Depth=1
	scratch_load_b64 v[90:91], v88, off
	v_dual_mov_b32 v92, s5 :: v_dual_add_nc_u32 v89, -1, v89
	v_add_nc_u32_e32 v88, 8, v88
	s_add_i32 s5, s5, 8
	ds_load_b64 v[92:93], v92
	v_cmp_eq_u32_e32 vcc_lo, 0, v89
	s_or_b32 s0, vcc_lo, s0
	s_waitcnt vmcnt(0) lgkmcnt(0)
	v_fma_f64 v[81:82], v[90:91], v[92:93], v[81:82]
	s_and_not1_b32 exec_lo, exec_lo, s0
	s_cbranch_execnz .LBB39_335
; %bb.336:
	s_or_b32 exec_lo, exec_lo, s0
.LBB39_337:
	s_delay_alu instid0(SALU_CYCLE_1)
	s_or_b32 exec_lo, exec_lo, s4
	v_mov_b32_e32 v88, 0
	ds_load_b64 v[88:89], v88 offset:40
	s_waitcnt lgkmcnt(0)
	v_mul_f64 v[81:82], v[81:82], v[88:89]
	scratch_store_b64 off, v[81:82], off offset:40
.LBB39_338:
	s_or_b32 exec_lo, exec_lo, s3
	scratch_load_b64 v[81:82], off, off offset:32
	v_cmp_lt_u32_e64 s0, 4, v0
	s_waitcnt vmcnt(0)
	ds_store_b64 v84, v[81:82]
	s_waitcnt lgkmcnt(0)
	s_waitcnt_vscnt null, 0x0
	s_barrier
	buffer_gl0_inv
	s_and_saveexec_b32 s3, s0
	s_cbranch_execz .LBB39_348
; %bb.339:
	s_and_not1_b32 vcc_lo, exec_lo, s2
	s_cbranch_vccnz .LBB39_341
; %bb.340:
	scratch_load_b64 v[81:82], v85, off
	ds_load_b64 v[88:89], v84
	s_waitcnt vmcnt(0) lgkmcnt(0)
	v_mul_f64 v[81:82], v[81:82], v[88:89]
	s_cbranch_execz .LBB39_342
	s_branch .LBB39_343
.LBB39_341:
                                        ; implicit-def: $vgpr81_vgpr82
.LBB39_342:
	ds_load_b64 v[81:82], v84
.LBB39_343:
	s_and_saveexec_b32 s4, s1
	s_cbranch_execz .LBB39_347
; %bb.344:
	v_add_nc_u32_e64 v88, 0, 40
	v_add_nc_u32_e32 v89, -5, v0
	s_movk_i32 s5, 0x168
	s_mov_b32 s1, 0
.LBB39_345:                             ; =>This Inner Loop Header: Depth=1
	scratch_load_b64 v[90:91], v88, off
	v_dual_mov_b32 v92, s5 :: v_dual_add_nc_u32 v89, -1, v89
	v_add_nc_u32_e32 v88, 8, v88
	s_add_i32 s5, s5, 8
	ds_load_b64 v[92:93], v92
	v_cmp_eq_u32_e32 vcc_lo, 0, v89
	s_or_b32 s1, vcc_lo, s1
	s_waitcnt vmcnt(0) lgkmcnt(0)
	v_fma_f64 v[81:82], v[90:91], v[92:93], v[81:82]
	s_and_not1_b32 exec_lo, exec_lo, s1
	s_cbranch_execnz .LBB39_345
; %bb.346:
	s_or_b32 exec_lo, exec_lo, s1
.LBB39_347:
	s_delay_alu instid0(SALU_CYCLE_1)
	s_or_b32 exec_lo, exec_lo, s4
	v_mov_b32_e32 v88, 0
	ds_load_b64 v[88:89], v88 offset:32
	s_waitcnt lgkmcnt(0)
	v_mul_f64 v[81:82], v[81:82], v[88:89]
	scratch_store_b64 off, v[81:82], off offset:32
.LBB39_348:
	s_or_b32 exec_lo, exec_lo, s3
	scratch_load_b64 v[81:82], off, off offset:24
	v_cmp_lt_u32_e64 s1, 3, v0
	s_waitcnt vmcnt(0)
	ds_store_b64 v84, v[81:82]
	s_waitcnt lgkmcnt(0)
	s_waitcnt_vscnt null, 0x0
	s_barrier
	buffer_gl0_inv
	s_and_saveexec_b32 s3, s1
	s_cbranch_execz .LBB39_358
; %bb.349:
	s_and_not1_b32 vcc_lo, exec_lo, s2
	s_cbranch_vccnz .LBB39_351
; %bb.350:
	scratch_load_b64 v[81:82], v85, off
	ds_load_b64 v[88:89], v84
	s_waitcnt vmcnt(0) lgkmcnt(0)
	v_mul_f64 v[81:82], v[81:82], v[88:89]
	s_cbranch_execz .LBB39_352
	s_branch .LBB39_353
.LBB39_351:
                                        ; implicit-def: $vgpr81_vgpr82
.LBB39_352:
	ds_load_b64 v[81:82], v84
.LBB39_353:
	s_and_saveexec_b32 s4, s0
	s_cbranch_execz .LBB39_357
; %bb.354:
	v_add_nc_u32_e32 v88, -4, v0
	s_movk_i32 s5, 0x160
	s_mov_b32 s0, 0
.LBB39_355:                             ; =>This Inner Loop Header: Depth=1
	scratch_load_b64 v[89:90], v87, off
	v_dual_mov_b32 v91, s5 :: v_dual_add_nc_u32 v88, -1, v88
	v_add_nc_u32_e32 v87, 8, v87
	s_add_i32 s5, s5, 8
	ds_load_b64 v[91:92], v91
	v_cmp_eq_u32_e32 vcc_lo, 0, v88
	s_or_b32 s0, vcc_lo, s0
	s_waitcnt vmcnt(0) lgkmcnt(0)
	v_fma_f64 v[81:82], v[89:90], v[91:92], v[81:82]
	s_and_not1_b32 exec_lo, exec_lo, s0
	s_cbranch_execnz .LBB39_355
; %bb.356:
	s_or_b32 exec_lo, exec_lo, s0
.LBB39_357:
	s_delay_alu instid0(SALU_CYCLE_1)
	s_or_b32 exec_lo, exec_lo, s4
	v_mov_b32_e32 v87, 0
	ds_load_b64 v[87:88], v87 offset:24
	s_waitcnt lgkmcnt(0)
	v_mul_f64 v[81:82], v[81:82], v[87:88]
	scratch_store_b64 off, v[81:82], off offset:24
.LBB39_358:
	s_or_b32 exec_lo, exec_lo, s3
	scratch_load_b64 v[81:82], off, off offset:16
	v_cmp_lt_u32_e64 s0, 2, v0
	s_waitcnt vmcnt(0)
	ds_store_b64 v84, v[81:82]
	s_waitcnt lgkmcnt(0)
	s_waitcnt_vscnt null, 0x0
	s_barrier
	buffer_gl0_inv
	s_and_saveexec_b32 s3, s0
	s_cbranch_execz .LBB39_368
; %bb.359:
	s_and_not1_b32 vcc_lo, exec_lo, s2
	s_cbranch_vccnz .LBB39_361
; %bb.360:
	scratch_load_b64 v[81:82], v85, off
	ds_load_b64 v[87:88], v84
	s_waitcnt vmcnt(0) lgkmcnt(0)
	v_mul_f64 v[81:82], v[81:82], v[87:88]
	s_cbranch_execz .LBB39_362
	s_branch .LBB39_363
.LBB39_361:
                                        ; implicit-def: $vgpr81_vgpr82
.LBB39_362:
	ds_load_b64 v[81:82], v84
.LBB39_363:
	s_and_saveexec_b32 s4, s1
	s_cbranch_execz .LBB39_367
; %bb.364:
	v_add_nc_u32_e64 v87, 0, 24
	v_add_nc_u32_e32 v88, -3, v0
	s_movk_i32 s5, 0x158
	s_mov_b32 s1, 0
.LBB39_365:                             ; =>This Inner Loop Header: Depth=1
	scratch_load_b64 v[89:90], v87, off
	v_dual_mov_b32 v91, s5 :: v_dual_add_nc_u32 v88, -1, v88
	v_add_nc_u32_e32 v87, 8, v87
	s_add_i32 s5, s5, 8
	ds_load_b64 v[91:92], v91
	v_cmp_eq_u32_e32 vcc_lo, 0, v88
	s_or_b32 s1, vcc_lo, s1
	s_waitcnt vmcnt(0) lgkmcnt(0)
	v_fma_f64 v[81:82], v[89:90], v[91:92], v[81:82]
	s_and_not1_b32 exec_lo, exec_lo, s1
	s_cbranch_execnz .LBB39_365
; %bb.366:
	s_or_b32 exec_lo, exec_lo, s1
.LBB39_367:
	s_delay_alu instid0(SALU_CYCLE_1)
	s_or_b32 exec_lo, exec_lo, s4
	v_mov_b32_e32 v87, 0
	ds_load_b64 v[87:88], v87 offset:16
	s_waitcnt lgkmcnt(0)
	v_mul_f64 v[81:82], v[81:82], v[87:88]
	scratch_store_b64 off, v[81:82], off offset:16
.LBB39_368:
	s_or_b32 exec_lo, exec_lo, s3
	scratch_load_b64 v[81:82], off, off offset:8
	v_cmp_lt_u32_e64 s1, 1, v0
	s_waitcnt vmcnt(0)
	ds_store_b64 v84, v[81:82]
	s_waitcnt lgkmcnt(0)
	s_waitcnt_vscnt null, 0x0
	s_barrier
	buffer_gl0_inv
	s_and_saveexec_b32 s3, s1
	s_cbranch_execz .LBB39_378
; %bb.369:
	s_and_not1_b32 vcc_lo, exec_lo, s2
	s_cbranch_vccnz .LBB39_371
; %bb.370:
	scratch_load_b64 v[81:82], v85, off
	ds_load_b64 v[87:88], v84
	s_waitcnt vmcnt(0) lgkmcnt(0)
	v_mul_f64 v[81:82], v[81:82], v[87:88]
	s_cbranch_execz .LBB39_372
	s_branch .LBB39_373
.LBB39_371:
                                        ; implicit-def: $vgpr81_vgpr82
.LBB39_372:
	ds_load_b64 v[81:82], v84
.LBB39_373:
	s_and_saveexec_b32 s4, s0
	s_cbranch_execz .LBB39_377
; %bb.374:
	v_add_nc_u32_e32 v87, -2, v0
	s_movk_i32 s5, 0x150
	s_mov_b32 s0, 0
.LBB39_375:                             ; =>This Inner Loop Header: Depth=1
	scratch_load_b64 v[88:89], v86, off
	v_dual_mov_b32 v90, s5 :: v_dual_add_nc_u32 v87, -1, v87
	v_add_nc_u32_e32 v86, 8, v86
	s_add_i32 s5, s5, 8
	ds_load_b64 v[90:91], v90
	v_cmp_eq_u32_e32 vcc_lo, 0, v87
	s_or_b32 s0, vcc_lo, s0
	s_waitcnt vmcnt(0) lgkmcnt(0)
	v_fma_f64 v[81:82], v[88:89], v[90:91], v[81:82]
	s_and_not1_b32 exec_lo, exec_lo, s0
	s_cbranch_execnz .LBB39_375
; %bb.376:
	s_or_b32 exec_lo, exec_lo, s0
.LBB39_377:
	s_delay_alu instid0(SALU_CYCLE_1)
	s_or_b32 exec_lo, exec_lo, s4
	v_mov_b32_e32 v86, 0
	ds_load_b64 v[86:87], v86 offset:8
	s_waitcnt lgkmcnt(0)
	v_mul_f64 v[81:82], v[81:82], v[86:87]
	scratch_store_b64 off, v[81:82], off offset:8
.LBB39_378:
	s_or_b32 exec_lo, exec_lo, s3
	scratch_load_b64 v[81:82], off, off
	s_mov_b32 s0, 0
	s_mov_b32 s3, exec_lo
	s_waitcnt vmcnt(0)
	ds_store_b64 v84, v[81:82]
	s_waitcnt lgkmcnt(0)
	s_waitcnt_vscnt null, 0x0
	s_barrier
	buffer_gl0_inv
	v_cmpx_ne_u32_e32 0, v0
	s_cbranch_execz .LBB39_388
; %bb.379:
	s_and_not1_b32 vcc_lo, exec_lo, s2
	s_cbranch_vccnz .LBB39_381
; %bb.380:
	scratch_load_b64 v[81:82], v85, off
	ds_load_b64 v[86:87], v84
	s_waitcnt vmcnt(0) lgkmcnt(0)
	v_mul_f64 v[81:82], v[81:82], v[86:87]
	s_cbranch_execz .LBB39_382
	s_branch .LBB39_383
.LBB39_381:
                                        ; implicit-def: $vgpr81_vgpr82
.LBB39_382:
	ds_load_b64 v[81:82], v84
.LBB39_383:
	s_and_saveexec_b32 s4, s1
	s_cbranch_execz .LBB39_387
; %bb.384:
	v_or_b32_e64 v86, 0, 8
	v_add_nc_u32_e32 v87, -1, v0
	s_movk_i32 s5, 0x148
	s_mov_b32 s1, 0
.LBB39_385:                             ; =>This Inner Loop Header: Depth=1
	scratch_load_b64 v[88:89], v86, off
	v_dual_mov_b32 v90, s5 :: v_dual_add_nc_u32 v87, -1, v87
	v_add_nc_u32_e32 v86, 8, v86
	s_add_i32 s5, s5, 8
	ds_load_b64 v[90:91], v90
	v_cmp_eq_u32_e32 vcc_lo, 0, v87
	s_or_b32 s1, vcc_lo, s1
	s_waitcnt vmcnt(0) lgkmcnt(0)
	v_fma_f64 v[81:82], v[88:89], v[90:91], v[81:82]
	s_and_not1_b32 exec_lo, exec_lo, s1
	s_cbranch_execnz .LBB39_385
; %bb.386:
	s_or_b32 exec_lo, exec_lo, s1
.LBB39_387:
	s_delay_alu instid0(SALU_CYCLE_1)
	s_or_b32 exec_lo, exec_lo, s4
	v_mov_b32_e32 v86, 0
	ds_load_b64 v[86:87], v86
	s_waitcnt lgkmcnt(0)
	v_mul_f64 v[81:82], v[81:82], v[86:87]
	scratch_store_b64 off, v[81:82], off
.LBB39_388:
	s_or_b32 exec_lo, exec_lo, s3
.LBB39_389:
	s_delay_alu instid0(SALU_CYCLE_1)
	s_and_b32 vcc_lo, exec_lo, s0
	s_cbranch_vccz .LBB39_775
; %bb.390:
	scratch_load_b64 v[81:82], off, off offset:8
	v_cmp_eq_u32_e64 s0, 0, v0
	s_waitcnt vmcnt(0)
	ds_store_b64 v84, v[81:82]
	s_waitcnt lgkmcnt(0)
	s_waitcnt_vscnt null, 0x0
	s_barrier
	buffer_gl0_inv
	s_and_saveexec_b32 s1, s0
	s_cbranch_execz .LBB39_396
; %bb.391:
	s_and_b32 vcc_lo, exec_lo, s2
	s_cbranch_vccz .LBB39_393
; %bb.392:
	scratch_load_b64 v[81:82], v85, off
	ds_load_b64 v[86:87], v84
	s_waitcnt vmcnt(0) lgkmcnt(0)
	v_mul_f64 v[81:82], v[81:82], v[86:87]
	s_cbranch_execz .LBB39_394
	s_branch .LBB39_395
.LBB39_393:
                                        ; implicit-def: $vgpr81_vgpr82
.LBB39_394:
	ds_load_b64 v[81:82], v84
.LBB39_395:
	v_mov_b32_e32 v86, 0
	ds_load_b64 v[86:87], v86 offset:8
	s_waitcnt lgkmcnt(0)
	v_mul_f64 v[81:82], v[81:82], v[86:87]
	scratch_store_b64 off, v[81:82], off offset:8
.LBB39_396:
	s_or_b32 exec_lo, exec_lo, s1
	scratch_load_b64 v[81:82], off, off offset:16
	v_cndmask_b32_e64 v86, 0, 1, s2
	s_mov_b32 s1, exec_lo
	s_waitcnt vmcnt(0)
	ds_store_b64 v84, v[81:82]
	s_waitcnt lgkmcnt(0)
	s_waitcnt_vscnt null, 0x0
	s_barrier
	buffer_gl0_inv
	v_cmpx_gt_u32_e32 2, v0
	s_cbranch_execz .LBB39_404
; %bb.397:
	s_and_not1_b32 vcc_lo, exec_lo, s2
	s_cbranch_vccnz .LBB39_399
; %bb.398:
	scratch_load_b64 v[81:82], v85, off
	ds_load_b64 v[87:88], v84
	s_waitcnt vmcnt(0) lgkmcnt(0)
	v_mul_f64 v[81:82], v[81:82], v[87:88]
	s_cbranch_execz .LBB39_400
	s_branch .LBB39_401
.LBB39_399:
                                        ; implicit-def: $vgpr81_vgpr82
.LBB39_400:
	ds_load_b64 v[81:82], v84
.LBB39_401:
	s_and_saveexec_b32 s2, s0
	s_cbranch_execz .LBB39_403
; %bb.402:
	scratch_load_b64 v[87:88], v85, off offset:8
	ds_load_b64 v[89:90], v84 offset:8
	s_waitcnt vmcnt(0) lgkmcnt(0)
	v_fma_f64 v[81:82], v[87:88], v[89:90], v[81:82]
.LBB39_403:
	s_or_b32 exec_lo, exec_lo, s2
	v_mov_b32_e32 v87, 0
	ds_load_b64 v[87:88], v87 offset:16
	s_waitcnt lgkmcnt(0)
	v_mul_f64 v[81:82], v[81:82], v[87:88]
	scratch_store_b64 off, v[81:82], off offset:16
.LBB39_404:
	s_or_b32 exec_lo, exec_lo, s1
	scratch_load_b64 v[81:82], off, off offset:24
	s_mov_b32 s1, exec_lo
	s_waitcnt vmcnt(0)
	ds_store_b64 v84, v[81:82]
	s_waitcnt lgkmcnt(0)
	s_waitcnt_vscnt null, 0x0
	s_barrier
	buffer_gl0_inv
	v_cmpx_gt_u32_e32 3, v0
	s_cbranch_execz .LBB39_414
; %bb.405:
	v_cmp_ne_u32_e32 vcc_lo, 1, v86
	s_cbranch_vccnz .LBB39_407
; %bb.406:
	scratch_load_b64 v[81:82], v85, off
	ds_load_b64 v[87:88], v84
	s_waitcnt vmcnt(0) lgkmcnt(0)
	v_mul_f64 v[81:82], v[81:82], v[87:88]
	s_cbranch_execz .LBB39_408
	s_branch .LBB39_409
.LBB39_407:
                                        ; implicit-def: $vgpr81_vgpr82
.LBB39_408:
	ds_load_b64 v[81:82], v84
.LBB39_409:
	s_mov_b32 s2, exec_lo
	v_cmpx_ne_u32_e32 2, v0
	s_cbranch_execz .LBB39_413
; %bb.410:
	scratch_load_b64 v[87:88], v85, off offset:8
	ds_load_b64 v[89:90], v84 offset:8
	s_waitcnt vmcnt(0) lgkmcnt(0)
	v_fma_f64 v[81:82], v[87:88], v[89:90], v[81:82]
	s_and_saveexec_b32 s3, s0
	s_cbranch_execz .LBB39_412
; %bb.411:
	scratch_load_b64 v[87:88], off, off offset:16
	v_mov_b32_e32 v89, 0
	ds_load_b64 v[89:90], v89 offset:336
	s_waitcnt vmcnt(0) lgkmcnt(0)
	v_fma_f64 v[81:82], v[87:88], v[89:90], v[81:82]
.LBB39_412:
	s_or_b32 exec_lo, exec_lo, s3
.LBB39_413:
	s_delay_alu instid0(SALU_CYCLE_1)
	s_or_b32 exec_lo, exec_lo, s2
	v_mov_b32_e32 v87, 0
	ds_load_b64 v[87:88], v87 offset:24
	s_waitcnt lgkmcnt(0)
	v_mul_f64 v[81:82], v[81:82], v[87:88]
	scratch_store_b64 off, v[81:82], off offset:24
.LBB39_414:
	s_or_b32 exec_lo, exec_lo, s1
	scratch_load_b64 v[81:82], off, off offset:32
	s_mov_b32 s0, exec_lo
	s_waitcnt vmcnt(0)
	ds_store_b64 v84, v[81:82]
	s_waitcnt lgkmcnt(0)
	s_waitcnt_vscnt null, 0x0
	s_barrier
	buffer_gl0_inv
	v_cmpx_gt_u32_e32 4, v0
	s_cbranch_execz .LBB39_424
; %bb.415:
	v_cmp_ne_u32_e32 vcc_lo, 1, v86
	s_cbranch_vccnz .LBB39_417
; %bb.416:
	scratch_load_b64 v[81:82], v85, off
	ds_load_b64 v[87:88], v84
	s_waitcnt vmcnt(0) lgkmcnt(0)
	v_mul_f64 v[81:82], v[81:82], v[87:88]
	s_cbranch_execz .LBB39_418
	s_branch .LBB39_419
.LBB39_417:
                                        ; implicit-def: $vgpr81_vgpr82
.LBB39_418:
	ds_load_b64 v[81:82], v84
.LBB39_419:
	s_mov_b32 s1, exec_lo
	v_cmpx_ne_u32_e32 3, v0
	s_cbranch_execz .LBB39_423
; %bb.420:
	v_add_nc_u32_e32 v87, 0x148, v83
	v_add3_u32 v88, 0, v83, 8
	v_mov_b32_e32 v89, v0
	s_mov_b32 s2, 0
.LBB39_421:                             ; =>This Inner Loop Header: Depth=1
	scratch_load_b64 v[90:91], v88, off
	ds_load_b64 v[92:93], v87
	v_add_nc_u32_e32 v89, 1, v89
	v_add_nc_u32_e32 v87, 8, v87
	v_add_nc_u32_e32 v88, 8, v88
	s_delay_alu instid0(VALU_DEP_3)
	v_cmp_lt_u32_e32 vcc_lo, 2, v89
	s_or_b32 s2, vcc_lo, s2
	s_waitcnt vmcnt(0) lgkmcnt(0)
	v_fma_f64 v[81:82], v[90:91], v[92:93], v[81:82]
	s_and_not1_b32 exec_lo, exec_lo, s2
	s_cbranch_execnz .LBB39_421
; %bb.422:
	s_or_b32 exec_lo, exec_lo, s2
.LBB39_423:
	s_delay_alu instid0(SALU_CYCLE_1)
	s_or_b32 exec_lo, exec_lo, s1
	v_mov_b32_e32 v87, 0
	ds_load_b64 v[87:88], v87 offset:32
	s_waitcnt lgkmcnt(0)
	v_mul_f64 v[81:82], v[81:82], v[87:88]
	scratch_store_b64 off, v[81:82], off offset:32
.LBB39_424:
	s_or_b32 exec_lo, exec_lo, s0
	scratch_load_b64 v[81:82], off, off offset:40
	s_mov_b32 s0, exec_lo
	s_waitcnt vmcnt(0)
	ds_store_b64 v84, v[81:82]
	s_waitcnt lgkmcnt(0)
	s_waitcnt_vscnt null, 0x0
	s_barrier
	buffer_gl0_inv
	v_cmpx_gt_u32_e32 5, v0
	s_cbranch_execz .LBB39_434
; %bb.425:
	v_cmp_ne_u32_e32 vcc_lo, 1, v86
	s_cbranch_vccnz .LBB39_427
; %bb.426:
	scratch_load_b64 v[81:82], v85, off
	ds_load_b64 v[87:88], v84
	s_waitcnt vmcnt(0) lgkmcnt(0)
	v_mul_f64 v[81:82], v[81:82], v[87:88]
	s_cbranch_execz .LBB39_428
	s_branch .LBB39_429
.LBB39_427:
                                        ; implicit-def: $vgpr81_vgpr82
.LBB39_428:
	ds_load_b64 v[81:82], v84
.LBB39_429:
	s_mov_b32 s1, exec_lo
	v_cmpx_ne_u32_e32 4, v0
	s_cbranch_execz .LBB39_433
; %bb.430:
	v_add_nc_u32_e32 v87, 0x148, v83
	v_add3_u32 v88, 0, v83, 8
	v_mov_b32_e32 v89, v0
	s_mov_b32 s2, 0
.LBB39_431:                             ; =>This Inner Loop Header: Depth=1
	scratch_load_b64 v[90:91], v88, off
	ds_load_b64 v[92:93], v87
	v_add_nc_u32_e32 v89, 1, v89
	v_add_nc_u32_e32 v87, 8, v87
	v_add_nc_u32_e32 v88, 8, v88
	s_delay_alu instid0(VALU_DEP_3)
	v_cmp_lt_u32_e32 vcc_lo, 3, v89
	s_or_b32 s2, vcc_lo, s2
	s_waitcnt vmcnt(0) lgkmcnt(0)
	v_fma_f64 v[81:82], v[90:91], v[92:93], v[81:82]
	s_and_not1_b32 exec_lo, exec_lo, s2
	s_cbranch_execnz .LBB39_431
; %bb.432:
	s_or_b32 exec_lo, exec_lo, s2
.LBB39_433:
	s_delay_alu instid0(SALU_CYCLE_1)
	s_or_b32 exec_lo, exec_lo, s1
	v_mov_b32_e32 v87, 0
	ds_load_b64 v[87:88], v87 offset:40
	s_waitcnt lgkmcnt(0)
	v_mul_f64 v[81:82], v[81:82], v[87:88]
	scratch_store_b64 off, v[81:82], off offset:40
.LBB39_434:
	;; [unrolled: 58-line block ×34, first 2 shown]
	s_or_b32 exec_lo, exec_lo, s0
	scratch_load_b64 v[81:82], off, off offset:304
	v_cmp_gt_u32_e64 s0, 38, v0
	s_waitcnt vmcnt(0)
	ds_store_b64 v84, v[81:82]
	s_waitcnt lgkmcnt(0)
	s_waitcnt_vscnt null, 0x0
	s_barrier
	buffer_gl0_inv
	s_and_saveexec_b32 s1, s0
	s_cbranch_execz .LBB39_764
; %bb.755:
	v_cmp_ne_u32_e32 vcc_lo, 1, v86
	s_cbranch_vccnz .LBB39_757
; %bb.756:
	scratch_load_b64 v[81:82], v85, off
	ds_load_b64 v[87:88], v84
	s_waitcnt vmcnt(0) lgkmcnt(0)
	v_mul_f64 v[81:82], v[81:82], v[87:88]
	s_cbranch_execz .LBB39_758
	s_branch .LBB39_759
.LBB39_757:
                                        ; implicit-def: $vgpr81_vgpr82
.LBB39_758:
	ds_load_b64 v[81:82], v84
.LBB39_759:
	s_mov_b32 s2, exec_lo
	v_cmpx_ne_u32_e32 37, v0
	s_cbranch_execz .LBB39_763
; %bb.760:
	v_add_nc_u32_e32 v87, 0x148, v83
	v_add3_u32 v88, 0, v83, 8
	v_mov_b32_e32 v89, v0
	s_mov_b32 s3, 0
.LBB39_761:                             ; =>This Inner Loop Header: Depth=1
	scratch_load_b64 v[90:91], v88, off
	ds_load_b64 v[92:93], v87
	v_add_nc_u32_e32 v89, 1, v89
	v_add_nc_u32_e32 v87, 8, v87
	;; [unrolled: 1-line block ×3, first 2 shown]
	s_delay_alu instid0(VALU_DEP_3)
	v_cmp_lt_u32_e32 vcc_lo, 36, v89
	s_or_b32 s3, vcc_lo, s3
	s_waitcnt vmcnt(0) lgkmcnt(0)
	v_fma_f64 v[81:82], v[90:91], v[92:93], v[81:82]
	s_and_not1_b32 exec_lo, exec_lo, s3
	s_cbranch_execnz .LBB39_761
; %bb.762:
	s_or_b32 exec_lo, exec_lo, s3
.LBB39_763:
	s_delay_alu instid0(SALU_CYCLE_1)
	s_or_b32 exec_lo, exec_lo, s2
	v_mov_b32_e32 v87, 0
	ds_load_b64 v[87:88], v87 offset:304
	s_waitcnt lgkmcnt(0)
	v_mul_f64 v[81:82], v[81:82], v[87:88]
	scratch_store_b64 off, v[81:82], off offset:304
.LBB39_764:
	s_or_b32 exec_lo, exec_lo, s1
	scratch_load_b64 v[81:82], off, off offset:312
	s_mov_b32 s1, exec_lo
	s_waitcnt vmcnt(0)
	ds_store_b64 v84, v[81:82]
	s_waitcnt lgkmcnt(0)
	s_waitcnt_vscnt null, 0x0
	s_barrier
	buffer_gl0_inv
	v_cmpx_ne_u32_e32 39, v0
	s_cbranch_execz .LBB39_774
; %bb.765:
	v_cmp_ne_u32_e32 vcc_lo, 1, v86
	s_cbranch_vccnz .LBB39_767
; %bb.766:
	scratch_load_b64 v[81:82], v85, off
	ds_load_b64 v[85:86], v84
	s_waitcnt vmcnt(0) lgkmcnt(0)
	v_mul_f64 v[81:82], v[81:82], v[85:86]
	s_cbranch_execz .LBB39_768
	s_branch .LBB39_769
.LBB39_767:
                                        ; implicit-def: $vgpr81_vgpr82
.LBB39_768:
	ds_load_b64 v[81:82], v84
.LBB39_769:
	s_and_saveexec_b32 s2, s0
	s_cbranch_execz .LBB39_773
; %bb.770:
	v_add_nc_u32_e32 v84, 0x148, v83
	v_add3_u32 v83, 0, v83, 8
	s_mov_b32 s0, 0
.LBB39_771:                             ; =>This Inner Loop Header: Depth=1
	scratch_load_b64 v[85:86], v83, off
	ds_load_b64 v[87:88], v84
	v_add_nc_u32_e32 v0, 1, v0
	v_add_nc_u32_e32 v84, 8, v84
	;; [unrolled: 1-line block ×3, first 2 shown]
	s_delay_alu instid0(VALU_DEP_3)
	v_cmp_lt_u32_e32 vcc_lo, 37, v0
	s_or_b32 s0, vcc_lo, s0
	s_waitcnt vmcnt(0) lgkmcnt(0)
	v_fma_f64 v[81:82], v[85:86], v[87:88], v[81:82]
	s_and_not1_b32 exec_lo, exec_lo, s0
	s_cbranch_execnz .LBB39_771
; %bb.772:
	s_or_b32 exec_lo, exec_lo, s0
.LBB39_773:
	s_delay_alu instid0(SALU_CYCLE_1)
	s_or_b32 exec_lo, exec_lo, s2
	v_mov_b32_e32 v0, 0
	ds_load_b64 v[83:84], v0 offset:312
	s_waitcnt lgkmcnt(0)
	v_mul_f64 v[81:82], v[81:82], v[83:84]
	scratch_store_b64 off, v[81:82], off offset:312
.LBB39_774:
	s_or_b32 exec_lo, exec_lo, s1
.LBB39_775:
	s_clause 0xa
	scratch_load_b128 v[81:84], off, off
	scratch_load_b128 v[85:88], off, off offset:16
	scratch_load_b128 v[89:92], off, off offset:32
	;; [unrolled: 1-line block ×10, first 2 shown]
	s_waitcnt vmcnt(10)
	s_clause 0x1
	global_store_b64 v[7:8], v[81:82], off
	global_store_b64 v[5:6], v[83:84], off
	s_clause 0x1
	scratch_load_b128 v[5:8], off, off offset:144
	scratch_load_b128 v[81:84], off, off offset:160
	s_waitcnt vmcnt(11)
	s_clause 0x1
	global_store_b64 v[19:20], v[85:86], off
	global_store_b64 v[25:26], v[87:88], off
	scratch_load_b128 v[85:88], off, off offset:176
	s_waitcnt vmcnt(11)
	global_store_b64 v[17:18], v[89:90], off
	scratch_load_b128 v[17:20], off, off offset:192
	global_store_b64 v[11:12], v[91:92], off
	scratch_load_b128 v[89:92], off, off offset:208
	s_waitcnt vmcnt(12)
	s_clause 0x1
	global_store_b64 v[21:22], v[93:94], off
	global_store_b64 v[13:14], v[95:96], off
	s_clause 0x1
	scratch_load_b128 v[11:14], off, off offset:240
	scratch_load_b128 v[93:96], off, off offset:256
	s_waitcnt vmcnt(13)
	s_clause 0x1
	global_store_b64 v[15:16], v[97:98], off
	global_store_b64 v[9:10], v[99:100], off
	scratch_load_b128 v[97:100], off, off offset:272
	s_waitcnt vmcnt(13)
	s_clause 0x1
	global_store_b64 v[33:34], v[101:102], off
	global_store_b64 v[29:30], v[103:104], off
	;; [unrolled: 5-line block ×3, first 2 shown]
	s_waitcnt vmcnt(12)
	s_clause 0x1
	global_store_b64 v[35:36], v[109:110], off
	global_store_b64 v[37:38], v[111:112], off
	s_waitcnt vmcnt(11)
	s_clause 0x1
	global_store_b64 v[1:2], v[113:114], off
	global_store_b64 v[3:4], v[115:116], off
	;; [unrolled: 4-line block ×7, first 2 shown]
	global_store_b64 v[59:60], v[117:118], off
	global_store_b64 v[61:62], v[119:120], off
	s_waitcnt vmcnt(3)
	s_clause 0x1
	global_store_b64 v[63:64], v[11:12], off
	global_store_b64 v[65:66], v[13:14], off
	s_waitcnt vmcnt(2)
	s_clause 0x1
	global_store_b64 v[67:68], v[93:94], off
	global_store_b64 v[69:70], v[95:96], off
	s_waitcnt vmcnt(1)
	s_clause 0x3
	global_store_b64 v[71:72], v[97:98], off
	global_store_b64 v[75:76], v[99:100], off
	;; [unrolled: 1-line block ×4, first 2 shown]
	s_waitcnt vmcnt(0)
	s_clause 0x1
	global_store_b64 v[73:74], v[101:102], off
	global_store_b64 v[23:24], v[103:104], off
.LBB39_776:
	s_endpgm
	.section	.rodata,"a",@progbits
	.p2align	6, 0x0
	.amdhsa_kernel _ZN9rocsolver6v33100L18trti2_kernel_smallILi40EdPdEEv13rocblas_fill_17rocblas_diagonal_T1_iil
		.amdhsa_group_segment_fixed_size 640
		.amdhsa_private_segment_fixed_size 336
		.amdhsa_kernarg_size 32
		.amdhsa_user_sgpr_count 15
		.amdhsa_user_sgpr_dispatch_ptr 0
		.amdhsa_user_sgpr_queue_ptr 0
		.amdhsa_user_sgpr_kernarg_segment_ptr 1
		.amdhsa_user_sgpr_dispatch_id 0
		.amdhsa_user_sgpr_private_segment_size 0
		.amdhsa_wavefront_size32 1
		.amdhsa_uses_dynamic_stack 0
		.amdhsa_enable_private_segment 1
		.amdhsa_system_sgpr_workgroup_id_x 1
		.amdhsa_system_sgpr_workgroup_id_y 0
		.amdhsa_system_sgpr_workgroup_id_z 0
		.amdhsa_system_sgpr_workgroup_info 0
		.amdhsa_system_vgpr_workitem_id 0
		.amdhsa_next_free_vgpr 126
		.amdhsa_next_free_sgpr 17
		.amdhsa_reserve_vcc 1
		.amdhsa_float_round_mode_32 0
		.amdhsa_float_round_mode_16_64 0
		.amdhsa_float_denorm_mode_32 3
		.amdhsa_float_denorm_mode_16_64 3
		.amdhsa_dx10_clamp 1
		.amdhsa_ieee_mode 1
		.amdhsa_fp16_overflow 0
		.amdhsa_workgroup_processor_mode 1
		.amdhsa_memory_ordered 1
		.amdhsa_forward_progress 0
		.amdhsa_shared_vgpr_count 0
		.amdhsa_exception_fp_ieee_invalid_op 0
		.amdhsa_exception_fp_denorm_src 0
		.amdhsa_exception_fp_ieee_div_zero 0
		.amdhsa_exception_fp_ieee_overflow 0
		.amdhsa_exception_fp_ieee_underflow 0
		.amdhsa_exception_fp_ieee_inexact 0
		.amdhsa_exception_int_div_zero 0
	.end_amdhsa_kernel
	.section	.text._ZN9rocsolver6v33100L18trti2_kernel_smallILi40EdPdEEv13rocblas_fill_17rocblas_diagonal_T1_iil,"axG",@progbits,_ZN9rocsolver6v33100L18trti2_kernel_smallILi40EdPdEEv13rocblas_fill_17rocblas_diagonal_T1_iil,comdat
.Lfunc_end39:
	.size	_ZN9rocsolver6v33100L18trti2_kernel_smallILi40EdPdEEv13rocblas_fill_17rocblas_diagonal_T1_iil, .Lfunc_end39-_ZN9rocsolver6v33100L18trti2_kernel_smallILi40EdPdEEv13rocblas_fill_17rocblas_diagonal_T1_iil
                                        ; -- End function
	.section	.AMDGPU.csdata,"",@progbits
; Kernel info:
; codeLenInByte = 21772
; NumSgprs: 19
; NumVgprs: 126
; ScratchSize: 336
; MemoryBound: 0
; FloatMode: 240
; IeeeMode: 1
; LDSByteSize: 640 bytes/workgroup (compile time only)
; SGPRBlocks: 2
; VGPRBlocks: 15
; NumSGPRsForWavesPerEU: 19
; NumVGPRsForWavesPerEU: 126
; Occupancy: 10
; WaveLimiterHint : 0
; COMPUTE_PGM_RSRC2:SCRATCH_EN: 1
; COMPUTE_PGM_RSRC2:USER_SGPR: 15
; COMPUTE_PGM_RSRC2:TRAP_HANDLER: 0
; COMPUTE_PGM_RSRC2:TGID_X_EN: 1
; COMPUTE_PGM_RSRC2:TGID_Y_EN: 0
; COMPUTE_PGM_RSRC2:TGID_Z_EN: 0
; COMPUTE_PGM_RSRC2:TIDIG_COMP_CNT: 0
	.section	.text._ZN9rocsolver6v33100L18trti2_kernel_smallILi41EdPdEEv13rocblas_fill_17rocblas_diagonal_T1_iil,"axG",@progbits,_ZN9rocsolver6v33100L18trti2_kernel_smallILi41EdPdEEv13rocblas_fill_17rocblas_diagonal_T1_iil,comdat
	.globl	_ZN9rocsolver6v33100L18trti2_kernel_smallILi41EdPdEEv13rocblas_fill_17rocblas_diagonal_T1_iil ; -- Begin function _ZN9rocsolver6v33100L18trti2_kernel_smallILi41EdPdEEv13rocblas_fill_17rocblas_diagonal_T1_iil
	.p2align	8
	.type	_ZN9rocsolver6v33100L18trti2_kernel_smallILi41EdPdEEv13rocblas_fill_17rocblas_diagonal_T1_iil,@function
_ZN9rocsolver6v33100L18trti2_kernel_smallILi41EdPdEEv13rocblas_fill_17rocblas_diagonal_T1_iil: ; @_ZN9rocsolver6v33100L18trti2_kernel_smallILi41EdPdEEv13rocblas_fill_17rocblas_diagonal_T1_iil
; %bb.0:
	s_mov_b32 s2, exec_lo
	v_cmpx_gt_u32_e32 41, v0
	s_cbranch_execz .LBB40_796
; %bb.1:
	s_load_b256 s[0:7], s[0:1], 0x0
	s_ashr_i32 s8, s15, 31
	v_lshlrev_b32_e32 v95, 3, v0
	s_waitcnt lgkmcnt(0)
	s_mul_i32 s7, s15, s7
	s_mul_hi_u32 s10, s15, s6
	v_add3_u32 v1, s5, s5, v0
	s_mul_i32 s11, s8, s6
	s_ashr_i32 s9, s4, 31
	s_mov_b32 s8, s4
	s_add_i32 s4, s10, s7
	s_mul_i32 s6, s15, s6
	s_add_i32 s7, s4, s11
	v_add_nc_u32_e32 v3, s5, v1
	s_lshl_b64 s[6:7], s[6:7], 3
	v_ashrrev_i32_e32 v2, 31, v1
	s_add_u32 s4, s2, s6
	s_addc_u32 s6, s3, s7
	s_lshl_b64 s[2:3], s[8:9], 3
	v_add_nc_u32_e32 v7, s5, v3
	s_add_u32 s2, s4, s2
	s_addc_u32 s3, s6, s3
	v_add_co_u32 v15, s4, s2, v95
	s_mov_b32 s10, s5
	s_ashr_i32 s11, s5, 31
	v_lshlrev_b64 v[5:6], 3, v[1:2]
	v_add_co_ci_u32_e64 v16, null, s3, 0, s4
	s_lshl_b64 s[6:7], s[10:11], 3
	v_add_nc_u32_e32 v9, s5, v7
	v_add_co_u32 v19, vcc_lo, v15, s6
	s_delay_alu instid0(VALU_DEP_3) | instskip(SKIP_4) | instid1(VALU_DEP_4)
	v_add_co_ci_u32_e32 v20, vcc_lo, s7, v16, vcc_lo
	v_ashrrev_i32_e32 v4, 31, v3
	v_add_co_u32 v13, vcc_lo, s2, v5
	v_add_nc_u32_e32 v5, s5, v9
	v_ashrrev_i32_e32 v8, 31, v7
	v_lshlrev_b64 v[3:4], 3, v[3:4]
	v_ashrrev_i32_e32 v10, 31, v9
	v_add_co_ci_u32_e32 v14, vcc_lo, s3, v6, vcc_lo
	v_add_nc_u32_e32 v11, s5, v5
	v_lshlrev_b64 v[7:8], 3, v[7:8]
	v_add_co_u32 v17, vcc_lo, s2, v3
	v_ashrrev_i32_e32 v6, 31, v5
	s_delay_alu instid0(VALU_DEP_4) | instskip(SKIP_3) | instid1(VALU_DEP_4)
	v_add_nc_u32_e32 v27, s5, v11
	v_add_co_ci_u32_e32 v18, vcc_lo, s3, v4, vcc_lo
	v_lshlrev_b64 v[3:4], 3, v[9:10]
	v_ashrrev_i32_e32 v12, 31, v11
	v_add_nc_u32_e32 v33, s5, v27
	v_add_co_u32 v21, vcc_lo, s2, v7
	v_lshlrev_b64 v[25:26], 3, v[5:6]
	v_ashrrev_i32_e32 v28, 31, v27
	v_add_co_ci_u32_e32 v22, vcc_lo, s3, v8, vcc_lo
	v_add_co_u32 v23, vcc_lo, s2, v3
	v_lshlrev_b64 v[29:30], 3, v[11:12]
	v_ashrrev_i32_e32 v34, 31, v33
	v_add_co_ci_u32_e32 v24, vcc_lo, s3, v4, vcc_lo
	v_add_co_u32 v25, vcc_lo, s2, v25
	v_lshlrev_b64 v[31:32], 3, v[27:28]
	v_add_co_ci_u32_e32 v26, vcc_lo, s3, v26, vcc_lo
	v_add_co_u32 v27, vcc_lo, s2, v29
	v_lshlrev_b64 v[34:35], 3, v[33:34]
	v_add_co_ci_u32_e32 v28, vcc_lo, s3, v30, vcc_lo
	v_add_co_u32 v29, vcc_lo, s2, v31
	s_clause 0x4
	global_load_b64 v[1:2], v95, s[2:3]
	global_load_b64 v[3:4], v[19:20], off
	global_load_b64 v[5:6], v[13:14], off
	;; [unrolled: 1-line block ×4, first 2 shown]
	v_add_co_ci_u32_e32 v30, vcc_lo, s3, v32, vcc_lo
	global_load_b64 v[11:12], v[23:24], off
	v_add_co_u32 v31, vcc_lo, s2, v34
	v_add_co_ci_u32_e32 v32, vcc_lo, s3, v35, vcc_lo
	s_clause 0x3
	global_load_b64 v[96:97], v[25:26], off
	global_load_b64 v[98:99], v[27:28], off
	;; [unrolled: 1-line block ×4, first 2 shown]
	v_add_nc_u32_e32 v33, s5, v33
	s_cmpk_lg_i32 s1, 0x84
	s_delay_alu instid0(VALU_DEP_1) | instskip(SKIP_1) | instid1(VALU_DEP_2)
	v_add_nc_u32_e32 v35, s5, v33
	v_ashrrev_i32_e32 v34, 31, v33
	v_add_nc_u32_e32 v37, s5, v35
	v_ashrrev_i32_e32 v36, 31, v35
	s_delay_alu instid0(VALU_DEP_3) | instskip(NEXT) | instid1(VALU_DEP_3)
	v_lshlrev_b64 v[33:34], 3, v[33:34]
	v_ashrrev_i32_e32 v38, 31, v37
	v_add_nc_u32_e32 v39, s5, v37
	s_delay_alu instid0(VALU_DEP_4) | instskip(NEXT) | instid1(VALU_DEP_4)
	v_lshlrev_b64 v[35:36], 3, v[35:36]
	v_add_co_u32 v45, vcc_lo, s2, v33
	v_add_co_ci_u32_e32 v46, vcc_lo, s3, v34, vcc_lo
	v_lshlrev_b64 v[33:34], 3, v[37:38]
	v_ashrrev_i32_e32 v40, 31, v39
	v_add_nc_u32_e32 v37, s5, v39
	v_add_co_u32 v41, vcc_lo, s2, v35
	v_add_co_ci_u32_e32 v42, vcc_lo, s3, v36, vcc_lo
	s_delay_alu instid0(VALU_DEP_4) | instskip(NEXT) | instid1(VALU_DEP_4)
	v_lshlrev_b64 v[35:36], 3, v[39:40]
	v_add_nc_u32_e32 v39, s5, v37
	v_ashrrev_i32_e32 v38, 31, v37
	v_add_co_u32 v33, vcc_lo, s2, v33
	v_add_co_ci_u32_e32 v34, vcc_lo, s3, v34, vcc_lo
	s_delay_alu instid0(VALU_DEP_4) | instskip(SKIP_3) | instid1(VALU_DEP_4)
	v_add_nc_u32_e32 v43, s5, v39
	v_ashrrev_i32_e32 v40, 31, v39
	v_lshlrev_b64 v[37:38], 3, v[37:38]
	v_add_co_u32 v35, vcc_lo, s2, v35
	v_add_nc_u32_e32 v47, s5, v43
	v_ashrrev_i32_e32 v44, 31, v43
	v_lshlrev_b64 v[39:40], 3, v[39:40]
	v_add_co_ci_u32_e32 v36, vcc_lo, s3, v36, vcc_lo
	s_delay_alu instid0(VALU_DEP_4) | instskip(SKIP_3) | instid1(VALU_DEP_4)
	v_add_nc_u32_e32 v49, s5, v47
	v_ashrrev_i32_e32 v48, 31, v47
	v_add_co_u32 v37, vcc_lo, s2, v37
	v_lshlrev_b64 v[43:44], 3, v[43:44]
	v_add_nc_u32_e32 v51, s5, v49
	v_ashrrev_i32_e32 v50, 31, v49
	v_add_co_ci_u32_e32 v38, vcc_lo, s3, v38, vcc_lo
	v_add_co_u32 v39, vcc_lo, s2, v39
	s_delay_alu instid0(VALU_DEP_4) | instskip(SKIP_3) | instid1(VALU_DEP_4)
	v_add_nc_u32_e32 v53, s5, v51
	v_lshlrev_b64 v[47:48], 3, v[47:48]
	v_ashrrev_i32_e32 v52, 31, v51
	v_add_co_ci_u32_e32 v40, vcc_lo, s3, v40, vcc_lo
	v_add_nc_u32_e32 v55, s5, v53
	v_add_co_u32 v43, vcc_lo, s2, v43
	v_lshlrev_b64 v[49:50], 3, v[49:50]
	v_ashrrev_i32_e32 v54, 31, v53
	s_delay_alu instid0(VALU_DEP_4) | instskip(SKIP_2) | instid1(VALU_DEP_3)
	v_add_nc_u32_e32 v57, s5, v55
	v_add_co_ci_u32_e32 v44, vcc_lo, s3, v44, vcc_lo
	v_add_co_u32 v47, vcc_lo, s2, v47
	v_add_nc_u32_e32 v59, s5, v57
	v_lshlrev_b64 v[51:52], 3, v[51:52]
	v_ashrrev_i32_e32 v56, 31, v55
	v_add_co_ci_u32_e32 v48, vcc_lo, s3, v48, vcc_lo
	v_add_co_u32 v49, vcc_lo, s2, v49
	v_lshlrev_b64 v[53:54], 3, v[53:54]
	v_add_nc_u32_e32 v61, s5, v59
	v_ashrrev_i32_e32 v58, 31, v57
	v_add_co_ci_u32_e32 v50, vcc_lo, s3, v50, vcc_lo
	v_add_co_u32 v51, vcc_lo, s2, v51
	v_lshlrev_b64 v[55:56], 3, v[55:56]
	v_ashrrev_i32_e32 v60, 31, v59
	v_add_co_ci_u32_e32 v52, vcc_lo, s3, v52, vcc_lo
	v_add_nc_u32_e32 v63, s5, v61
	v_add_co_u32 v53, vcc_lo, s2, v53
	v_lshlrev_b64 v[57:58], 3, v[57:58]
	v_ashrrev_i32_e32 v62, 31, v61
	v_add_co_ci_u32_e32 v54, vcc_lo, s3, v54, vcc_lo
	v_add_co_u32 v55, vcc_lo, s2, v55
	v_lshlrev_b64 v[59:60], 3, v[59:60]
	v_ashrrev_i32_e32 v64, 31, v63
	v_add_co_ci_u32_e32 v56, vcc_lo, s3, v56, vcc_lo
	v_add_co_u32 v57, vcc_lo, s2, v57
	v_lshlrev_b64 v[61:62], 3, v[61:62]
	v_add_co_ci_u32_e32 v58, vcc_lo, s3, v58, vcc_lo
	v_add_nc_u32_e32 v65, s5, v63
	v_add_co_u32 v59, vcc_lo, s2, v59
	v_lshlrev_b64 v[63:64], 3, v[63:64]
	v_add_co_ci_u32_e32 v60, vcc_lo, s3, v60, vcc_lo
	s_clause 0x2
	global_load_b64 v[104:105], v[45:46], off
	global_load_b64 v[106:107], v[41:42], off
	;; [unrolled: 1-line block ×3, first 2 shown]
	v_add_co_u32 v61, vcc_lo, s2, v61
	global_load_b64 v[110:111], v[35:36], off
	v_add_co_ci_u32_e32 v62, vcc_lo, s3, v62, vcc_lo
	v_add_co_u32 v63, vcc_lo, s2, v63
	v_add_co_ci_u32_e32 v64, vcc_lo, s3, v64, vcc_lo
	v_add_nc_u32_e32 v67, s5, v65
	v_ashrrev_i32_e32 v66, 31, v65
	s_delay_alu instid0(VALU_DEP_2) | instskip(SKIP_1) | instid1(VALU_DEP_3)
	v_add_nc_u32_e32 v69, s5, v67
	v_ashrrev_i32_e32 v68, 31, v67
	v_lshlrev_b64 v[65:66], 3, v[65:66]
	s_delay_alu instid0(VALU_DEP_3) | instskip(SKIP_1) | instid1(VALU_DEP_4)
	v_add_nc_u32_e32 v71, s5, v69
	v_ashrrev_i32_e32 v70, 31, v69
	v_lshlrev_b64 v[67:68], 3, v[67:68]
	s_delay_alu instid0(VALU_DEP_4) | instskip(NEXT) | instid1(VALU_DEP_4)
	v_add_co_u32 v65, vcc_lo, s2, v65
	v_add_nc_u32_e32 v73, s5, v71
	v_ashrrev_i32_e32 v72, 31, v71
	v_lshlrev_b64 v[69:70], 3, v[69:70]
	v_add_co_ci_u32_e32 v66, vcc_lo, s3, v66, vcc_lo
	s_delay_alu instid0(VALU_DEP_4) | instskip(SKIP_3) | instid1(VALU_DEP_4)
	v_add_nc_u32_e32 v75, s5, v73
	v_ashrrev_i32_e32 v74, 31, v73
	v_add_co_u32 v67, vcc_lo, s2, v67
	v_lshlrev_b64 v[71:72], 3, v[71:72]
	v_add_nc_u32_e32 v77, s5, v75
	v_ashrrev_i32_e32 v76, 31, v75
	v_add_co_ci_u32_e32 v68, vcc_lo, s3, v68, vcc_lo
	v_add_co_u32 v69, vcc_lo, s2, v69
	s_delay_alu instid0(VALU_DEP_4) | instskip(SKIP_3) | instid1(VALU_DEP_4)
	v_add_nc_u32_e32 v79, s5, v77
	v_lshlrev_b64 v[73:74], 3, v[73:74]
	v_ashrrev_i32_e32 v78, 31, v77
	v_add_co_ci_u32_e32 v70, vcc_lo, s3, v70, vcc_lo
	v_add_nc_u32_e32 v81, s5, v79
	v_add_co_u32 v71, vcc_lo, s2, v71
	v_lshlrev_b64 v[75:76], 3, v[75:76]
	v_ashrrev_i32_e32 v80, 31, v79
	s_delay_alu instid0(VALU_DEP_4) | instskip(SKIP_2) | instid1(VALU_DEP_3)
	v_add_nc_u32_e32 v83, s5, v81
	v_add_co_ci_u32_e32 v72, vcc_lo, s3, v72, vcc_lo
	v_add_co_u32 v73, vcc_lo, s2, v73
	v_add_nc_u32_e32 v85, s5, v83
	v_lshlrev_b64 v[77:78], 3, v[77:78]
	v_ashrrev_i32_e32 v82, 31, v81
	v_add_co_ci_u32_e32 v74, vcc_lo, s3, v74, vcc_lo
	s_delay_alu instid0(VALU_DEP_4) | instskip(SKIP_3) | instid1(VALU_DEP_4)
	v_add_nc_u32_e32 v87, s5, v85
	v_add_co_u32 v75, vcc_lo, s2, v75
	v_lshlrev_b64 v[79:80], 3, v[79:80]
	v_ashrrev_i32_e32 v84, 31, v83
	v_add_nc_u32_e32 v89, s5, v87
	v_add_co_ci_u32_e32 v76, vcc_lo, s3, v76, vcc_lo
	v_add_co_u32 v77, vcc_lo, s2, v77
	v_lshlrev_b64 v[81:82], 3, v[81:82]
	v_ashrrev_i32_e32 v86, 31, v85
	v_add_co_ci_u32_e32 v78, vcc_lo, s3, v78, vcc_lo
	v_add_co_u32 v79, vcc_lo, s2, v79
	v_lshlrev_b64 v[83:84], 3, v[83:84]
	v_add_nc_u32_e32 v91, s5, v89
	v_ashrrev_i32_e32 v88, 31, v87
	v_add_co_ci_u32_e32 v80, vcc_lo, s3, v80, vcc_lo
	v_add_co_u32 v81, vcc_lo, s2, v81
	v_lshlrev_b64 v[85:86], 3, v[85:86]
	v_ashrrev_i32_e32 v90, 31, v89
	v_add_co_ci_u32_e32 v82, vcc_lo, s3, v82, vcc_lo
	v_add_nc_u32_e32 v93, s5, v91
	v_add_co_u32 v83, vcc_lo, s2, v83
	v_lshlrev_b64 v[87:88], 3, v[87:88]
	v_ashrrev_i32_e32 v92, 31, v91
	v_add_co_ci_u32_e32 v84, vcc_lo, s3, v84, vcc_lo
	v_add_co_u32 v85, vcc_lo, s2, v85
	v_lshlrev_b64 v[89:90], 3, v[89:90]
	v_ashrrev_i32_e32 v94, 31, v93
	v_add_co_ci_u32_e32 v86, vcc_lo, s3, v86, vcc_lo
	v_add_co_u32 v87, vcc_lo, s2, v87
	v_lshlrev_b64 v[91:92], 3, v[91:92]
	v_add_co_ci_u32_e32 v88, vcc_lo, s3, v88, vcc_lo
	v_add_co_u32 v89, vcc_lo, s2, v89
	v_lshlrev_b64 v[93:94], 3, v[93:94]
	v_add_co_ci_u32_e32 v90, vcc_lo, s3, v90, vcc_lo
	v_add_co_u32 v91, vcc_lo, s2, v91
	v_add_co_ci_u32_e32 v92, vcc_lo, s3, v92, vcc_lo
	s_delay_alu instid0(VALU_DEP_4)
	v_add_co_u32 v93, vcc_lo, s2, v93
	v_add_co_ci_u32_e32 v94, vcc_lo, s3, v94, vcc_lo
	s_cselect_b32 s3, -1, 0
	s_cmpk_eq_i32 s1, 0x84
	s_waitcnt vmcnt(12)
	scratch_store_b128 off, v[1:4], off
	s_clause 0x3
	global_load_b64 v[1:2], v[37:38], off
	global_load_b64 v[3:4], v[39:40], off
	global_load_b64 v[112:113], v[43:44], off
	global_load_b64 v[114:115], v[47:48], off
	s_waitcnt vmcnt(14)
	scratch_store_b128 off, v[5:8], off offset:16
	s_waitcnt vmcnt(12)
	scratch_store_b128 off, v[9:12], off offset:32
	s_clause 0x3
	global_load_b64 v[5:6], v[49:50], off
	global_load_b64 v[7:8], v[51:52], off
	global_load_b64 v[9:10], v[53:54], off
	global_load_b64 v[11:12], v[55:56], off
	s_waitcnt vmcnt(14)
	scratch_store_b128 off, v[96:99], off offset:48
	s_waitcnt vmcnt(12)
	scratch_store_b128 off, v[100:103], off offset:64
	;; [unrolled: 9-line block ×3, first 2 shown]
	s_clause 0x2
	global_load_b64 v[104:105], v[65:66], off
	global_load_b64 v[106:107], v[67:68], off
	global_load_b64 v[108:109], v[69:70], off
	s_waitcnt vmcnt(13)
	scratch_store_b128 off, v[1:4], off offset:112
	s_waitcnt vmcnt(11)
	scratch_store_b128 off, v[112:115], off offset:128
	s_clause 0x3
	global_load_b64 v[110:111], v[71:72], off
	global_load_b64 v[1:2], v[73:74], off
	global_load_b64 v[3:4], v[75:76], off
	global_load_b64 v[112:113], v[77:78], off
	s_waitcnt vmcnt(13)
	scratch_store_b128 off, v[5:8], off offset:144
	s_waitcnt vmcnt(11)
	scratch_store_b128 off, v[9:12], off offset:160
	s_clause 0x3
	global_load_b64 v[114:115], v[79:80], off
	;; [unrolled: 9-line block ×3, first 2 shown]
	global_load_b64 v[96:97], v[89:90], off
	global_load_b64 v[98:99], v[91:92], off
	;; [unrolled: 1-line block ×3, first 2 shown]
	s_waitcnt vmcnt(13)
	scratch_store_b128 off, v[104:107], off offset:208
	s_waitcnt vmcnt(11)
	scratch_store_b128 off, v[108:111], off offset:224
	;; [unrolled: 2-line block ×5, first 2 shown]
	v_mov_b32_e32 v1, 0
	v_mov_b32_e32 v2, 0xbff00000
	s_waitcnt vmcnt(3)
	scratch_store_b128 off, v[9:12], off offset:288
	s_waitcnt vmcnt(1)
	scratch_store_b128 off, v[96:99], off offset:304
	s_waitcnt vmcnt(0)
	scratch_store_b64 off, v[100:101], off offset:320
	s_cbranch_scc1 .LBB40_3
; %bb.2:
	scratch_load_b64 v[1:2], v95, off
	s_waitcnt vmcnt(0)
	v_div_scale_f64 v[3:4], null, v[1:2], v[1:2], 1.0
	v_div_scale_f64 v[9:10], vcc_lo, 1.0, v[1:2], 1.0
	s_delay_alu instid0(VALU_DEP_2) | instskip(SKIP_2) | instid1(VALU_DEP_1)
	v_rcp_f64_e32 v[5:6], v[3:4]
	s_waitcnt_depctr 0xfff
	v_fma_f64 v[7:8], -v[3:4], v[5:6], 1.0
	v_fma_f64 v[5:6], v[5:6], v[7:8], v[5:6]
	s_delay_alu instid0(VALU_DEP_1) | instskip(NEXT) | instid1(VALU_DEP_1)
	v_fma_f64 v[7:8], -v[3:4], v[5:6], 1.0
	v_fma_f64 v[5:6], v[5:6], v[7:8], v[5:6]
	s_delay_alu instid0(VALU_DEP_1) | instskip(NEXT) | instid1(VALU_DEP_1)
	v_mul_f64 v[7:8], v[9:10], v[5:6]
	v_fma_f64 v[3:4], -v[3:4], v[7:8], v[9:10]
	s_delay_alu instid0(VALU_DEP_1) | instskip(NEXT) | instid1(VALU_DEP_1)
	v_div_fmas_f64 v[3:4], v[3:4], v[5:6], v[7:8]
	v_div_fixup_f64 v[1:2], v[3:4], v[1:2], 1.0
	scratch_store_b64 v95, v[1:2], off
	v_xor_b32_e32 v2, 0x80000000, v2
.LBB40_3:
	v_add_nc_u32_e32 v3, 0x150, v95
	v_add_nc_u32_e32 v4, 0, v95
	s_cmpk_eq_i32 s0, 0x79
	s_mov_b32 s0, -1
	ds_store_b64 v95, v[1:2]
	s_cbranch_scc1 .LBB40_399
; %bb.4:
	scratch_load_b64 v[1:2], off, off offset:312
	v_cmp_eq_u32_e64 s0, 40, v0
	s_movk_i32 s1, 0x50
	s_movk_i32 s2, 0x60
	;; [unrolled: 1-line block ×15, first 2 shown]
	s_waitcnt vmcnt(0)
	ds_store_b64 v3, v[1:2]
	s_waitcnt lgkmcnt(0)
	s_waitcnt_vscnt null, 0x0
	s_barrier
	buffer_gl0_inv
	s_and_saveexec_b32 s17, s0
	s_cbranch_execz .LBB40_10
; %bb.5:
	s_and_b32 vcc_lo, exec_lo, s3
	s_cbranch_vccz .LBB40_7
; %bb.6:
	scratch_load_b64 v[1:2], v4, off
	ds_load_b64 v[5:6], v3
	s_waitcnt vmcnt(0) lgkmcnt(0)
	v_mul_f64 v[1:2], v[1:2], v[5:6]
	s_cbranch_execz .LBB40_8
	s_branch .LBB40_9
.LBB40_7:
                                        ; implicit-def: $vgpr1_vgpr2
.LBB40_8:
	ds_load_b64 v[1:2], v3
.LBB40_9:
	v_mov_b32_e32 v5, 0
	ds_load_b64 v[5:6], v5 offset:312
	s_waitcnt lgkmcnt(0)
	v_mul_f64 v[1:2], v[1:2], v[5:6]
	scratch_store_b64 off, v[1:2], off offset:312
.LBB40_10:
	s_or_b32 exec_lo, exec_lo, s17
	scratch_load_b64 v[1:2], off, off offset:304
	v_add_nc_u32_e64 v5, 0, 16
	v_add_nc_u32_e64 v6, 0, 32
	;; [unrolled: 1-line block ×19, first 2 shown]
	v_cmp_lt_u32_e64 s2, 38, v0
	s_waitcnt vmcnt(0)
	ds_store_b64 v3, v[1:2]
	s_waitcnt lgkmcnt(0)
	s_waitcnt_vscnt null, 0x0
	s_barrier
	buffer_gl0_inv
	s_and_saveexec_b32 s1, s2
	s_cbranch_execz .LBB40_18
; %bb.11:
	s_and_not1_b32 vcc_lo, exec_lo, s3
	s_cbranch_vccnz .LBB40_13
; %bb.12:
	scratch_load_b64 v[1:2], v4, off
	ds_load_b64 v[107:108], v3
	s_waitcnt vmcnt(0) lgkmcnt(0)
	v_mul_f64 v[1:2], v[1:2], v[107:108]
	s_cbranch_execz .LBB40_14
	s_branch .LBB40_15
.LBB40_13:
                                        ; implicit-def: $vgpr1_vgpr2
.LBB40_14:
	ds_load_b64 v[1:2], v3
.LBB40_15:
	s_and_saveexec_b32 s4, s0
	s_cbranch_execz .LBB40_17
; %bb.16:
	scratch_load_b64 v[107:108], off, off offset:312
	v_mov_b32_e32 v109, 0
	ds_load_b64 v[109:110], v109 offset:648
	s_waitcnt vmcnt(0) lgkmcnt(0)
	v_fma_f64 v[1:2], v[107:108], v[109:110], v[1:2]
.LBB40_17:
	s_or_b32 exec_lo, exec_lo, s4
	v_mov_b32_e32 v107, 0
	ds_load_b64 v[107:108], v107 offset:304
	s_waitcnt lgkmcnt(0)
	v_mul_f64 v[1:2], v[1:2], v[107:108]
	scratch_store_b64 off, v[1:2], off offset:304
.LBB40_18:
	s_or_b32 exec_lo, exec_lo, s1
	scratch_load_b64 v[1:2], off, off offset:296
	v_cmp_lt_u32_e64 s1, 37, v0
	s_waitcnt vmcnt(0)
	ds_store_b64 v3, v[1:2]
	s_waitcnt lgkmcnt(0)
	s_waitcnt_vscnt null, 0x0
	s_barrier
	buffer_gl0_inv
	s_and_saveexec_b32 s0, s1
	s_cbranch_execz .LBB40_28
; %bb.19:
	s_and_not1_b32 vcc_lo, exec_lo, s3
	s_cbranch_vccnz .LBB40_21
; %bb.20:
	scratch_load_b64 v[1:2], v4, off
	ds_load_b64 v[107:108], v3
	s_waitcnt vmcnt(0) lgkmcnt(0)
	v_mul_f64 v[1:2], v[1:2], v[107:108]
	s_cbranch_execz .LBB40_22
	s_branch .LBB40_23
.LBB40_21:
                                        ; implicit-def: $vgpr1_vgpr2
.LBB40_22:
	ds_load_b64 v[1:2], v3
.LBB40_23:
	s_and_saveexec_b32 s4, s2
	s_cbranch_execz .LBB40_27
; %bb.24:
	v_subrev_nc_u32_e32 v107, 38, v0
	s_movk_i32 s5, 0x280
	s_mov_b32 s2, 0
.LBB40_25:                              ; =>This Inner Loop Header: Depth=1
	scratch_load_b64 v[108:109], v106, off
	v_dual_mov_b32 v110, s5 :: v_dual_add_nc_u32 v107, -1, v107
	v_add_nc_u32_e32 v106, 8, v106
	s_add_i32 s5, s5, 8
	ds_load_b64 v[110:111], v110
	v_cmp_eq_u32_e32 vcc_lo, 0, v107
	s_or_b32 s2, vcc_lo, s2
	s_waitcnt vmcnt(0) lgkmcnt(0)
	v_fma_f64 v[1:2], v[108:109], v[110:111], v[1:2]
	s_and_not1_b32 exec_lo, exec_lo, s2
	s_cbranch_execnz .LBB40_25
; %bb.26:
	s_or_b32 exec_lo, exec_lo, s2
.LBB40_27:
	s_delay_alu instid0(SALU_CYCLE_1)
	s_or_b32 exec_lo, exec_lo, s4
	v_mov_b32_e32 v106, 0
	ds_load_b64 v[106:107], v106 offset:296
	s_waitcnt lgkmcnt(0)
	v_mul_f64 v[1:2], v[1:2], v[106:107]
	scratch_store_b64 off, v[1:2], off offset:296
.LBB40_28:
	s_or_b32 exec_lo, exec_lo, s0
	scratch_load_b64 v[1:2], off, off offset:288
	v_cmp_lt_u32_e64 s0, 36, v0
	s_waitcnt vmcnt(0)
	ds_store_b64 v3, v[1:2]
	s_waitcnt lgkmcnt(0)
	s_waitcnt_vscnt null, 0x0
	s_barrier
	buffer_gl0_inv
	s_and_saveexec_b32 s2, s0
	s_cbranch_execz .LBB40_38
; %bb.29:
	s_and_not1_b32 vcc_lo, exec_lo, s3
	s_cbranch_vccnz .LBB40_31
; %bb.30:
	scratch_load_b64 v[1:2], v4, off
	ds_load_b64 v[106:107], v3
	s_waitcnt vmcnt(0) lgkmcnt(0)
	v_mul_f64 v[1:2], v[1:2], v[106:107]
	s_cbranch_execz .LBB40_32
	s_branch .LBB40_33
.LBB40_31:
                                        ; implicit-def: $vgpr1_vgpr2
.LBB40_32:
	ds_load_b64 v[1:2], v3
.LBB40_33:
	s_and_saveexec_b32 s4, s1
	s_cbranch_execz .LBB40_37
; %bb.34:
	v_mov_b32_e32 v106, 0
	v_subrev_nc_u32_e32 v107, 37, v0
	s_movk_i32 s5, 0x278
	s_mov_b32 s1, 0
	s_delay_alu instid0(VALU_DEP_2)
	v_add_nc_u32_e32 v106, 0x128, v106
.LBB40_35:                              ; =>This Inner Loop Header: Depth=1
	scratch_load_b64 v[108:109], v106, off
	v_dual_mov_b32 v110, s5 :: v_dual_add_nc_u32 v107, -1, v107
	v_add_nc_u32_e32 v106, 8, v106
	s_add_i32 s5, s5, 8
	ds_load_b64 v[110:111], v110
	v_cmp_eq_u32_e32 vcc_lo, 0, v107
	s_or_b32 s1, vcc_lo, s1
	s_waitcnt vmcnt(0) lgkmcnt(0)
	v_fma_f64 v[1:2], v[108:109], v[110:111], v[1:2]
	s_and_not1_b32 exec_lo, exec_lo, s1
	s_cbranch_execnz .LBB40_35
; %bb.36:
	s_or_b32 exec_lo, exec_lo, s1
.LBB40_37:
	s_delay_alu instid0(SALU_CYCLE_1)
	s_or_b32 exec_lo, exec_lo, s4
	v_mov_b32_e32 v106, 0
	ds_load_b64 v[106:107], v106 offset:288
	s_waitcnt lgkmcnt(0)
	v_mul_f64 v[1:2], v[1:2], v[106:107]
	scratch_store_b64 off, v[1:2], off offset:288
.LBB40_38:
	s_or_b32 exec_lo, exec_lo, s2
	scratch_load_b64 v[1:2], off, off offset:280
	v_cmp_lt_u32_e64 s1, 35, v0
	s_waitcnt vmcnt(0)
	ds_store_b64 v3, v[1:2]
	s_waitcnt lgkmcnt(0)
	s_waitcnt_vscnt null, 0x0
	s_barrier
	buffer_gl0_inv
	s_and_saveexec_b32 s2, s1
	s_cbranch_execz .LBB40_48
; %bb.39:
	s_and_not1_b32 vcc_lo, exec_lo, s3
	s_cbranch_vccnz .LBB40_41
; %bb.40:
	scratch_load_b64 v[1:2], v4, off
	ds_load_b64 v[106:107], v3
	s_waitcnt vmcnt(0) lgkmcnt(0)
	v_mul_f64 v[1:2], v[1:2], v[106:107]
	s_cbranch_execz .LBB40_42
	s_branch .LBB40_43
.LBB40_41:
                                        ; implicit-def: $vgpr1_vgpr2
.LBB40_42:
	ds_load_b64 v[1:2], v3
.LBB40_43:
	s_and_saveexec_b32 s4, s0
	s_cbranch_execz .LBB40_47
; %bb.44:
	v_subrev_nc_u32_e32 v106, 36, v0
	s_movk_i32 s5, 0x270
	s_mov_b32 s0, 0
.LBB40_45:                              ; =>This Inner Loop Header: Depth=1
	scratch_load_b64 v[107:108], v105, off
	v_dual_mov_b32 v109, s5 :: v_dual_add_nc_u32 v106, -1, v106
	v_add_nc_u32_e32 v105, 8, v105
	s_add_i32 s5, s5, 8
	ds_load_b64 v[109:110], v109
	v_cmp_eq_u32_e32 vcc_lo, 0, v106
	s_or_b32 s0, vcc_lo, s0
	s_waitcnt vmcnt(0) lgkmcnt(0)
	v_fma_f64 v[1:2], v[107:108], v[109:110], v[1:2]
	s_and_not1_b32 exec_lo, exec_lo, s0
	s_cbranch_execnz .LBB40_45
; %bb.46:
	s_or_b32 exec_lo, exec_lo, s0
.LBB40_47:
	s_delay_alu instid0(SALU_CYCLE_1)
	s_or_b32 exec_lo, exec_lo, s4
	v_mov_b32_e32 v105, 0
	ds_load_b64 v[105:106], v105 offset:280
	s_waitcnt lgkmcnt(0)
	v_mul_f64 v[1:2], v[1:2], v[105:106]
	scratch_store_b64 off, v[1:2], off offset:280
.LBB40_48:
	s_or_b32 exec_lo, exec_lo, s2
	scratch_load_b64 v[1:2], off, off offset:272
	v_cmp_lt_u32_e64 s0, 34, v0
	s_waitcnt vmcnt(0)
	ds_store_b64 v3, v[1:2]
	s_waitcnt lgkmcnt(0)
	s_waitcnt_vscnt null, 0x0
	s_barrier
	buffer_gl0_inv
	s_and_saveexec_b32 s2, s0
	s_cbranch_execz .LBB40_58
; %bb.49:
	s_and_not1_b32 vcc_lo, exec_lo, s3
	s_cbranch_vccnz .LBB40_51
; %bb.50:
	scratch_load_b64 v[1:2], v4, off
	ds_load_b64 v[105:106], v3
	s_waitcnt vmcnt(0) lgkmcnt(0)
	v_mul_f64 v[1:2], v[1:2], v[105:106]
	s_cbranch_execz .LBB40_52
	s_branch .LBB40_53
.LBB40_51:
                                        ; implicit-def: $vgpr1_vgpr2
.LBB40_52:
	ds_load_b64 v[1:2], v3
.LBB40_53:
	s_and_saveexec_b32 s4, s1
	s_cbranch_execz .LBB40_57
; %bb.54:
	v_mov_b32_e32 v105, 0
	v_subrev_nc_u32_e32 v106, 35, v0
	s_movk_i32 s5, 0x268
	s_mov_b32 s1, 0
	s_delay_alu instid0(VALU_DEP_2)
	v_add_nc_u32_e32 v105, 0x118, v105
.LBB40_55:                              ; =>This Inner Loop Header: Depth=1
	scratch_load_b64 v[107:108], v105, off
	v_dual_mov_b32 v109, s5 :: v_dual_add_nc_u32 v106, -1, v106
	v_add_nc_u32_e32 v105, 8, v105
	s_add_i32 s5, s5, 8
	ds_load_b64 v[109:110], v109
	v_cmp_eq_u32_e32 vcc_lo, 0, v106
	s_or_b32 s1, vcc_lo, s1
	s_waitcnt vmcnt(0) lgkmcnt(0)
	v_fma_f64 v[1:2], v[107:108], v[109:110], v[1:2]
	s_and_not1_b32 exec_lo, exec_lo, s1
	s_cbranch_execnz .LBB40_55
; %bb.56:
	s_or_b32 exec_lo, exec_lo, s1
.LBB40_57:
	s_delay_alu instid0(SALU_CYCLE_1)
	s_or_b32 exec_lo, exec_lo, s4
	v_mov_b32_e32 v105, 0
	ds_load_b64 v[105:106], v105 offset:272
	s_waitcnt lgkmcnt(0)
	v_mul_f64 v[1:2], v[1:2], v[105:106]
	scratch_store_b64 off, v[1:2], off offset:272
.LBB40_58:
	s_or_b32 exec_lo, exec_lo, s2
	scratch_load_b64 v[1:2], off, off offset:264
	v_cmp_lt_u32_e64 s1, 33, v0
	s_waitcnt vmcnt(0)
	ds_store_b64 v3, v[1:2]
	s_waitcnt lgkmcnt(0)
	s_waitcnt_vscnt null, 0x0
	s_barrier
	buffer_gl0_inv
	s_and_saveexec_b32 s2, s1
	s_cbranch_execz .LBB40_68
; %bb.59:
	s_and_not1_b32 vcc_lo, exec_lo, s3
	s_cbranch_vccnz .LBB40_61
; %bb.60:
	scratch_load_b64 v[1:2], v4, off
	ds_load_b64 v[105:106], v3
	s_waitcnt vmcnt(0) lgkmcnt(0)
	v_mul_f64 v[1:2], v[1:2], v[105:106]
	s_cbranch_execz .LBB40_62
	s_branch .LBB40_63
.LBB40_61:
                                        ; implicit-def: $vgpr1_vgpr2
.LBB40_62:
	ds_load_b64 v[1:2], v3
.LBB40_63:
	s_and_saveexec_b32 s4, s0
	s_cbranch_execz .LBB40_67
; %bb.64:
	v_subrev_nc_u32_e32 v105, 34, v0
	s_movk_i32 s5, 0x260
	s_mov_b32 s0, 0
.LBB40_65:                              ; =>This Inner Loop Header: Depth=1
	scratch_load_b64 v[106:107], v104, off
	v_dual_mov_b32 v108, s5 :: v_dual_add_nc_u32 v105, -1, v105
	v_add_nc_u32_e32 v104, 8, v104
	s_add_i32 s5, s5, 8
	ds_load_b64 v[108:109], v108
	v_cmp_eq_u32_e32 vcc_lo, 0, v105
	s_or_b32 s0, vcc_lo, s0
	s_waitcnt vmcnt(0) lgkmcnt(0)
	v_fma_f64 v[1:2], v[106:107], v[108:109], v[1:2]
	s_and_not1_b32 exec_lo, exec_lo, s0
	s_cbranch_execnz .LBB40_65
; %bb.66:
	s_or_b32 exec_lo, exec_lo, s0
.LBB40_67:
	s_delay_alu instid0(SALU_CYCLE_1)
	s_or_b32 exec_lo, exec_lo, s4
	v_mov_b32_e32 v104, 0
	ds_load_b64 v[104:105], v104 offset:264
	s_waitcnt lgkmcnt(0)
	v_mul_f64 v[1:2], v[1:2], v[104:105]
	scratch_store_b64 off, v[1:2], off offset:264
.LBB40_68:
	s_or_b32 exec_lo, exec_lo, s2
	scratch_load_b64 v[1:2], off, off offset:256
	v_cmp_lt_u32_e64 s0, 32, v0
	s_waitcnt vmcnt(0)
	ds_store_b64 v3, v[1:2]
	s_waitcnt lgkmcnt(0)
	s_waitcnt_vscnt null, 0x0
	s_barrier
	buffer_gl0_inv
	s_and_saveexec_b32 s2, s0
	s_cbranch_execz .LBB40_78
; %bb.69:
	s_and_not1_b32 vcc_lo, exec_lo, s3
	s_cbranch_vccnz .LBB40_71
; %bb.70:
	scratch_load_b64 v[1:2], v4, off
	ds_load_b64 v[104:105], v3
	s_waitcnt vmcnt(0) lgkmcnt(0)
	v_mul_f64 v[1:2], v[1:2], v[104:105]
	s_cbranch_execz .LBB40_72
	s_branch .LBB40_73
.LBB40_71:
                                        ; implicit-def: $vgpr1_vgpr2
.LBB40_72:
	ds_load_b64 v[1:2], v3
.LBB40_73:
	s_and_saveexec_b32 s4, s1
	s_cbranch_execz .LBB40_77
; %bb.74:
	v_mov_b32_e32 v104, 0
	v_subrev_nc_u32_e32 v105, 33, v0
	s_movk_i32 s5, 0x258
	s_mov_b32 s1, 0
	s_delay_alu instid0(VALU_DEP_2)
	v_add_nc_u32_e32 v104, 0x108, v104
.LBB40_75:                              ; =>This Inner Loop Header: Depth=1
	scratch_load_b64 v[106:107], v104, off
	v_dual_mov_b32 v108, s5 :: v_dual_add_nc_u32 v105, -1, v105
	v_add_nc_u32_e32 v104, 8, v104
	s_add_i32 s5, s5, 8
	ds_load_b64 v[108:109], v108
	v_cmp_eq_u32_e32 vcc_lo, 0, v105
	s_or_b32 s1, vcc_lo, s1
	s_waitcnt vmcnt(0) lgkmcnt(0)
	v_fma_f64 v[1:2], v[106:107], v[108:109], v[1:2]
	s_and_not1_b32 exec_lo, exec_lo, s1
	s_cbranch_execnz .LBB40_75
; %bb.76:
	s_or_b32 exec_lo, exec_lo, s1
.LBB40_77:
	s_delay_alu instid0(SALU_CYCLE_1)
	s_or_b32 exec_lo, exec_lo, s4
	v_mov_b32_e32 v104, 0
	ds_load_b64 v[104:105], v104 offset:256
	s_waitcnt lgkmcnt(0)
	v_mul_f64 v[1:2], v[1:2], v[104:105]
	scratch_store_b64 off, v[1:2], off offset:256
.LBB40_78:
	s_or_b32 exec_lo, exec_lo, s2
	scratch_load_b64 v[1:2], off, off offset:248
	v_cmp_lt_u32_e64 s1, 31, v0
	s_waitcnt vmcnt(0)
	ds_store_b64 v3, v[1:2]
	s_waitcnt lgkmcnt(0)
	s_waitcnt_vscnt null, 0x0
	s_barrier
	buffer_gl0_inv
	s_and_saveexec_b32 s2, s1
	s_cbranch_execz .LBB40_88
; %bb.79:
	s_and_not1_b32 vcc_lo, exec_lo, s3
	s_cbranch_vccnz .LBB40_81
; %bb.80:
	scratch_load_b64 v[1:2], v4, off
	ds_load_b64 v[104:105], v3
	s_waitcnt vmcnt(0) lgkmcnt(0)
	v_mul_f64 v[1:2], v[1:2], v[104:105]
	s_cbranch_execz .LBB40_82
	s_branch .LBB40_83
.LBB40_81:
                                        ; implicit-def: $vgpr1_vgpr2
.LBB40_82:
	ds_load_b64 v[1:2], v3
.LBB40_83:
	s_and_saveexec_b32 s4, s0
	s_cbranch_execz .LBB40_87
; %bb.84:
	v_subrev_nc_u32_e32 v104, 32, v0
	s_movk_i32 s5, 0x250
	s_mov_b32 s0, 0
.LBB40_85:                              ; =>This Inner Loop Header: Depth=1
	scratch_load_b64 v[105:106], v103, off
	v_dual_mov_b32 v107, s5 :: v_dual_add_nc_u32 v104, -1, v104
	v_add_nc_u32_e32 v103, 8, v103
	s_add_i32 s5, s5, 8
	ds_load_b64 v[107:108], v107
	v_cmp_eq_u32_e32 vcc_lo, 0, v104
	s_or_b32 s0, vcc_lo, s0
	s_waitcnt vmcnt(0) lgkmcnt(0)
	v_fma_f64 v[1:2], v[105:106], v[107:108], v[1:2]
	s_and_not1_b32 exec_lo, exec_lo, s0
	s_cbranch_execnz .LBB40_85
; %bb.86:
	s_or_b32 exec_lo, exec_lo, s0
.LBB40_87:
	s_delay_alu instid0(SALU_CYCLE_1)
	s_or_b32 exec_lo, exec_lo, s4
	v_mov_b32_e32 v103, 0
	ds_load_b64 v[103:104], v103 offset:248
	s_waitcnt lgkmcnt(0)
	v_mul_f64 v[1:2], v[1:2], v[103:104]
	scratch_store_b64 off, v[1:2], off offset:248
.LBB40_88:
	s_or_b32 exec_lo, exec_lo, s2
	scratch_load_b64 v[1:2], off, off offset:240
	v_cmp_lt_u32_e64 s0, 30, v0
	s_waitcnt vmcnt(0)
	ds_store_b64 v3, v[1:2]
	s_waitcnt lgkmcnt(0)
	s_waitcnt_vscnt null, 0x0
	s_barrier
	buffer_gl0_inv
	s_and_saveexec_b32 s2, s0
	s_cbranch_execz .LBB40_98
; %bb.89:
	s_and_not1_b32 vcc_lo, exec_lo, s3
	s_cbranch_vccnz .LBB40_91
; %bb.90:
	scratch_load_b64 v[1:2], v4, off
	ds_load_b64 v[103:104], v3
	s_waitcnt vmcnt(0) lgkmcnt(0)
	v_mul_f64 v[1:2], v[1:2], v[103:104]
	s_cbranch_execz .LBB40_92
	s_branch .LBB40_93
.LBB40_91:
                                        ; implicit-def: $vgpr1_vgpr2
.LBB40_92:
	ds_load_b64 v[1:2], v3
.LBB40_93:
	s_and_saveexec_b32 s4, s1
	s_cbranch_execz .LBB40_97
; %bb.94:
	v_mov_b32_e32 v103, 0
	v_subrev_nc_u32_e32 v104, 31, v0
	s_movk_i32 s5, 0x248
	s_mov_b32 s1, 0
	s_delay_alu instid0(VALU_DEP_2)
	v_add_nc_u32_e32 v103, 0xf8, v103
.LBB40_95:                              ; =>This Inner Loop Header: Depth=1
	scratch_load_b64 v[105:106], v103, off
	v_dual_mov_b32 v107, s5 :: v_dual_add_nc_u32 v104, -1, v104
	v_add_nc_u32_e32 v103, 8, v103
	s_add_i32 s5, s5, 8
	ds_load_b64 v[107:108], v107
	v_cmp_eq_u32_e32 vcc_lo, 0, v104
	s_or_b32 s1, vcc_lo, s1
	s_waitcnt vmcnt(0) lgkmcnt(0)
	v_fma_f64 v[1:2], v[105:106], v[107:108], v[1:2]
	s_and_not1_b32 exec_lo, exec_lo, s1
	s_cbranch_execnz .LBB40_95
; %bb.96:
	s_or_b32 exec_lo, exec_lo, s1
.LBB40_97:
	s_delay_alu instid0(SALU_CYCLE_1)
	s_or_b32 exec_lo, exec_lo, s4
	v_mov_b32_e32 v103, 0
	ds_load_b64 v[103:104], v103 offset:240
	s_waitcnt lgkmcnt(0)
	v_mul_f64 v[1:2], v[1:2], v[103:104]
	scratch_store_b64 off, v[1:2], off offset:240
.LBB40_98:
	s_or_b32 exec_lo, exec_lo, s2
	scratch_load_b64 v[1:2], off, off offset:232
	v_cmp_lt_u32_e64 s1, 29, v0
	s_waitcnt vmcnt(0)
	ds_store_b64 v3, v[1:2]
	s_waitcnt lgkmcnt(0)
	s_waitcnt_vscnt null, 0x0
	s_barrier
	buffer_gl0_inv
	s_and_saveexec_b32 s2, s1
	s_cbranch_execz .LBB40_108
; %bb.99:
	s_and_not1_b32 vcc_lo, exec_lo, s3
	s_cbranch_vccnz .LBB40_101
; %bb.100:
	scratch_load_b64 v[1:2], v4, off
	ds_load_b64 v[103:104], v3
	s_waitcnt vmcnt(0) lgkmcnt(0)
	v_mul_f64 v[1:2], v[1:2], v[103:104]
	s_cbranch_execz .LBB40_102
	s_branch .LBB40_103
.LBB40_101:
                                        ; implicit-def: $vgpr1_vgpr2
.LBB40_102:
	ds_load_b64 v[1:2], v3
.LBB40_103:
	s_and_saveexec_b32 s4, s0
	s_cbranch_execz .LBB40_107
; %bb.104:
	v_subrev_nc_u32_e32 v103, 30, v0
	s_movk_i32 s5, 0x240
	s_mov_b32 s0, 0
.LBB40_105:                             ; =>This Inner Loop Header: Depth=1
	scratch_load_b64 v[104:105], v102, off
	v_dual_mov_b32 v106, s5 :: v_dual_add_nc_u32 v103, -1, v103
	v_add_nc_u32_e32 v102, 8, v102
	s_add_i32 s5, s5, 8
	ds_load_b64 v[106:107], v106
	v_cmp_eq_u32_e32 vcc_lo, 0, v103
	s_or_b32 s0, vcc_lo, s0
	s_waitcnt vmcnt(0) lgkmcnt(0)
	v_fma_f64 v[1:2], v[104:105], v[106:107], v[1:2]
	s_and_not1_b32 exec_lo, exec_lo, s0
	s_cbranch_execnz .LBB40_105
; %bb.106:
	s_or_b32 exec_lo, exec_lo, s0
.LBB40_107:
	s_delay_alu instid0(SALU_CYCLE_1)
	s_or_b32 exec_lo, exec_lo, s4
	v_mov_b32_e32 v102, 0
	ds_load_b64 v[102:103], v102 offset:232
	s_waitcnt lgkmcnt(0)
	v_mul_f64 v[1:2], v[1:2], v[102:103]
	scratch_store_b64 off, v[1:2], off offset:232
.LBB40_108:
	s_or_b32 exec_lo, exec_lo, s2
	scratch_load_b64 v[1:2], off, off offset:224
	v_cmp_lt_u32_e64 s0, 28, v0
	s_waitcnt vmcnt(0)
	ds_store_b64 v3, v[1:2]
	s_waitcnt lgkmcnt(0)
	s_waitcnt_vscnt null, 0x0
	s_barrier
	buffer_gl0_inv
	s_and_saveexec_b32 s2, s0
	s_cbranch_execz .LBB40_118
; %bb.109:
	s_and_not1_b32 vcc_lo, exec_lo, s3
	s_cbranch_vccnz .LBB40_111
; %bb.110:
	scratch_load_b64 v[1:2], v4, off
	ds_load_b64 v[102:103], v3
	s_waitcnt vmcnt(0) lgkmcnt(0)
	v_mul_f64 v[1:2], v[1:2], v[102:103]
	s_cbranch_execz .LBB40_112
	s_branch .LBB40_113
.LBB40_111:
                                        ; implicit-def: $vgpr1_vgpr2
.LBB40_112:
	ds_load_b64 v[1:2], v3
.LBB40_113:
	s_and_saveexec_b32 s4, s1
	s_cbranch_execz .LBB40_117
; %bb.114:
	v_mov_b32_e32 v102, 0
	v_subrev_nc_u32_e32 v103, 29, v0
	s_movk_i32 s5, 0x238
	s_mov_b32 s1, 0
	s_delay_alu instid0(VALU_DEP_2)
	v_add_nc_u32_e32 v102, 0xe8, v102
.LBB40_115:                             ; =>This Inner Loop Header: Depth=1
	scratch_load_b64 v[104:105], v102, off
	v_dual_mov_b32 v106, s5 :: v_dual_add_nc_u32 v103, -1, v103
	v_add_nc_u32_e32 v102, 8, v102
	s_add_i32 s5, s5, 8
	ds_load_b64 v[106:107], v106
	v_cmp_eq_u32_e32 vcc_lo, 0, v103
	s_or_b32 s1, vcc_lo, s1
	s_waitcnt vmcnt(0) lgkmcnt(0)
	v_fma_f64 v[1:2], v[104:105], v[106:107], v[1:2]
	s_and_not1_b32 exec_lo, exec_lo, s1
	s_cbranch_execnz .LBB40_115
; %bb.116:
	s_or_b32 exec_lo, exec_lo, s1
.LBB40_117:
	s_delay_alu instid0(SALU_CYCLE_1)
	s_or_b32 exec_lo, exec_lo, s4
	v_mov_b32_e32 v102, 0
	ds_load_b64 v[102:103], v102 offset:224
	s_waitcnt lgkmcnt(0)
	v_mul_f64 v[1:2], v[1:2], v[102:103]
	scratch_store_b64 off, v[1:2], off offset:224
.LBB40_118:
	s_or_b32 exec_lo, exec_lo, s2
	scratch_load_b64 v[1:2], off, off offset:216
	v_cmp_lt_u32_e64 s1, 27, v0
	s_waitcnt vmcnt(0)
	ds_store_b64 v3, v[1:2]
	s_waitcnt lgkmcnt(0)
	s_waitcnt_vscnt null, 0x0
	s_barrier
	buffer_gl0_inv
	s_and_saveexec_b32 s2, s1
	s_cbranch_execz .LBB40_128
; %bb.119:
	s_and_not1_b32 vcc_lo, exec_lo, s3
	s_cbranch_vccnz .LBB40_121
; %bb.120:
	scratch_load_b64 v[1:2], v4, off
	ds_load_b64 v[102:103], v3
	s_waitcnt vmcnt(0) lgkmcnt(0)
	v_mul_f64 v[1:2], v[1:2], v[102:103]
	s_cbranch_execz .LBB40_122
	s_branch .LBB40_123
.LBB40_121:
                                        ; implicit-def: $vgpr1_vgpr2
.LBB40_122:
	ds_load_b64 v[1:2], v3
.LBB40_123:
	s_and_saveexec_b32 s4, s0
	s_cbranch_execz .LBB40_127
; %bb.124:
	v_subrev_nc_u32_e32 v102, 28, v0
	s_movk_i32 s5, 0x230
	s_mov_b32 s0, 0
.LBB40_125:                             ; =>This Inner Loop Header: Depth=1
	scratch_load_b64 v[103:104], v101, off
	v_dual_mov_b32 v105, s5 :: v_dual_add_nc_u32 v102, -1, v102
	v_add_nc_u32_e32 v101, 8, v101
	s_add_i32 s5, s5, 8
	ds_load_b64 v[105:106], v105
	v_cmp_eq_u32_e32 vcc_lo, 0, v102
	s_or_b32 s0, vcc_lo, s0
	s_waitcnt vmcnt(0) lgkmcnt(0)
	v_fma_f64 v[1:2], v[103:104], v[105:106], v[1:2]
	s_and_not1_b32 exec_lo, exec_lo, s0
	s_cbranch_execnz .LBB40_125
; %bb.126:
	s_or_b32 exec_lo, exec_lo, s0
.LBB40_127:
	s_delay_alu instid0(SALU_CYCLE_1)
	s_or_b32 exec_lo, exec_lo, s4
	v_mov_b32_e32 v101, 0
	ds_load_b64 v[101:102], v101 offset:216
	s_waitcnt lgkmcnt(0)
	v_mul_f64 v[1:2], v[1:2], v[101:102]
	scratch_store_b64 off, v[1:2], off offset:216
.LBB40_128:
	s_or_b32 exec_lo, exec_lo, s2
	scratch_load_b64 v[1:2], off, off offset:208
	v_cmp_lt_u32_e64 s0, 26, v0
	s_waitcnt vmcnt(0)
	ds_store_b64 v3, v[1:2]
	s_waitcnt lgkmcnt(0)
	s_waitcnt_vscnt null, 0x0
	s_barrier
	buffer_gl0_inv
	s_and_saveexec_b32 s2, s0
	s_cbranch_execz .LBB40_138
; %bb.129:
	s_and_not1_b32 vcc_lo, exec_lo, s3
	s_cbranch_vccnz .LBB40_131
; %bb.130:
	scratch_load_b64 v[1:2], v4, off
	ds_load_b64 v[101:102], v3
	s_waitcnt vmcnt(0) lgkmcnt(0)
	v_mul_f64 v[1:2], v[1:2], v[101:102]
	s_cbranch_execz .LBB40_132
	s_branch .LBB40_133
.LBB40_131:
                                        ; implicit-def: $vgpr1_vgpr2
.LBB40_132:
	ds_load_b64 v[1:2], v3
.LBB40_133:
	s_and_saveexec_b32 s4, s1
	s_cbranch_execz .LBB40_137
; %bb.134:
	v_mov_b32_e32 v101, 0
	v_subrev_nc_u32_e32 v102, 27, v0
	s_movk_i32 s5, 0x228
	s_mov_b32 s1, 0
	s_delay_alu instid0(VALU_DEP_2)
	v_add_nc_u32_e32 v101, 0xd8, v101
.LBB40_135:                             ; =>This Inner Loop Header: Depth=1
	scratch_load_b64 v[103:104], v101, off
	v_dual_mov_b32 v105, s5 :: v_dual_add_nc_u32 v102, -1, v102
	v_add_nc_u32_e32 v101, 8, v101
	s_add_i32 s5, s5, 8
	ds_load_b64 v[105:106], v105
	v_cmp_eq_u32_e32 vcc_lo, 0, v102
	s_or_b32 s1, vcc_lo, s1
	s_waitcnt vmcnt(0) lgkmcnt(0)
	v_fma_f64 v[1:2], v[103:104], v[105:106], v[1:2]
	s_and_not1_b32 exec_lo, exec_lo, s1
	s_cbranch_execnz .LBB40_135
; %bb.136:
	s_or_b32 exec_lo, exec_lo, s1
.LBB40_137:
	s_delay_alu instid0(SALU_CYCLE_1)
	s_or_b32 exec_lo, exec_lo, s4
	v_mov_b32_e32 v101, 0
	ds_load_b64 v[101:102], v101 offset:208
	s_waitcnt lgkmcnt(0)
	v_mul_f64 v[1:2], v[1:2], v[101:102]
	scratch_store_b64 off, v[1:2], off offset:208
.LBB40_138:
	s_or_b32 exec_lo, exec_lo, s2
	scratch_load_b64 v[1:2], off, off offset:200
	v_cmp_lt_u32_e64 s1, 25, v0
	s_waitcnt vmcnt(0)
	ds_store_b64 v3, v[1:2]
	s_waitcnt lgkmcnt(0)
	s_waitcnt_vscnt null, 0x0
	s_barrier
	buffer_gl0_inv
	s_and_saveexec_b32 s2, s1
	s_cbranch_execz .LBB40_148
; %bb.139:
	s_and_not1_b32 vcc_lo, exec_lo, s3
	s_cbranch_vccnz .LBB40_141
; %bb.140:
	scratch_load_b64 v[1:2], v4, off
	ds_load_b64 v[101:102], v3
	s_waitcnt vmcnt(0) lgkmcnt(0)
	v_mul_f64 v[1:2], v[1:2], v[101:102]
	s_cbranch_execz .LBB40_142
	s_branch .LBB40_143
.LBB40_141:
                                        ; implicit-def: $vgpr1_vgpr2
.LBB40_142:
	ds_load_b64 v[1:2], v3
.LBB40_143:
	s_and_saveexec_b32 s4, s0
	s_cbranch_execz .LBB40_147
; %bb.144:
	v_subrev_nc_u32_e32 v101, 26, v0
	s_movk_i32 s5, 0x220
	s_mov_b32 s0, 0
.LBB40_145:                             ; =>This Inner Loop Header: Depth=1
	scratch_load_b64 v[102:103], v100, off
	v_dual_mov_b32 v104, s5 :: v_dual_add_nc_u32 v101, -1, v101
	v_add_nc_u32_e32 v100, 8, v100
	s_add_i32 s5, s5, 8
	ds_load_b64 v[104:105], v104
	v_cmp_eq_u32_e32 vcc_lo, 0, v101
	s_or_b32 s0, vcc_lo, s0
	s_waitcnt vmcnt(0) lgkmcnt(0)
	v_fma_f64 v[1:2], v[102:103], v[104:105], v[1:2]
	s_and_not1_b32 exec_lo, exec_lo, s0
	s_cbranch_execnz .LBB40_145
; %bb.146:
	s_or_b32 exec_lo, exec_lo, s0
.LBB40_147:
	s_delay_alu instid0(SALU_CYCLE_1)
	s_or_b32 exec_lo, exec_lo, s4
	v_mov_b32_e32 v100, 0
	ds_load_b64 v[100:101], v100 offset:200
	s_waitcnt lgkmcnt(0)
	v_mul_f64 v[1:2], v[1:2], v[100:101]
	scratch_store_b64 off, v[1:2], off offset:200
.LBB40_148:
	s_or_b32 exec_lo, exec_lo, s2
	scratch_load_b64 v[1:2], off, off offset:192
	v_cmp_lt_u32_e64 s0, 24, v0
	s_waitcnt vmcnt(0)
	ds_store_b64 v3, v[1:2]
	s_waitcnt lgkmcnt(0)
	s_waitcnt_vscnt null, 0x0
	s_barrier
	buffer_gl0_inv
	s_and_saveexec_b32 s2, s0
	s_cbranch_execz .LBB40_158
; %bb.149:
	s_and_not1_b32 vcc_lo, exec_lo, s3
	s_cbranch_vccnz .LBB40_151
; %bb.150:
	scratch_load_b64 v[1:2], v4, off
	ds_load_b64 v[100:101], v3
	s_waitcnt vmcnt(0) lgkmcnt(0)
	v_mul_f64 v[1:2], v[1:2], v[100:101]
	s_cbranch_execz .LBB40_152
	s_branch .LBB40_153
.LBB40_151:
                                        ; implicit-def: $vgpr1_vgpr2
.LBB40_152:
	ds_load_b64 v[1:2], v3
.LBB40_153:
	s_and_saveexec_b32 s4, s1
	s_cbranch_execz .LBB40_157
; %bb.154:
	v_mov_b32_e32 v100, 0
	v_subrev_nc_u32_e32 v101, 25, v0
	s_movk_i32 s5, 0x218
	s_mov_b32 s1, 0
	s_delay_alu instid0(VALU_DEP_2)
	v_add_nc_u32_e32 v100, 0xc8, v100
.LBB40_155:                             ; =>This Inner Loop Header: Depth=1
	scratch_load_b64 v[102:103], v100, off
	v_dual_mov_b32 v104, s5 :: v_dual_add_nc_u32 v101, -1, v101
	v_add_nc_u32_e32 v100, 8, v100
	s_add_i32 s5, s5, 8
	ds_load_b64 v[104:105], v104
	v_cmp_eq_u32_e32 vcc_lo, 0, v101
	s_or_b32 s1, vcc_lo, s1
	s_waitcnt vmcnt(0) lgkmcnt(0)
	v_fma_f64 v[1:2], v[102:103], v[104:105], v[1:2]
	s_and_not1_b32 exec_lo, exec_lo, s1
	s_cbranch_execnz .LBB40_155
; %bb.156:
	s_or_b32 exec_lo, exec_lo, s1
.LBB40_157:
	s_delay_alu instid0(SALU_CYCLE_1)
	s_or_b32 exec_lo, exec_lo, s4
	v_mov_b32_e32 v100, 0
	ds_load_b64 v[100:101], v100 offset:192
	s_waitcnt lgkmcnt(0)
	v_mul_f64 v[1:2], v[1:2], v[100:101]
	scratch_store_b64 off, v[1:2], off offset:192
.LBB40_158:
	s_or_b32 exec_lo, exec_lo, s2
	scratch_load_b64 v[1:2], off, off offset:184
	v_cmp_lt_u32_e64 s1, 23, v0
	s_waitcnt vmcnt(0)
	ds_store_b64 v3, v[1:2]
	s_waitcnt lgkmcnt(0)
	s_waitcnt_vscnt null, 0x0
	s_barrier
	buffer_gl0_inv
	s_and_saveexec_b32 s2, s1
	s_cbranch_execz .LBB40_168
; %bb.159:
	s_and_not1_b32 vcc_lo, exec_lo, s3
	s_cbranch_vccnz .LBB40_161
; %bb.160:
	scratch_load_b64 v[1:2], v4, off
	ds_load_b64 v[100:101], v3
	s_waitcnt vmcnt(0) lgkmcnt(0)
	v_mul_f64 v[1:2], v[1:2], v[100:101]
	s_cbranch_execz .LBB40_162
	s_branch .LBB40_163
.LBB40_161:
                                        ; implicit-def: $vgpr1_vgpr2
.LBB40_162:
	ds_load_b64 v[1:2], v3
.LBB40_163:
	s_and_saveexec_b32 s4, s0
	s_cbranch_execz .LBB40_167
; %bb.164:
	v_subrev_nc_u32_e32 v100, 24, v0
	s_movk_i32 s5, 0x210
	s_mov_b32 s0, 0
.LBB40_165:                             ; =>This Inner Loop Header: Depth=1
	scratch_load_b64 v[101:102], v99, off
	v_dual_mov_b32 v103, s5 :: v_dual_add_nc_u32 v100, -1, v100
	v_add_nc_u32_e32 v99, 8, v99
	s_add_i32 s5, s5, 8
	ds_load_b64 v[103:104], v103
	v_cmp_eq_u32_e32 vcc_lo, 0, v100
	s_or_b32 s0, vcc_lo, s0
	s_waitcnt vmcnt(0) lgkmcnt(0)
	v_fma_f64 v[1:2], v[101:102], v[103:104], v[1:2]
	s_and_not1_b32 exec_lo, exec_lo, s0
	s_cbranch_execnz .LBB40_165
; %bb.166:
	s_or_b32 exec_lo, exec_lo, s0
.LBB40_167:
	s_delay_alu instid0(SALU_CYCLE_1)
	s_or_b32 exec_lo, exec_lo, s4
	v_mov_b32_e32 v99, 0
	ds_load_b64 v[99:100], v99 offset:184
	s_waitcnt lgkmcnt(0)
	v_mul_f64 v[1:2], v[1:2], v[99:100]
	scratch_store_b64 off, v[1:2], off offset:184
.LBB40_168:
	s_or_b32 exec_lo, exec_lo, s2
	scratch_load_b64 v[1:2], off, off offset:176
	v_cmp_lt_u32_e64 s0, 22, v0
	s_waitcnt vmcnt(0)
	ds_store_b64 v3, v[1:2]
	s_waitcnt lgkmcnt(0)
	s_waitcnt_vscnt null, 0x0
	s_barrier
	buffer_gl0_inv
	s_and_saveexec_b32 s2, s0
	s_cbranch_execz .LBB40_178
; %bb.169:
	s_and_not1_b32 vcc_lo, exec_lo, s3
	s_cbranch_vccnz .LBB40_171
; %bb.170:
	scratch_load_b64 v[1:2], v4, off
	ds_load_b64 v[99:100], v3
	s_waitcnt vmcnt(0) lgkmcnt(0)
	v_mul_f64 v[1:2], v[1:2], v[99:100]
	s_cbranch_execz .LBB40_172
	s_branch .LBB40_173
.LBB40_171:
                                        ; implicit-def: $vgpr1_vgpr2
.LBB40_172:
	ds_load_b64 v[1:2], v3
.LBB40_173:
	s_and_saveexec_b32 s4, s1
	s_cbranch_execz .LBB40_177
; %bb.174:
	v_mov_b32_e32 v99, 0
	v_subrev_nc_u32_e32 v100, 23, v0
	s_movk_i32 s5, 0x208
	s_mov_b32 s1, 0
	s_delay_alu instid0(VALU_DEP_2)
	v_add_nc_u32_e32 v99, 0xb8, v99
.LBB40_175:                             ; =>This Inner Loop Header: Depth=1
	scratch_load_b64 v[101:102], v99, off
	v_dual_mov_b32 v103, s5 :: v_dual_add_nc_u32 v100, -1, v100
	v_add_nc_u32_e32 v99, 8, v99
	s_add_i32 s5, s5, 8
	ds_load_b64 v[103:104], v103
	v_cmp_eq_u32_e32 vcc_lo, 0, v100
	s_or_b32 s1, vcc_lo, s1
	s_waitcnt vmcnt(0) lgkmcnt(0)
	v_fma_f64 v[1:2], v[101:102], v[103:104], v[1:2]
	s_and_not1_b32 exec_lo, exec_lo, s1
	s_cbranch_execnz .LBB40_175
; %bb.176:
	s_or_b32 exec_lo, exec_lo, s1
.LBB40_177:
	s_delay_alu instid0(SALU_CYCLE_1)
	s_or_b32 exec_lo, exec_lo, s4
	v_mov_b32_e32 v99, 0
	ds_load_b64 v[99:100], v99 offset:176
	s_waitcnt lgkmcnt(0)
	v_mul_f64 v[1:2], v[1:2], v[99:100]
	scratch_store_b64 off, v[1:2], off offset:176
.LBB40_178:
	s_or_b32 exec_lo, exec_lo, s2
	scratch_load_b64 v[1:2], off, off offset:168
	v_cmp_lt_u32_e64 s1, 21, v0
	s_waitcnt vmcnt(0)
	ds_store_b64 v3, v[1:2]
	s_waitcnt lgkmcnt(0)
	s_waitcnt_vscnt null, 0x0
	s_barrier
	buffer_gl0_inv
	s_and_saveexec_b32 s2, s1
	s_cbranch_execz .LBB40_188
; %bb.179:
	s_and_not1_b32 vcc_lo, exec_lo, s3
	s_cbranch_vccnz .LBB40_181
; %bb.180:
	scratch_load_b64 v[1:2], v4, off
	ds_load_b64 v[99:100], v3
	s_waitcnt vmcnt(0) lgkmcnt(0)
	v_mul_f64 v[1:2], v[1:2], v[99:100]
	s_cbranch_execz .LBB40_182
	s_branch .LBB40_183
.LBB40_181:
                                        ; implicit-def: $vgpr1_vgpr2
.LBB40_182:
	ds_load_b64 v[1:2], v3
.LBB40_183:
	s_and_saveexec_b32 s4, s0
	s_cbranch_execz .LBB40_187
; %bb.184:
	v_subrev_nc_u32_e32 v99, 22, v0
	s_movk_i32 s5, 0x200
	s_mov_b32 s0, 0
.LBB40_185:                             ; =>This Inner Loop Header: Depth=1
	scratch_load_b64 v[100:101], v98, off
	v_dual_mov_b32 v102, s5 :: v_dual_add_nc_u32 v99, -1, v99
	v_add_nc_u32_e32 v98, 8, v98
	s_add_i32 s5, s5, 8
	ds_load_b64 v[102:103], v102
	v_cmp_eq_u32_e32 vcc_lo, 0, v99
	s_or_b32 s0, vcc_lo, s0
	s_waitcnt vmcnt(0) lgkmcnt(0)
	v_fma_f64 v[1:2], v[100:101], v[102:103], v[1:2]
	s_and_not1_b32 exec_lo, exec_lo, s0
	s_cbranch_execnz .LBB40_185
; %bb.186:
	s_or_b32 exec_lo, exec_lo, s0
.LBB40_187:
	s_delay_alu instid0(SALU_CYCLE_1)
	s_or_b32 exec_lo, exec_lo, s4
	v_mov_b32_e32 v98, 0
	ds_load_b64 v[98:99], v98 offset:168
	s_waitcnt lgkmcnt(0)
	v_mul_f64 v[1:2], v[1:2], v[98:99]
	scratch_store_b64 off, v[1:2], off offset:168
.LBB40_188:
	s_or_b32 exec_lo, exec_lo, s2
	scratch_load_b64 v[1:2], off, off offset:160
	v_cmp_lt_u32_e64 s0, 20, v0
	s_waitcnt vmcnt(0)
	ds_store_b64 v3, v[1:2]
	s_waitcnt lgkmcnt(0)
	s_waitcnt_vscnt null, 0x0
	s_barrier
	buffer_gl0_inv
	s_and_saveexec_b32 s2, s0
	s_cbranch_execz .LBB40_198
; %bb.189:
	s_and_not1_b32 vcc_lo, exec_lo, s3
	s_cbranch_vccnz .LBB40_191
; %bb.190:
	scratch_load_b64 v[1:2], v4, off
	ds_load_b64 v[98:99], v3
	s_waitcnt vmcnt(0) lgkmcnt(0)
	v_mul_f64 v[1:2], v[1:2], v[98:99]
	s_cbranch_execz .LBB40_192
	s_branch .LBB40_193
.LBB40_191:
                                        ; implicit-def: $vgpr1_vgpr2
.LBB40_192:
	ds_load_b64 v[1:2], v3
.LBB40_193:
	s_and_saveexec_b32 s4, s1
	s_cbranch_execz .LBB40_197
; %bb.194:
	v_mov_b32_e32 v98, 0
	v_subrev_nc_u32_e32 v99, 21, v0
	s_movk_i32 s5, 0x1f8
	s_mov_b32 s1, 0
	s_delay_alu instid0(VALU_DEP_2)
	v_add_nc_u32_e32 v98, 0xa8, v98
.LBB40_195:                             ; =>This Inner Loop Header: Depth=1
	scratch_load_b64 v[100:101], v98, off
	v_dual_mov_b32 v102, s5 :: v_dual_add_nc_u32 v99, -1, v99
	v_add_nc_u32_e32 v98, 8, v98
	s_add_i32 s5, s5, 8
	ds_load_b64 v[102:103], v102
	v_cmp_eq_u32_e32 vcc_lo, 0, v99
	s_or_b32 s1, vcc_lo, s1
	s_waitcnt vmcnt(0) lgkmcnt(0)
	v_fma_f64 v[1:2], v[100:101], v[102:103], v[1:2]
	s_and_not1_b32 exec_lo, exec_lo, s1
	s_cbranch_execnz .LBB40_195
; %bb.196:
	s_or_b32 exec_lo, exec_lo, s1
.LBB40_197:
	s_delay_alu instid0(SALU_CYCLE_1)
	s_or_b32 exec_lo, exec_lo, s4
	v_mov_b32_e32 v98, 0
	ds_load_b64 v[98:99], v98 offset:160
	s_waitcnt lgkmcnt(0)
	v_mul_f64 v[1:2], v[1:2], v[98:99]
	scratch_store_b64 off, v[1:2], off offset:160
.LBB40_198:
	s_or_b32 exec_lo, exec_lo, s2
	scratch_load_b64 v[1:2], off, off offset:152
	v_cmp_lt_u32_e64 s1, 19, v0
	s_waitcnt vmcnt(0)
	ds_store_b64 v3, v[1:2]
	s_waitcnt lgkmcnt(0)
	s_waitcnt_vscnt null, 0x0
	s_barrier
	buffer_gl0_inv
	s_and_saveexec_b32 s2, s1
	s_cbranch_execz .LBB40_208
; %bb.199:
	s_and_not1_b32 vcc_lo, exec_lo, s3
	s_cbranch_vccnz .LBB40_201
; %bb.200:
	scratch_load_b64 v[1:2], v4, off
	ds_load_b64 v[98:99], v3
	s_waitcnt vmcnt(0) lgkmcnt(0)
	v_mul_f64 v[1:2], v[1:2], v[98:99]
	s_cbranch_execz .LBB40_202
	s_branch .LBB40_203
.LBB40_201:
                                        ; implicit-def: $vgpr1_vgpr2
.LBB40_202:
	ds_load_b64 v[1:2], v3
.LBB40_203:
	s_and_saveexec_b32 s4, s0
	s_cbranch_execz .LBB40_207
; %bb.204:
	v_subrev_nc_u32_e32 v98, 20, v0
	s_movk_i32 s5, 0x1f0
	s_mov_b32 s0, 0
.LBB40_205:                             ; =>This Inner Loop Header: Depth=1
	scratch_load_b64 v[99:100], v97, off
	v_dual_mov_b32 v101, s5 :: v_dual_add_nc_u32 v98, -1, v98
	v_add_nc_u32_e32 v97, 8, v97
	s_add_i32 s5, s5, 8
	ds_load_b64 v[101:102], v101
	v_cmp_eq_u32_e32 vcc_lo, 0, v98
	s_or_b32 s0, vcc_lo, s0
	s_waitcnt vmcnt(0) lgkmcnt(0)
	v_fma_f64 v[1:2], v[99:100], v[101:102], v[1:2]
	s_and_not1_b32 exec_lo, exec_lo, s0
	s_cbranch_execnz .LBB40_205
; %bb.206:
	s_or_b32 exec_lo, exec_lo, s0
.LBB40_207:
	s_delay_alu instid0(SALU_CYCLE_1)
	s_or_b32 exec_lo, exec_lo, s4
	v_mov_b32_e32 v97, 0
	ds_load_b64 v[97:98], v97 offset:152
	s_waitcnt lgkmcnt(0)
	v_mul_f64 v[1:2], v[1:2], v[97:98]
	scratch_store_b64 off, v[1:2], off offset:152
.LBB40_208:
	s_or_b32 exec_lo, exec_lo, s2
	scratch_load_b64 v[1:2], off, off offset:144
	v_cmp_lt_u32_e64 s0, 18, v0
	s_waitcnt vmcnt(0)
	ds_store_b64 v3, v[1:2]
	s_waitcnt lgkmcnt(0)
	s_waitcnt_vscnt null, 0x0
	s_barrier
	buffer_gl0_inv
	s_and_saveexec_b32 s2, s0
	s_cbranch_execz .LBB40_218
; %bb.209:
	s_and_not1_b32 vcc_lo, exec_lo, s3
	s_cbranch_vccnz .LBB40_211
; %bb.210:
	scratch_load_b64 v[1:2], v4, off
	ds_load_b64 v[97:98], v3
	s_waitcnt vmcnt(0) lgkmcnt(0)
	v_mul_f64 v[1:2], v[1:2], v[97:98]
	s_cbranch_execz .LBB40_212
	s_branch .LBB40_213
.LBB40_211:
                                        ; implicit-def: $vgpr1_vgpr2
.LBB40_212:
	ds_load_b64 v[1:2], v3
.LBB40_213:
	s_and_saveexec_b32 s4, s1
	s_cbranch_execz .LBB40_217
; %bb.214:
	v_mov_b32_e32 v97, 0
	v_subrev_nc_u32_e32 v98, 19, v0
	s_movk_i32 s5, 0x1e8
	s_mov_b32 s1, 0
	s_delay_alu instid0(VALU_DEP_2)
	v_add_nc_u32_e32 v97, 0x98, v97
.LBB40_215:                             ; =>This Inner Loop Header: Depth=1
	scratch_load_b64 v[99:100], v97, off
	v_dual_mov_b32 v101, s5 :: v_dual_add_nc_u32 v98, -1, v98
	v_add_nc_u32_e32 v97, 8, v97
	s_add_i32 s5, s5, 8
	ds_load_b64 v[101:102], v101
	v_cmp_eq_u32_e32 vcc_lo, 0, v98
	s_or_b32 s1, vcc_lo, s1
	s_waitcnt vmcnt(0) lgkmcnt(0)
	v_fma_f64 v[1:2], v[99:100], v[101:102], v[1:2]
	s_and_not1_b32 exec_lo, exec_lo, s1
	s_cbranch_execnz .LBB40_215
; %bb.216:
	s_or_b32 exec_lo, exec_lo, s1
.LBB40_217:
	s_delay_alu instid0(SALU_CYCLE_1)
	s_or_b32 exec_lo, exec_lo, s4
	v_mov_b32_e32 v97, 0
	ds_load_b64 v[97:98], v97 offset:144
	s_waitcnt lgkmcnt(0)
	v_mul_f64 v[1:2], v[1:2], v[97:98]
	scratch_store_b64 off, v[1:2], off offset:144
.LBB40_218:
	s_or_b32 exec_lo, exec_lo, s2
	scratch_load_b64 v[1:2], off, off offset:136
	v_cmp_lt_u32_e64 s1, 17, v0
	s_waitcnt vmcnt(0)
	ds_store_b64 v3, v[1:2]
	s_waitcnt lgkmcnt(0)
	s_waitcnt_vscnt null, 0x0
	s_barrier
	buffer_gl0_inv
	s_and_saveexec_b32 s2, s1
	s_cbranch_execz .LBB40_228
; %bb.219:
	s_and_not1_b32 vcc_lo, exec_lo, s3
	s_cbranch_vccnz .LBB40_221
; %bb.220:
	scratch_load_b64 v[1:2], v4, off
	ds_load_b64 v[97:98], v3
	s_waitcnt vmcnt(0) lgkmcnt(0)
	v_mul_f64 v[1:2], v[1:2], v[97:98]
	s_cbranch_execz .LBB40_222
	s_branch .LBB40_223
.LBB40_221:
                                        ; implicit-def: $vgpr1_vgpr2
.LBB40_222:
	ds_load_b64 v[1:2], v3
.LBB40_223:
	s_and_saveexec_b32 s4, s0
	s_cbranch_execz .LBB40_227
; %bb.224:
	v_subrev_nc_u32_e32 v97, 18, v0
	s_movk_i32 s5, 0x1e0
	s_mov_b32 s0, 0
.LBB40_225:                             ; =>This Inner Loop Header: Depth=1
	scratch_load_b64 v[98:99], v96, off
	v_dual_mov_b32 v100, s5 :: v_dual_add_nc_u32 v97, -1, v97
	v_add_nc_u32_e32 v96, 8, v96
	s_add_i32 s5, s5, 8
	ds_load_b64 v[100:101], v100
	v_cmp_eq_u32_e32 vcc_lo, 0, v97
	s_or_b32 s0, vcc_lo, s0
	s_waitcnt vmcnt(0) lgkmcnt(0)
	v_fma_f64 v[1:2], v[98:99], v[100:101], v[1:2]
	s_and_not1_b32 exec_lo, exec_lo, s0
	s_cbranch_execnz .LBB40_225
; %bb.226:
	s_or_b32 exec_lo, exec_lo, s0
.LBB40_227:
	s_delay_alu instid0(SALU_CYCLE_1)
	s_or_b32 exec_lo, exec_lo, s4
	v_mov_b32_e32 v96, 0
	ds_load_b64 v[96:97], v96 offset:136
	s_waitcnt lgkmcnt(0)
	v_mul_f64 v[1:2], v[1:2], v[96:97]
	scratch_store_b64 off, v[1:2], off offset:136
.LBB40_228:
	s_or_b32 exec_lo, exec_lo, s2
	scratch_load_b64 v[1:2], off, off offset:128
	v_cmp_lt_u32_e64 s0, 16, v0
	s_waitcnt vmcnt(0)
	ds_store_b64 v3, v[1:2]
	s_waitcnt lgkmcnt(0)
	s_waitcnt_vscnt null, 0x0
	s_barrier
	buffer_gl0_inv
	s_and_saveexec_b32 s2, s0
	s_cbranch_execz .LBB40_238
; %bb.229:
	s_and_not1_b32 vcc_lo, exec_lo, s3
	s_cbranch_vccnz .LBB40_231
; %bb.230:
	scratch_load_b64 v[1:2], v4, off
	ds_load_b64 v[96:97], v3
	s_waitcnt vmcnt(0) lgkmcnt(0)
	v_mul_f64 v[1:2], v[1:2], v[96:97]
	s_cbranch_execz .LBB40_232
	s_branch .LBB40_233
.LBB40_231:
                                        ; implicit-def: $vgpr1_vgpr2
.LBB40_232:
	ds_load_b64 v[1:2], v3
.LBB40_233:
	s_and_saveexec_b32 s4, s1
	s_cbranch_execz .LBB40_237
; %bb.234:
	v_mov_b32_e32 v96, 0
	v_subrev_nc_u32_e32 v97, 17, v0
	s_movk_i32 s5, 0x1d8
	s_mov_b32 s1, 0
	s_delay_alu instid0(VALU_DEP_2)
	v_add_nc_u32_e32 v96, 0x88, v96
.LBB40_235:                             ; =>This Inner Loop Header: Depth=1
	scratch_load_b64 v[98:99], v96, off
	v_dual_mov_b32 v100, s5 :: v_dual_add_nc_u32 v97, -1, v97
	v_add_nc_u32_e32 v96, 8, v96
	s_add_i32 s5, s5, 8
	ds_load_b64 v[100:101], v100
	v_cmp_eq_u32_e32 vcc_lo, 0, v97
	s_or_b32 s1, vcc_lo, s1
	s_waitcnt vmcnt(0) lgkmcnt(0)
	v_fma_f64 v[1:2], v[98:99], v[100:101], v[1:2]
	s_and_not1_b32 exec_lo, exec_lo, s1
	s_cbranch_execnz .LBB40_235
; %bb.236:
	s_or_b32 exec_lo, exec_lo, s1
.LBB40_237:
	s_delay_alu instid0(SALU_CYCLE_1)
	s_or_b32 exec_lo, exec_lo, s4
	v_mov_b32_e32 v96, 0
	ds_load_b64 v[96:97], v96 offset:128
	s_waitcnt lgkmcnt(0)
	v_mul_f64 v[1:2], v[1:2], v[96:97]
	scratch_store_b64 off, v[1:2], off offset:128
.LBB40_238:
	s_or_b32 exec_lo, exec_lo, s2
	scratch_load_b64 v[1:2], off, off offset:120
	v_cmp_lt_u32_e64 s1, 15, v0
	s_waitcnt vmcnt(0)
	ds_store_b64 v3, v[1:2]
	s_waitcnt lgkmcnt(0)
	s_waitcnt_vscnt null, 0x0
	s_barrier
	buffer_gl0_inv
	s_and_saveexec_b32 s2, s1
	s_cbranch_execz .LBB40_248
; %bb.239:
	s_and_not1_b32 vcc_lo, exec_lo, s3
	s_cbranch_vccnz .LBB40_241
; %bb.240:
	scratch_load_b64 v[1:2], v4, off
	ds_load_b64 v[96:97], v3
	s_waitcnt vmcnt(0) lgkmcnt(0)
	v_mul_f64 v[1:2], v[1:2], v[96:97]
	s_cbranch_execz .LBB40_242
	s_branch .LBB40_243
.LBB40_241:
                                        ; implicit-def: $vgpr1_vgpr2
.LBB40_242:
	ds_load_b64 v[1:2], v3
.LBB40_243:
	s_and_saveexec_b32 s4, s0
	s_cbranch_execz .LBB40_247
; %bb.244:
	v_add_nc_u32_e32 v96, -16, v0
	s_movk_i32 s5, 0x1d0
	s_mov_b32 s0, 0
.LBB40_245:                             ; =>This Inner Loop Header: Depth=1
	scratch_load_b64 v[97:98], v12, off
	v_dual_mov_b32 v99, s5 :: v_dual_add_nc_u32 v96, -1, v96
	v_add_nc_u32_e32 v12, 8, v12
	s_add_i32 s5, s5, 8
	ds_load_b64 v[99:100], v99
	v_cmp_eq_u32_e32 vcc_lo, 0, v96
	s_or_b32 s0, vcc_lo, s0
	s_waitcnt vmcnt(0) lgkmcnt(0)
	v_fma_f64 v[1:2], v[97:98], v[99:100], v[1:2]
	s_and_not1_b32 exec_lo, exec_lo, s0
	s_cbranch_execnz .LBB40_245
; %bb.246:
	s_or_b32 exec_lo, exec_lo, s0
.LBB40_247:
	s_delay_alu instid0(SALU_CYCLE_1)
	s_or_b32 exec_lo, exec_lo, s4
	v_mov_b32_e32 v12, 0
	ds_load_b64 v[96:97], v12 offset:120
	s_waitcnt lgkmcnt(0)
	v_mul_f64 v[1:2], v[1:2], v[96:97]
	scratch_store_b64 off, v[1:2], off offset:120
.LBB40_248:
	s_or_b32 exec_lo, exec_lo, s2
	scratch_load_b64 v[1:2], off, off offset:112
	v_cmp_lt_u32_e64 s0, 14, v0
	s_waitcnt vmcnt(0)
	ds_store_b64 v3, v[1:2]
	s_waitcnt lgkmcnt(0)
	s_waitcnt_vscnt null, 0x0
	s_barrier
	buffer_gl0_inv
	s_and_saveexec_b32 s2, s0
	s_cbranch_execz .LBB40_258
; %bb.249:
	s_and_not1_b32 vcc_lo, exec_lo, s3
	s_cbranch_vccnz .LBB40_251
; %bb.250:
	scratch_load_b64 v[1:2], v4, off
	ds_load_b64 v[96:97], v3
	s_waitcnt vmcnt(0) lgkmcnt(0)
	v_mul_f64 v[1:2], v[1:2], v[96:97]
	s_cbranch_execz .LBB40_252
	s_branch .LBB40_253
.LBB40_251:
                                        ; implicit-def: $vgpr1_vgpr2
.LBB40_252:
	ds_load_b64 v[1:2], v3
.LBB40_253:
	s_and_saveexec_b32 s4, s1
	s_cbranch_execz .LBB40_257
; %bb.254:
	v_mov_b32_e32 v12, 0
	v_add_nc_u32_e32 v96, -15, v0
	s_movk_i32 s5, 0x1c8
	s_mov_b32 s1, 0
	s_delay_alu instid0(VALU_DEP_2)
	v_add_nc_u32_e32 v12, 0x78, v12
.LBB40_255:                             ; =>This Inner Loop Header: Depth=1
	scratch_load_b64 v[97:98], v12, off
	v_dual_mov_b32 v99, s5 :: v_dual_add_nc_u32 v96, -1, v96
	v_add_nc_u32_e32 v12, 8, v12
	s_add_i32 s5, s5, 8
	ds_load_b64 v[99:100], v99
	v_cmp_eq_u32_e32 vcc_lo, 0, v96
	s_or_b32 s1, vcc_lo, s1
	s_waitcnt vmcnt(0) lgkmcnt(0)
	v_fma_f64 v[1:2], v[97:98], v[99:100], v[1:2]
	s_and_not1_b32 exec_lo, exec_lo, s1
	s_cbranch_execnz .LBB40_255
; %bb.256:
	s_or_b32 exec_lo, exec_lo, s1
.LBB40_257:
	s_delay_alu instid0(SALU_CYCLE_1)
	s_or_b32 exec_lo, exec_lo, s4
	v_mov_b32_e32 v12, 0
	ds_load_b64 v[96:97], v12 offset:112
	s_waitcnt lgkmcnt(0)
	v_mul_f64 v[1:2], v[1:2], v[96:97]
	scratch_store_b64 off, v[1:2], off offset:112
.LBB40_258:
	s_or_b32 exec_lo, exec_lo, s2
	scratch_load_b64 v[1:2], off, off offset:104
	v_cmp_lt_u32_e64 s1, 13, v0
	s_waitcnt vmcnt(0)
	ds_store_b64 v3, v[1:2]
	s_waitcnt lgkmcnt(0)
	s_waitcnt_vscnt null, 0x0
	s_barrier
	buffer_gl0_inv
	s_and_saveexec_b32 s2, s1
	s_cbranch_execz .LBB40_268
; %bb.259:
	s_and_not1_b32 vcc_lo, exec_lo, s3
	s_cbranch_vccnz .LBB40_261
; %bb.260:
	scratch_load_b64 v[1:2], v4, off
	ds_load_b64 v[96:97], v3
	s_waitcnt vmcnt(0) lgkmcnt(0)
	v_mul_f64 v[1:2], v[1:2], v[96:97]
	s_cbranch_execz .LBB40_262
	s_branch .LBB40_263
.LBB40_261:
                                        ; implicit-def: $vgpr1_vgpr2
.LBB40_262:
	ds_load_b64 v[1:2], v3
.LBB40_263:
	s_and_saveexec_b32 s4, s0
	s_cbranch_execz .LBB40_267
; %bb.264:
	v_add_nc_u32_e32 v12, -14, v0
	s_movk_i32 s5, 0x1c0
	s_mov_b32 s0, 0
.LBB40_265:                             ; =>This Inner Loop Header: Depth=1
	scratch_load_b64 v[96:97], v11, off
	v_dual_mov_b32 v98, s5 :: v_dual_add_nc_u32 v11, 8, v11
	v_add_nc_u32_e32 v12, -1, v12
	s_add_i32 s5, s5, 8
	ds_load_b64 v[98:99], v98
	v_cmp_eq_u32_e32 vcc_lo, 0, v12
	s_or_b32 s0, vcc_lo, s0
	s_waitcnt vmcnt(0) lgkmcnt(0)
	v_fma_f64 v[1:2], v[96:97], v[98:99], v[1:2]
	s_and_not1_b32 exec_lo, exec_lo, s0
	s_cbranch_execnz .LBB40_265
; %bb.266:
	s_or_b32 exec_lo, exec_lo, s0
.LBB40_267:
	s_delay_alu instid0(SALU_CYCLE_1)
	s_or_b32 exec_lo, exec_lo, s4
	v_mov_b32_e32 v11, 0
	ds_load_b64 v[11:12], v11 offset:104
	s_waitcnt lgkmcnt(0)
	v_mul_f64 v[1:2], v[1:2], v[11:12]
	scratch_store_b64 off, v[1:2], off offset:104
.LBB40_268:
	s_or_b32 exec_lo, exec_lo, s2
	scratch_load_b64 v[1:2], off, off offset:96
	v_cmp_lt_u32_e64 s0, 12, v0
	s_waitcnt vmcnt(0)
	ds_store_b64 v3, v[1:2]
	s_waitcnt lgkmcnt(0)
	s_waitcnt_vscnt null, 0x0
	s_barrier
	buffer_gl0_inv
	s_and_saveexec_b32 s2, s0
	s_cbranch_execz .LBB40_278
; %bb.269:
	s_and_not1_b32 vcc_lo, exec_lo, s3
	s_cbranch_vccnz .LBB40_271
; %bb.270:
	scratch_load_b64 v[1:2], v4, off
	ds_load_b64 v[11:12], v3
	s_waitcnt vmcnt(0) lgkmcnt(0)
	v_mul_f64 v[1:2], v[1:2], v[11:12]
	s_cbranch_execz .LBB40_272
	s_branch .LBB40_273
.LBB40_271:
                                        ; implicit-def: $vgpr1_vgpr2
.LBB40_272:
	ds_load_b64 v[1:2], v3
.LBB40_273:
	s_and_saveexec_b32 s4, s1
	s_cbranch_execz .LBB40_277
; %bb.274:
	v_dual_mov_b32 v11, 0 :: v_dual_add_nc_u32 v12, -13, v0
	s_movk_i32 s5, 0x1b8
	s_mov_b32 s1, 0
	s_delay_alu instid0(VALU_DEP_1)
	v_add_nc_u32_e32 v11, 0x68, v11
.LBB40_275:                             ; =>This Inner Loop Header: Depth=1
	scratch_load_b64 v[96:97], v11, off
	v_dual_mov_b32 v98, s5 :: v_dual_add_nc_u32 v11, 8, v11
	v_add_nc_u32_e32 v12, -1, v12
	s_add_i32 s5, s5, 8
	ds_load_b64 v[98:99], v98
	v_cmp_eq_u32_e32 vcc_lo, 0, v12
	s_or_b32 s1, vcc_lo, s1
	s_waitcnt vmcnt(0) lgkmcnt(0)
	v_fma_f64 v[1:2], v[96:97], v[98:99], v[1:2]
	s_and_not1_b32 exec_lo, exec_lo, s1
	s_cbranch_execnz .LBB40_275
; %bb.276:
	s_or_b32 exec_lo, exec_lo, s1
.LBB40_277:
	s_delay_alu instid0(SALU_CYCLE_1)
	s_or_b32 exec_lo, exec_lo, s4
	v_mov_b32_e32 v11, 0
	ds_load_b64 v[11:12], v11 offset:96
	s_waitcnt lgkmcnt(0)
	v_mul_f64 v[1:2], v[1:2], v[11:12]
	scratch_store_b64 off, v[1:2], off offset:96
.LBB40_278:
	s_or_b32 exec_lo, exec_lo, s2
	scratch_load_b64 v[1:2], off, off offset:88
	v_cmp_lt_u32_e64 s1, 11, v0
	s_waitcnt vmcnt(0)
	ds_store_b64 v3, v[1:2]
	s_waitcnt lgkmcnt(0)
	s_waitcnt_vscnt null, 0x0
	s_barrier
	buffer_gl0_inv
	s_and_saveexec_b32 s2, s1
	s_cbranch_execz .LBB40_288
; %bb.279:
	s_and_not1_b32 vcc_lo, exec_lo, s3
	s_cbranch_vccnz .LBB40_281
; %bb.280:
	scratch_load_b64 v[1:2], v4, off
	ds_load_b64 v[11:12], v3
	s_waitcnt vmcnt(0) lgkmcnt(0)
	v_mul_f64 v[1:2], v[1:2], v[11:12]
	s_cbranch_execz .LBB40_282
	s_branch .LBB40_283
.LBB40_281:
                                        ; implicit-def: $vgpr1_vgpr2
.LBB40_282:
	ds_load_b64 v[1:2], v3
.LBB40_283:
	s_and_saveexec_b32 s4, s0
	s_cbranch_execz .LBB40_287
; %bb.284:
	v_add_nc_u32_e32 v11, -12, v0
	s_movk_i32 s5, 0x1b0
	s_mov_b32 s0, 0
.LBB40_285:                             ; =>This Inner Loop Header: Depth=1
	scratch_load_b64 v[96:97], v10, off
	v_dual_mov_b32 v12, s5 :: v_dual_add_nc_u32 v11, -1, v11
	v_add_nc_u32_e32 v10, 8, v10
	s_add_i32 s5, s5, 8
	ds_load_b64 v[98:99], v12
	v_cmp_eq_u32_e32 vcc_lo, 0, v11
	s_or_b32 s0, vcc_lo, s0
	s_waitcnt vmcnt(0) lgkmcnt(0)
	v_fma_f64 v[1:2], v[96:97], v[98:99], v[1:2]
	s_and_not1_b32 exec_lo, exec_lo, s0
	s_cbranch_execnz .LBB40_285
; %bb.286:
	s_or_b32 exec_lo, exec_lo, s0
.LBB40_287:
	s_delay_alu instid0(SALU_CYCLE_1)
	s_or_b32 exec_lo, exec_lo, s4
	v_mov_b32_e32 v10, 0
	ds_load_b64 v[10:11], v10 offset:88
	s_waitcnt lgkmcnt(0)
	v_mul_f64 v[1:2], v[1:2], v[10:11]
	scratch_store_b64 off, v[1:2], off offset:88
.LBB40_288:
	s_or_b32 exec_lo, exec_lo, s2
	scratch_load_b64 v[1:2], off, off offset:80
	v_cmp_lt_u32_e64 s0, 10, v0
	s_waitcnt vmcnt(0)
	ds_store_b64 v3, v[1:2]
	s_waitcnt lgkmcnt(0)
	s_waitcnt_vscnt null, 0x0
	s_barrier
	buffer_gl0_inv
	s_and_saveexec_b32 s2, s0
	s_cbranch_execz .LBB40_298
; %bb.289:
	s_and_not1_b32 vcc_lo, exec_lo, s3
	s_cbranch_vccnz .LBB40_291
; %bb.290:
	scratch_load_b64 v[1:2], v4, off
	ds_load_b64 v[10:11], v3
	s_waitcnt vmcnt(0) lgkmcnt(0)
	v_mul_f64 v[1:2], v[1:2], v[10:11]
	s_cbranch_execz .LBB40_292
	s_branch .LBB40_293
.LBB40_291:
                                        ; implicit-def: $vgpr1_vgpr2
.LBB40_292:
	ds_load_b64 v[1:2], v3
.LBB40_293:
	s_and_saveexec_b32 s4, s1
	s_cbranch_execz .LBB40_297
; %bb.294:
	v_dual_mov_b32 v10, 0 :: v_dual_add_nc_u32 v11, -11, v0
	s_movk_i32 s5, 0x1a8
	s_mov_b32 s1, 0
	s_delay_alu instid0(VALU_DEP_1)
	v_add_nc_u32_e32 v10, 0x58, v10
.LBB40_295:                             ; =>This Inner Loop Header: Depth=1
	scratch_load_b64 v[96:97], v10, off
	v_dual_mov_b32 v12, s5 :: v_dual_add_nc_u32 v11, -1, v11
	v_add_nc_u32_e32 v10, 8, v10
	s_add_i32 s5, s5, 8
	ds_load_b64 v[98:99], v12
	v_cmp_eq_u32_e32 vcc_lo, 0, v11
	s_or_b32 s1, vcc_lo, s1
	s_waitcnt vmcnt(0) lgkmcnt(0)
	v_fma_f64 v[1:2], v[96:97], v[98:99], v[1:2]
	s_and_not1_b32 exec_lo, exec_lo, s1
	s_cbranch_execnz .LBB40_295
; %bb.296:
	s_or_b32 exec_lo, exec_lo, s1
.LBB40_297:
	s_delay_alu instid0(SALU_CYCLE_1)
	s_or_b32 exec_lo, exec_lo, s4
	v_mov_b32_e32 v10, 0
	ds_load_b64 v[10:11], v10 offset:80
	s_waitcnt lgkmcnt(0)
	v_mul_f64 v[1:2], v[1:2], v[10:11]
	scratch_store_b64 off, v[1:2], off offset:80
.LBB40_298:
	s_or_b32 exec_lo, exec_lo, s2
	scratch_load_b64 v[1:2], off, off offset:72
	v_cmp_lt_u32_e64 s1, 9, v0
	s_waitcnt vmcnt(0)
	ds_store_b64 v3, v[1:2]
	s_waitcnt lgkmcnt(0)
	s_waitcnt_vscnt null, 0x0
	s_barrier
	buffer_gl0_inv
	s_and_saveexec_b32 s2, s1
	s_cbranch_execz .LBB40_308
; %bb.299:
	s_and_not1_b32 vcc_lo, exec_lo, s3
	s_cbranch_vccnz .LBB40_301
; %bb.300:
	scratch_load_b64 v[1:2], v4, off
	ds_load_b64 v[10:11], v3
	s_waitcnt vmcnt(0) lgkmcnt(0)
	v_mul_f64 v[1:2], v[1:2], v[10:11]
	s_cbranch_execz .LBB40_302
	s_branch .LBB40_303
.LBB40_301:
                                        ; implicit-def: $vgpr1_vgpr2
.LBB40_302:
	ds_load_b64 v[1:2], v3
.LBB40_303:
	s_and_saveexec_b32 s4, s0
	s_cbranch_execz .LBB40_307
; %bb.304:
	v_add_nc_u32_e32 v10, -10, v0
	s_movk_i32 s5, 0x1a0
	s_mov_b32 s0, 0
.LBB40_305:                             ; =>This Inner Loop Header: Depth=1
	scratch_load_b64 v[11:12], v9, off
	v_dual_mov_b32 v96, s5 :: v_dual_add_nc_u32 v9, 8, v9
	v_add_nc_u32_e32 v10, -1, v10
	s_add_i32 s5, s5, 8
	ds_load_b64 v[96:97], v96
	v_cmp_eq_u32_e32 vcc_lo, 0, v10
	s_or_b32 s0, vcc_lo, s0
	s_waitcnt vmcnt(0) lgkmcnt(0)
	v_fma_f64 v[1:2], v[11:12], v[96:97], v[1:2]
	s_and_not1_b32 exec_lo, exec_lo, s0
	s_cbranch_execnz .LBB40_305
; %bb.306:
	s_or_b32 exec_lo, exec_lo, s0
.LBB40_307:
	s_delay_alu instid0(SALU_CYCLE_1)
	s_or_b32 exec_lo, exec_lo, s4
	v_mov_b32_e32 v9, 0
	ds_load_b64 v[9:10], v9 offset:72
	s_waitcnt lgkmcnt(0)
	v_mul_f64 v[1:2], v[1:2], v[9:10]
	scratch_store_b64 off, v[1:2], off offset:72
.LBB40_308:
	s_or_b32 exec_lo, exec_lo, s2
	scratch_load_b64 v[1:2], off, off offset:64
	v_cmp_lt_u32_e64 s0, 8, v0
	s_waitcnt vmcnt(0)
	ds_store_b64 v3, v[1:2]
	s_waitcnt lgkmcnt(0)
	s_waitcnt_vscnt null, 0x0
	s_barrier
	buffer_gl0_inv
	s_and_saveexec_b32 s2, s0
	s_cbranch_execz .LBB40_318
; %bb.309:
	s_and_not1_b32 vcc_lo, exec_lo, s3
	s_cbranch_vccnz .LBB40_311
; %bb.310:
	scratch_load_b64 v[1:2], v4, off
	ds_load_b64 v[9:10], v3
	s_waitcnt vmcnt(0) lgkmcnt(0)
	v_mul_f64 v[1:2], v[1:2], v[9:10]
	s_cbranch_execz .LBB40_312
	s_branch .LBB40_313
.LBB40_311:
                                        ; implicit-def: $vgpr1_vgpr2
.LBB40_312:
	ds_load_b64 v[1:2], v3
.LBB40_313:
	s_and_saveexec_b32 s4, s1
	s_cbranch_execz .LBB40_317
; %bb.314:
	v_dual_mov_b32 v9, 0 :: v_dual_add_nc_u32 v10, -9, v0
	s_movk_i32 s5, 0x198
	s_mov_b32 s1, 0
	s_delay_alu instid0(VALU_DEP_1)
	v_add_nc_u32_e32 v9, 0x48, v9
.LBB40_315:                             ; =>This Inner Loop Header: Depth=1
	scratch_load_b64 v[11:12], v9, off
	v_dual_mov_b32 v96, s5 :: v_dual_add_nc_u32 v9, 8, v9
	v_add_nc_u32_e32 v10, -1, v10
	s_add_i32 s5, s5, 8
	ds_load_b64 v[96:97], v96
	v_cmp_eq_u32_e32 vcc_lo, 0, v10
	s_or_b32 s1, vcc_lo, s1
	s_waitcnt vmcnt(0) lgkmcnt(0)
	v_fma_f64 v[1:2], v[11:12], v[96:97], v[1:2]
	s_and_not1_b32 exec_lo, exec_lo, s1
	s_cbranch_execnz .LBB40_315
; %bb.316:
	s_or_b32 exec_lo, exec_lo, s1
.LBB40_317:
	s_delay_alu instid0(SALU_CYCLE_1)
	s_or_b32 exec_lo, exec_lo, s4
	v_mov_b32_e32 v9, 0
	ds_load_b64 v[9:10], v9 offset:64
	s_waitcnt lgkmcnt(0)
	v_mul_f64 v[1:2], v[1:2], v[9:10]
	scratch_store_b64 off, v[1:2], off offset:64
.LBB40_318:
	s_or_b32 exec_lo, exec_lo, s2
	scratch_load_b64 v[1:2], off, off offset:56
	v_cmp_lt_u32_e64 s1, 7, v0
	s_waitcnt vmcnt(0)
	ds_store_b64 v3, v[1:2]
	s_waitcnt lgkmcnt(0)
	s_waitcnt_vscnt null, 0x0
	s_barrier
	buffer_gl0_inv
	s_and_saveexec_b32 s2, s1
	s_cbranch_execz .LBB40_328
; %bb.319:
	s_and_not1_b32 vcc_lo, exec_lo, s3
	s_cbranch_vccnz .LBB40_321
; %bb.320:
	scratch_load_b64 v[1:2], v4, off
	ds_load_b64 v[9:10], v3
	s_waitcnt vmcnt(0) lgkmcnt(0)
	v_mul_f64 v[1:2], v[1:2], v[9:10]
	s_cbranch_execz .LBB40_322
	s_branch .LBB40_323
.LBB40_321:
                                        ; implicit-def: $vgpr1_vgpr2
.LBB40_322:
	ds_load_b64 v[1:2], v3
.LBB40_323:
	s_and_saveexec_b32 s4, s0
	s_cbranch_execz .LBB40_327
; %bb.324:
	v_add_nc_u32_e32 v9, -8, v0
	s_movk_i32 s5, 0x190
	s_mov_b32 s0, 0
.LBB40_325:                             ; =>This Inner Loop Header: Depth=1
	scratch_load_b64 v[10:11], v8, off
	v_dual_mov_b32 v12, s5 :: v_dual_add_nc_u32 v9, -1, v9
	v_add_nc_u32_e32 v8, 8, v8
	s_add_i32 s5, s5, 8
	ds_load_b64 v[96:97], v12
	v_cmp_eq_u32_e32 vcc_lo, 0, v9
	s_or_b32 s0, vcc_lo, s0
	s_waitcnt vmcnt(0) lgkmcnt(0)
	v_fma_f64 v[1:2], v[10:11], v[96:97], v[1:2]
	s_and_not1_b32 exec_lo, exec_lo, s0
	s_cbranch_execnz .LBB40_325
; %bb.326:
	s_or_b32 exec_lo, exec_lo, s0
.LBB40_327:
	s_delay_alu instid0(SALU_CYCLE_1)
	s_or_b32 exec_lo, exec_lo, s4
	v_mov_b32_e32 v8, 0
	ds_load_b64 v[8:9], v8 offset:56
	s_waitcnt lgkmcnt(0)
	v_mul_f64 v[1:2], v[1:2], v[8:9]
	scratch_store_b64 off, v[1:2], off offset:56
.LBB40_328:
	s_or_b32 exec_lo, exec_lo, s2
	scratch_load_b64 v[1:2], off, off offset:48
	v_cmp_lt_u32_e64 s0, 6, v0
	s_waitcnt vmcnt(0)
	ds_store_b64 v3, v[1:2]
	s_waitcnt lgkmcnt(0)
	s_waitcnt_vscnt null, 0x0
	s_barrier
	buffer_gl0_inv
	s_and_saveexec_b32 s2, s0
	s_cbranch_execz .LBB40_338
; %bb.329:
	s_and_not1_b32 vcc_lo, exec_lo, s3
	s_cbranch_vccnz .LBB40_331
; %bb.330:
	scratch_load_b64 v[1:2], v4, off
	ds_load_b64 v[8:9], v3
	s_waitcnt vmcnt(0) lgkmcnt(0)
	v_mul_f64 v[1:2], v[1:2], v[8:9]
	s_cbranch_execz .LBB40_332
	s_branch .LBB40_333
.LBB40_331:
                                        ; implicit-def: $vgpr1_vgpr2
.LBB40_332:
	ds_load_b64 v[1:2], v3
.LBB40_333:
	s_and_saveexec_b32 s4, s1
	s_cbranch_execz .LBB40_337
; %bb.334:
	v_add_nc_u32_e64 v8, 0, 56
	v_add_nc_u32_e32 v9, -7, v0
	s_movk_i32 s5, 0x188
	s_mov_b32 s1, 0
.LBB40_335:                             ; =>This Inner Loop Header: Depth=1
	scratch_load_b64 v[10:11], v8, off
	v_dual_mov_b32 v12, s5 :: v_dual_add_nc_u32 v9, -1, v9
	v_add_nc_u32_e32 v8, 8, v8
	s_add_i32 s5, s5, 8
	ds_load_b64 v[96:97], v12
	v_cmp_eq_u32_e32 vcc_lo, 0, v9
	s_or_b32 s1, vcc_lo, s1
	s_waitcnt vmcnt(0) lgkmcnt(0)
	v_fma_f64 v[1:2], v[10:11], v[96:97], v[1:2]
	s_and_not1_b32 exec_lo, exec_lo, s1
	s_cbranch_execnz .LBB40_335
; %bb.336:
	s_or_b32 exec_lo, exec_lo, s1
.LBB40_337:
	s_delay_alu instid0(SALU_CYCLE_1)
	s_or_b32 exec_lo, exec_lo, s4
	v_mov_b32_e32 v8, 0
	ds_load_b64 v[8:9], v8 offset:48
	s_waitcnt lgkmcnt(0)
	v_mul_f64 v[1:2], v[1:2], v[8:9]
	scratch_store_b64 off, v[1:2], off offset:48
.LBB40_338:
	s_or_b32 exec_lo, exec_lo, s2
	scratch_load_b64 v[1:2], off, off offset:40
	v_cmp_lt_u32_e64 s1, 5, v0
	s_waitcnt vmcnt(0)
	ds_store_b64 v3, v[1:2]
	s_waitcnt lgkmcnt(0)
	s_waitcnt_vscnt null, 0x0
	s_barrier
	buffer_gl0_inv
	s_and_saveexec_b32 s2, s1
	s_cbranch_execz .LBB40_348
; %bb.339:
	s_and_not1_b32 vcc_lo, exec_lo, s3
	s_cbranch_vccnz .LBB40_341
; %bb.340:
	scratch_load_b64 v[1:2], v4, off
	ds_load_b64 v[8:9], v3
	s_waitcnt vmcnt(0) lgkmcnt(0)
	v_mul_f64 v[1:2], v[1:2], v[8:9]
	s_cbranch_execz .LBB40_342
	s_branch .LBB40_343
.LBB40_341:
                                        ; implicit-def: $vgpr1_vgpr2
.LBB40_342:
	ds_load_b64 v[1:2], v3
.LBB40_343:
	s_and_saveexec_b32 s4, s0
	s_cbranch_execz .LBB40_347
; %bb.344:
	v_add_nc_u32_e32 v8, -6, v0
	s_movk_i32 s5, 0x180
	s_mov_b32 s0, 0
.LBB40_345:                             ; =>This Inner Loop Header: Depth=1
	scratch_load_b64 v[9:10], v7, off
	v_dual_mov_b32 v11, s5 :: v_dual_add_nc_u32 v8, -1, v8
	v_add_nc_u32_e32 v7, 8, v7
	s_add_i32 s5, s5, 8
	ds_load_b64 v[11:12], v11
	v_cmp_eq_u32_e32 vcc_lo, 0, v8
	s_or_b32 s0, vcc_lo, s0
	s_waitcnt vmcnt(0) lgkmcnt(0)
	v_fma_f64 v[1:2], v[9:10], v[11:12], v[1:2]
	s_and_not1_b32 exec_lo, exec_lo, s0
	s_cbranch_execnz .LBB40_345
; %bb.346:
	s_or_b32 exec_lo, exec_lo, s0
.LBB40_347:
	s_delay_alu instid0(SALU_CYCLE_1)
	s_or_b32 exec_lo, exec_lo, s4
	v_mov_b32_e32 v7, 0
	ds_load_b64 v[7:8], v7 offset:40
	s_waitcnt lgkmcnt(0)
	v_mul_f64 v[1:2], v[1:2], v[7:8]
	scratch_store_b64 off, v[1:2], off offset:40
.LBB40_348:
	s_or_b32 exec_lo, exec_lo, s2
	scratch_load_b64 v[1:2], off, off offset:32
	v_cmp_lt_u32_e64 s0, 4, v0
	s_waitcnt vmcnt(0)
	ds_store_b64 v3, v[1:2]
	s_waitcnt lgkmcnt(0)
	s_waitcnt_vscnt null, 0x0
	s_barrier
	buffer_gl0_inv
	s_and_saveexec_b32 s2, s0
	s_cbranch_execz .LBB40_358
; %bb.349:
	s_and_not1_b32 vcc_lo, exec_lo, s3
	s_cbranch_vccnz .LBB40_351
; %bb.350:
	scratch_load_b64 v[1:2], v4, off
	ds_load_b64 v[7:8], v3
	s_waitcnt vmcnt(0) lgkmcnt(0)
	v_mul_f64 v[1:2], v[1:2], v[7:8]
	s_cbranch_execz .LBB40_352
	s_branch .LBB40_353
.LBB40_351:
                                        ; implicit-def: $vgpr1_vgpr2
.LBB40_352:
	ds_load_b64 v[1:2], v3
.LBB40_353:
	s_and_saveexec_b32 s4, s1
	s_cbranch_execz .LBB40_357
; %bb.354:
	v_add_nc_u32_e64 v7, 0, 40
	v_add_nc_u32_e32 v8, -5, v0
	s_movk_i32 s5, 0x178
	s_mov_b32 s1, 0
.LBB40_355:                             ; =>This Inner Loop Header: Depth=1
	scratch_load_b64 v[9:10], v7, off
	v_dual_mov_b32 v11, s5 :: v_dual_add_nc_u32 v8, -1, v8
	v_add_nc_u32_e32 v7, 8, v7
	s_add_i32 s5, s5, 8
	ds_load_b64 v[11:12], v11
	v_cmp_eq_u32_e32 vcc_lo, 0, v8
	s_or_b32 s1, vcc_lo, s1
	s_waitcnt vmcnt(0) lgkmcnt(0)
	v_fma_f64 v[1:2], v[9:10], v[11:12], v[1:2]
	s_and_not1_b32 exec_lo, exec_lo, s1
	s_cbranch_execnz .LBB40_355
; %bb.356:
	s_or_b32 exec_lo, exec_lo, s1
.LBB40_357:
	s_delay_alu instid0(SALU_CYCLE_1)
	s_or_b32 exec_lo, exec_lo, s4
	v_mov_b32_e32 v7, 0
	ds_load_b64 v[7:8], v7 offset:32
	s_waitcnt lgkmcnt(0)
	v_mul_f64 v[1:2], v[1:2], v[7:8]
	scratch_store_b64 off, v[1:2], off offset:32
.LBB40_358:
	s_or_b32 exec_lo, exec_lo, s2
	scratch_load_b64 v[1:2], off, off offset:24
	v_cmp_lt_u32_e64 s1, 3, v0
	s_waitcnt vmcnt(0)
	ds_store_b64 v3, v[1:2]
	s_waitcnt lgkmcnt(0)
	s_waitcnt_vscnt null, 0x0
	s_barrier
	buffer_gl0_inv
	s_and_saveexec_b32 s2, s1
	s_cbranch_execz .LBB40_368
; %bb.359:
	s_and_not1_b32 vcc_lo, exec_lo, s3
	s_cbranch_vccnz .LBB40_361
; %bb.360:
	scratch_load_b64 v[1:2], v4, off
	ds_load_b64 v[7:8], v3
	s_waitcnt vmcnt(0) lgkmcnt(0)
	v_mul_f64 v[1:2], v[1:2], v[7:8]
	s_cbranch_execz .LBB40_362
	s_branch .LBB40_363
.LBB40_361:
                                        ; implicit-def: $vgpr1_vgpr2
.LBB40_362:
	ds_load_b64 v[1:2], v3
.LBB40_363:
	s_and_saveexec_b32 s4, s0
	s_cbranch_execz .LBB40_367
; %bb.364:
	v_add_nc_u32_e32 v7, -4, v0
	s_movk_i32 s5, 0x170
	s_mov_b32 s0, 0
.LBB40_365:                             ; =>This Inner Loop Header: Depth=1
	scratch_load_b64 v[8:9], v6, off
	v_dual_mov_b32 v10, s5 :: v_dual_add_nc_u32 v7, -1, v7
	v_add_nc_u32_e32 v6, 8, v6
	s_add_i32 s5, s5, 8
	ds_load_b64 v[10:11], v10
	v_cmp_eq_u32_e32 vcc_lo, 0, v7
	s_or_b32 s0, vcc_lo, s0
	s_waitcnt vmcnt(0) lgkmcnt(0)
	v_fma_f64 v[1:2], v[8:9], v[10:11], v[1:2]
	s_and_not1_b32 exec_lo, exec_lo, s0
	s_cbranch_execnz .LBB40_365
; %bb.366:
	s_or_b32 exec_lo, exec_lo, s0
.LBB40_367:
	s_delay_alu instid0(SALU_CYCLE_1)
	s_or_b32 exec_lo, exec_lo, s4
	v_mov_b32_e32 v6, 0
	ds_load_b64 v[6:7], v6 offset:24
	s_waitcnt lgkmcnt(0)
	v_mul_f64 v[1:2], v[1:2], v[6:7]
	scratch_store_b64 off, v[1:2], off offset:24
.LBB40_368:
	s_or_b32 exec_lo, exec_lo, s2
	scratch_load_b64 v[1:2], off, off offset:16
	v_cmp_lt_u32_e64 s0, 2, v0
	s_waitcnt vmcnt(0)
	ds_store_b64 v3, v[1:2]
	s_waitcnt lgkmcnt(0)
	s_waitcnt_vscnt null, 0x0
	s_barrier
	buffer_gl0_inv
	s_and_saveexec_b32 s2, s0
	s_cbranch_execz .LBB40_378
; %bb.369:
	s_and_not1_b32 vcc_lo, exec_lo, s3
	s_cbranch_vccnz .LBB40_371
; %bb.370:
	scratch_load_b64 v[1:2], v4, off
	ds_load_b64 v[6:7], v3
	s_waitcnt vmcnt(0) lgkmcnt(0)
	v_mul_f64 v[1:2], v[1:2], v[6:7]
	s_cbranch_execz .LBB40_372
	s_branch .LBB40_373
.LBB40_371:
                                        ; implicit-def: $vgpr1_vgpr2
.LBB40_372:
	ds_load_b64 v[1:2], v3
.LBB40_373:
	s_and_saveexec_b32 s4, s1
	s_cbranch_execz .LBB40_377
; %bb.374:
	v_add_nc_u32_e64 v6, 0, 24
	v_add_nc_u32_e32 v7, -3, v0
	s_movk_i32 s5, 0x168
	s_mov_b32 s1, 0
.LBB40_375:                             ; =>This Inner Loop Header: Depth=1
	scratch_load_b64 v[8:9], v6, off
	v_dual_mov_b32 v10, s5 :: v_dual_add_nc_u32 v7, -1, v7
	v_add_nc_u32_e32 v6, 8, v6
	s_add_i32 s5, s5, 8
	ds_load_b64 v[10:11], v10
	v_cmp_eq_u32_e32 vcc_lo, 0, v7
	s_or_b32 s1, vcc_lo, s1
	s_waitcnt vmcnt(0) lgkmcnt(0)
	v_fma_f64 v[1:2], v[8:9], v[10:11], v[1:2]
	s_and_not1_b32 exec_lo, exec_lo, s1
	s_cbranch_execnz .LBB40_375
; %bb.376:
	s_or_b32 exec_lo, exec_lo, s1
.LBB40_377:
	s_delay_alu instid0(SALU_CYCLE_1)
	s_or_b32 exec_lo, exec_lo, s4
	v_mov_b32_e32 v6, 0
	ds_load_b64 v[6:7], v6 offset:16
	s_waitcnt lgkmcnt(0)
	v_mul_f64 v[1:2], v[1:2], v[6:7]
	scratch_store_b64 off, v[1:2], off offset:16
.LBB40_378:
	s_or_b32 exec_lo, exec_lo, s2
	scratch_load_b64 v[1:2], off, off offset:8
	v_cmp_lt_u32_e64 s1, 1, v0
	s_waitcnt vmcnt(0)
	ds_store_b64 v3, v[1:2]
	s_waitcnt lgkmcnt(0)
	s_waitcnt_vscnt null, 0x0
	s_barrier
	buffer_gl0_inv
	s_and_saveexec_b32 s2, s1
	s_cbranch_execz .LBB40_388
; %bb.379:
	s_and_not1_b32 vcc_lo, exec_lo, s3
	s_cbranch_vccnz .LBB40_381
; %bb.380:
	scratch_load_b64 v[1:2], v4, off
	ds_load_b64 v[6:7], v3
	s_waitcnt vmcnt(0) lgkmcnt(0)
	v_mul_f64 v[1:2], v[1:2], v[6:7]
	s_cbranch_execz .LBB40_382
	s_branch .LBB40_383
.LBB40_381:
                                        ; implicit-def: $vgpr1_vgpr2
.LBB40_382:
	ds_load_b64 v[1:2], v3
.LBB40_383:
	s_and_saveexec_b32 s4, s0
	s_cbranch_execz .LBB40_387
; %bb.384:
	v_add_nc_u32_e32 v6, -2, v0
	s_movk_i32 s5, 0x160
	s_mov_b32 s0, 0
.LBB40_385:                             ; =>This Inner Loop Header: Depth=1
	scratch_load_b64 v[7:8], v5, off
	v_dual_mov_b32 v9, s5 :: v_dual_add_nc_u32 v6, -1, v6
	v_add_nc_u32_e32 v5, 8, v5
	s_add_i32 s5, s5, 8
	ds_load_b64 v[9:10], v9
	v_cmp_eq_u32_e32 vcc_lo, 0, v6
	s_or_b32 s0, vcc_lo, s0
	s_waitcnt vmcnt(0) lgkmcnt(0)
	v_fma_f64 v[1:2], v[7:8], v[9:10], v[1:2]
	s_and_not1_b32 exec_lo, exec_lo, s0
	s_cbranch_execnz .LBB40_385
; %bb.386:
	s_or_b32 exec_lo, exec_lo, s0
.LBB40_387:
	s_delay_alu instid0(SALU_CYCLE_1)
	s_or_b32 exec_lo, exec_lo, s4
	v_mov_b32_e32 v5, 0
	ds_load_b64 v[5:6], v5 offset:8
	s_waitcnt lgkmcnt(0)
	v_mul_f64 v[1:2], v[1:2], v[5:6]
	scratch_store_b64 off, v[1:2], off offset:8
.LBB40_388:
	s_or_b32 exec_lo, exec_lo, s2
	scratch_load_b64 v[1:2], off, off
	s_mov_b32 s0, 0
	s_mov_b32 s2, exec_lo
	s_waitcnt vmcnt(0)
	ds_store_b64 v3, v[1:2]
	s_waitcnt lgkmcnt(0)
	s_waitcnt_vscnt null, 0x0
	s_barrier
	buffer_gl0_inv
	v_cmpx_ne_u32_e32 0, v0
	s_cbranch_execz .LBB40_398
; %bb.389:
	s_and_not1_b32 vcc_lo, exec_lo, s3
	s_cbranch_vccnz .LBB40_391
; %bb.390:
	scratch_load_b64 v[1:2], v4, off
	ds_load_b64 v[5:6], v3
	s_waitcnt vmcnt(0) lgkmcnt(0)
	v_mul_f64 v[1:2], v[1:2], v[5:6]
	s_cbranch_execz .LBB40_392
	s_branch .LBB40_393
.LBB40_391:
                                        ; implicit-def: $vgpr1_vgpr2
.LBB40_392:
	ds_load_b64 v[1:2], v3
.LBB40_393:
	s_and_saveexec_b32 s4, s1
	s_cbranch_execz .LBB40_397
; %bb.394:
	v_or_b32_e64 v5, 0, 8
	v_add_nc_u32_e32 v6, -1, v0
	s_movk_i32 s5, 0x158
	s_mov_b32 s1, 0
.LBB40_395:                             ; =>This Inner Loop Header: Depth=1
	scratch_load_b64 v[7:8], v5, off
	v_dual_mov_b32 v9, s5 :: v_dual_add_nc_u32 v6, -1, v6
	v_add_nc_u32_e32 v5, 8, v5
	s_add_i32 s5, s5, 8
	ds_load_b64 v[9:10], v9
	v_cmp_eq_u32_e32 vcc_lo, 0, v6
	s_or_b32 s1, vcc_lo, s1
	s_waitcnt vmcnt(0) lgkmcnt(0)
	v_fma_f64 v[1:2], v[7:8], v[9:10], v[1:2]
	s_and_not1_b32 exec_lo, exec_lo, s1
	s_cbranch_execnz .LBB40_395
; %bb.396:
	s_or_b32 exec_lo, exec_lo, s1
.LBB40_397:
	s_delay_alu instid0(SALU_CYCLE_1)
	s_or_b32 exec_lo, exec_lo, s4
	v_mov_b32_e32 v5, 0
	ds_load_b64 v[5:6], v5
	s_waitcnt lgkmcnt(0)
	v_mul_f64 v[1:2], v[1:2], v[5:6]
	scratch_store_b64 off, v[1:2], off
.LBB40_398:
	s_or_b32 exec_lo, exec_lo, s2
.LBB40_399:
	s_delay_alu instid0(SALU_CYCLE_1)
	s_and_b32 vcc_lo, exec_lo, s0
	s_cbranch_vccz .LBB40_795
; %bb.400:
	scratch_load_b64 v[1:2], off, off offset:8
	v_cmp_eq_u32_e64 s0, 0, v0
	s_waitcnt vmcnt(0)
	ds_store_b64 v3, v[1:2]
	s_waitcnt lgkmcnt(0)
	s_waitcnt_vscnt null, 0x0
	s_barrier
	buffer_gl0_inv
	s_and_saveexec_b32 s1, s0
	s_cbranch_execz .LBB40_406
; %bb.401:
	s_and_b32 vcc_lo, exec_lo, s3
	s_cbranch_vccz .LBB40_403
; %bb.402:
	scratch_load_b64 v[1:2], v4, off
	ds_load_b64 v[5:6], v3
	s_waitcnt vmcnt(0) lgkmcnt(0)
	v_mul_f64 v[1:2], v[1:2], v[5:6]
	s_cbranch_execz .LBB40_404
	s_branch .LBB40_405
.LBB40_403:
                                        ; implicit-def: $vgpr1_vgpr2
.LBB40_404:
	ds_load_b64 v[1:2], v3
.LBB40_405:
	v_mov_b32_e32 v5, 0
	ds_load_b64 v[5:6], v5 offset:8
	s_waitcnt lgkmcnt(0)
	v_mul_f64 v[1:2], v[1:2], v[5:6]
	scratch_store_b64 off, v[1:2], off offset:8
.LBB40_406:
	s_or_b32 exec_lo, exec_lo, s1
	scratch_load_b64 v[1:2], off, off offset:16
	v_cndmask_b32_e64 v5, 0, 1, s3
	s_mov_b32 s1, exec_lo
	s_waitcnt vmcnt(0)
	ds_store_b64 v3, v[1:2]
	s_waitcnt lgkmcnt(0)
	s_waitcnt_vscnt null, 0x0
	s_barrier
	buffer_gl0_inv
	v_cmpx_gt_u32_e32 2, v0
	s_cbranch_execz .LBB40_414
; %bb.407:
	s_and_not1_b32 vcc_lo, exec_lo, s3
	s_cbranch_vccnz .LBB40_409
; %bb.408:
	scratch_load_b64 v[1:2], v4, off
	ds_load_b64 v[6:7], v3
	s_waitcnt vmcnt(0) lgkmcnt(0)
	v_mul_f64 v[1:2], v[1:2], v[6:7]
	s_cbranch_execz .LBB40_410
	s_branch .LBB40_411
.LBB40_409:
                                        ; implicit-def: $vgpr1_vgpr2
.LBB40_410:
	ds_load_b64 v[1:2], v3
.LBB40_411:
	s_and_saveexec_b32 s2, s0
	s_cbranch_execz .LBB40_413
; %bb.412:
	scratch_load_b64 v[6:7], v4, off offset:8
	ds_load_b64 v[8:9], v3 offset:8
	s_waitcnt vmcnt(0) lgkmcnt(0)
	v_fma_f64 v[1:2], v[6:7], v[8:9], v[1:2]
.LBB40_413:
	s_or_b32 exec_lo, exec_lo, s2
	v_mov_b32_e32 v6, 0
	ds_load_b64 v[6:7], v6 offset:16
	s_waitcnt lgkmcnt(0)
	v_mul_f64 v[1:2], v[1:2], v[6:7]
	scratch_store_b64 off, v[1:2], off offset:16
.LBB40_414:
	s_or_b32 exec_lo, exec_lo, s1
	scratch_load_b64 v[1:2], off, off offset:24
	s_mov_b32 s1, exec_lo
	s_waitcnt vmcnt(0)
	ds_store_b64 v3, v[1:2]
	s_waitcnt lgkmcnt(0)
	s_waitcnt_vscnt null, 0x0
	s_barrier
	buffer_gl0_inv
	v_cmpx_gt_u32_e32 3, v0
	s_cbranch_execz .LBB40_424
; %bb.415:
	v_cmp_ne_u32_e32 vcc_lo, 1, v5
	s_cbranch_vccnz .LBB40_417
; %bb.416:
	scratch_load_b64 v[1:2], v4, off
	ds_load_b64 v[6:7], v3
	s_waitcnt vmcnt(0) lgkmcnt(0)
	v_mul_f64 v[1:2], v[1:2], v[6:7]
	s_cbranch_execz .LBB40_418
	s_branch .LBB40_419
.LBB40_417:
                                        ; implicit-def: $vgpr1_vgpr2
.LBB40_418:
	ds_load_b64 v[1:2], v3
.LBB40_419:
	s_mov_b32 s2, exec_lo
	v_cmpx_ne_u32_e32 2, v0
	s_cbranch_execz .LBB40_423
; %bb.420:
	scratch_load_b64 v[6:7], v4, off offset:8
	ds_load_b64 v[8:9], v3 offset:8
	s_waitcnt vmcnt(0) lgkmcnt(0)
	v_fma_f64 v[1:2], v[6:7], v[8:9], v[1:2]
	s_and_saveexec_b32 s3, s0
	s_cbranch_execz .LBB40_422
; %bb.421:
	scratch_load_b64 v[6:7], off, off offset:16
	v_mov_b32_e32 v8, 0
	ds_load_b64 v[8:9], v8 offset:352
	s_waitcnt vmcnt(0) lgkmcnt(0)
	v_fma_f64 v[1:2], v[6:7], v[8:9], v[1:2]
.LBB40_422:
	s_or_b32 exec_lo, exec_lo, s3
.LBB40_423:
	s_delay_alu instid0(SALU_CYCLE_1)
	s_or_b32 exec_lo, exec_lo, s2
	v_mov_b32_e32 v6, 0
	ds_load_b64 v[6:7], v6 offset:24
	s_waitcnt lgkmcnt(0)
	v_mul_f64 v[1:2], v[1:2], v[6:7]
	scratch_store_b64 off, v[1:2], off offset:24
.LBB40_424:
	s_or_b32 exec_lo, exec_lo, s1
	scratch_load_b64 v[1:2], off, off offset:32
	s_mov_b32 s0, exec_lo
	s_waitcnt vmcnt(0)
	ds_store_b64 v3, v[1:2]
	s_waitcnt lgkmcnt(0)
	s_waitcnt_vscnt null, 0x0
	s_barrier
	buffer_gl0_inv
	v_cmpx_gt_u32_e32 4, v0
	s_cbranch_execz .LBB40_434
; %bb.425:
	v_cmp_ne_u32_e32 vcc_lo, 1, v5
	s_cbranch_vccnz .LBB40_427
; %bb.426:
	scratch_load_b64 v[1:2], v4, off
	ds_load_b64 v[6:7], v3
	s_waitcnt vmcnt(0) lgkmcnt(0)
	v_mul_f64 v[1:2], v[1:2], v[6:7]
	s_cbranch_execz .LBB40_428
	s_branch .LBB40_429
.LBB40_427:
                                        ; implicit-def: $vgpr1_vgpr2
.LBB40_428:
	ds_load_b64 v[1:2], v3
.LBB40_429:
	s_mov_b32 s1, exec_lo
	v_cmpx_ne_u32_e32 3, v0
	s_cbranch_execz .LBB40_433
; %bb.430:
	v_add_nc_u32_e32 v6, 0x158, v95
	v_add3_u32 v7, 0, v95, 8
	v_mov_b32_e32 v8, v0
	s_mov_b32 s2, 0
.LBB40_431:                             ; =>This Inner Loop Header: Depth=1
	scratch_load_b64 v[9:10], v7, off
	ds_load_b64 v[11:12], v6
	v_add_nc_u32_e32 v8, 1, v8
	v_add_nc_u32_e32 v6, 8, v6
	v_add_nc_u32_e32 v7, 8, v7
	s_delay_alu instid0(VALU_DEP_3)
	v_cmp_lt_u32_e32 vcc_lo, 2, v8
	s_or_b32 s2, vcc_lo, s2
	s_waitcnt vmcnt(0) lgkmcnt(0)
	v_fma_f64 v[1:2], v[9:10], v[11:12], v[1:2]
	s_and_not1_b32 exec_lo, exec_lo, s2
	s_cbranch_execnz .LBB40_431
; %bb.432:
	s_or_b32 exec_lo, exec_lo, s2
.LBB40_433:
	s_delay_alu instid0(SALU_CYCLE_1)
	s_or_b32 exec_lo, exec_lo, s1
	v_mov_b32_e32 v6, 0
	ds_load_b64 v[6:7], v6 offset:32
	s_waitcnt lgkmcnt(0)
	v_mul_f64 v[1:2], v[1:2], v[6:7]
	scratch_store_b64 off, v[1:2], off offset:32
.LBB40_434:
	s_or_b32 exec_lo, exec_lo, s0
	scratch_load_b64 v[1:2], off, off offset:40
	s_mov_b32 s0, exec_lo
	s_waitcnt vmcnt(0)
	ds_store_b64 v3, v[1:2]
	s_waitcnt lgkmcnt(0)
	s_waitcnt_vscnt null, 0x0
	s_barrier
	buffer_gl0_inv
	v_cmpx_gt_u32_e32 5, v0
	s_cbranch_execz .LBB40_444
; %bb.435:
	v_cmp_ne_u32_e32 vcc_lo, 1, v5
	s_cbranch_vccnz .LBB40_437
; %bb.436:
	scratch_load_b64 v[1:2], v4, off
	ds_load_b64 v[6:7], v3
	s_waitcnt vmcnt(0) lgkmcnt(0)
	v_mul_f64 v[1:2], v[1:2], v[6:7]
	s_cbranch_execz .LBB40_438
	s_branch .LBB40_439
.LBB40_437:
                                        ; implicit-def: $vgpr1_vgpr2
.LBB40_438:
	ds_load_b64 v[1:2], v3
.LBB40_439:
	s_mov_b32 s1, exec_lo
	v_cmpx_ne_u32_e32 4, v0
	s_cbranch_execz .LBB40_443
; %bb.440:
	v_add_nc_u32_e32 v6, 0x158, v95
	v_add3_u32 v7, 0, v95, 8
	v_mov_b32_e32 v8, v0
	s_mov_b32 s2, 0
.LBB40_441:                             ; =>This Inner Loop Header: Depth=1
	scratch_load_b64 v[9:10], v7, off
	ds_load_b64 v[11:12], v6
	v_add_nc_u32_e32 v8, 1, v8
	v_add_nc_u32_e32 v6, 8, v6
	v_add_nc_u32_e32 v7, 8, v7
	s_delay_alu instid0(VALU_DEP_3)
	v_cmp_lt_u32_e32 vcc_lo, 3, v8
	s_or_b32 s2, vcc_lo, s2
	s_waitcnt vmcnt(0) lgkmcnt(0)
	v_fma_f64 v[1:2], v[9:10], v[11:12], v[1:2]
	s_and_not1_b32 exec_lo, exec_lo, s2
	s_cbranch_execnz .LBB40_441
; %bb.442:
	s_or_b32 exec_lo, exec_lo, s2
.LBB40_443:
	s_delay_alu instid0(SALU_CYCLE_1)
	s_or_b32 exec_lo, exec_lo, s1
	v_mov_b32_e32 v6, 0
	ds_load_b64 v[6:7], v6 offset:40
	s_waitcnt lgkmcnt(0)
	v_mul_f64 v[1:2], v[1:2], v[6:7]
	scratch_store_b64 off, v[1:2], off offset:40
.LBB40_444:
	;; [unrolled: 58-line block ×35, first 2 shown]
	s_or_b32 exec_lo, exec_lo, s0
	scratch_load_b64 v[1:2], off, off offset:312
	v_cmp_gt_u32_e64 s0, 39, v0
	s_waitcnt vmcnt(0)
	ds_store_b64 v3, v[1:2]
	s_waitcnt lgkmcnt(0)
	s_waitcnt_vscnt null, 0x0
	s_barrier
	buffer_gl0_inv
	s_and_saveexec_b32 s1, s0
	s_cbranch_execz .LBB40_784
; %bb.775:
	v_cmp_ne_u32_e32 vcc_lo, 1, v5
	s_cbranch_vccnz .LBB40_777
; %bb.776:
	scratch_load_b64 v[1:2], v4, off
	ds_load_b64 v[6:7], v3
	s_waitcnt vmcnt(0) lgkmcnt(0)
	v_mul_f64 v[1:2], v[1:2], v[6:7]
	s_cbranch_execz .LBB40_778
	s_branch .LBB40_779
.LBB40_777:
                                        ; implicit-def: $vgpr1_vgpr2
.LBB40_778:
	ds_load_b64 v[1:2], v3
.LBB40_779:
	s_mov_b32 s2, exec_lo
	v_cmpx_ne_u32_e32 38, v0
	s_cbranch_execz .LBB40_783
; %bb.780:
	v_add_nc_u32_e32 v6, 0x158, v95
	v_add3_u32 v7, 0, v95, 8
	v_mov_b32_e32 v8, v0
	s_mov_b32 s3, 0
.LBB40_781:                             ; =>This Inner Loop Header: Depth=1
	scratch_load_b64 v[9:10], v7, off
	ds_load_b64 v[11:12], v6
	v_add_nc_u32_e32 v8, 1, v8
	v_add_nc_u32_e32 v6, 8, v6
	;; [unrolled: 1-line block ×3, first 2 shown]
	s_delay_alu instid0(VALU_DEP_3)
	v_cmp_lt_u32_e32 vcc_lo, 37, v8
	s_or_b32 s3, vcc_lo, s3
	s_waitcnt vmcnt(0) lgkmcnt(0)
	v_fma_f64 v[1:2], v[9:10], v[11:12], v[1:2]
	s_and_not1_b32 exec_lo, exec_lo, s3
	s_cbranch_execnz .LBB40_781
; %bb.782:
	s_or_b32 exec_lo, exec_lo, s3
.LBB40_783:
	s_delay_alu instid0(SALU_CYCLE_1)
	s_or_b32 exec_lo, exec_lo, s2
	v_mov_b32_e32 v6, 0
	ds_load_b64 v[6:7], v6 offset:312
	s_waitcnt lgkmcnt(0)
	v_mul_f64 v[1:2], v[1:2], v[6:7]
	scratch_store_b64 off, v[1:2], off offset:312
.LBB40_784:
	s_or_b32 exec_lo, exec_lo, s1
	scratch_load_b64 v[1:2], off, off offset:320
	s_mov_b32 s1, exec_lo
	s_waitcnt vmcnt(0)
	ds_store_b64 v3, v[1:2]
	s_waitcnt lgkmcnt(0)
	s_waitcnt_vscnt null, 0x0
	s_barrier
	buffer_gl0_inv
	v_cmpx_ne_u32_e32 40, v0
	s_cbranch_execz .LBB40_794
; %bb.785:
	v_cmp_ne_u32_e32 vcc_lo, 1, v5
	s_cbranch_vccnz .LBB40_787
; %bb.786:
	scratch_load_b64 v[1:2], v4, off
	ds_load_b64 v[4:5], v3
	s_waitcnt vmcnt(0) lgkmcnt(0)
	v_mul_f64 v[1:2], v[1:2], v[4:5]
	s_cbranch_execz .LBB40_788
	s_branch .LBB40_789
.LBB40_787:
                                        ; implicit-def: $vgpr1_vgpr2
.LBB40_788:
	ds_load_b64 v[1:2], v3
.LBB40_789:
	s_and_saveexec_b32 s2, s0
	s_cbranch_execz .LBB40_793
; %bb.790:
	v_add_nc_u32_e32 v3, 0x158, v95
	v_add3_u32 v4, 0, v95, 8
	s_mov_b32 s0, 0
.LBB40_791:                             ; =>This Inner Loop Header: Depth=1
	scratch_load_b64 v[5:6], v4, off
	ds_load_b64 v[7:8], v3
	v_add_nc_u32_e32 v0, 1, v0
	v_add_nc_u32_e32 v3, 8, v3
	;; [unrolled: 1-line block ×3, first 2 shown]
	s_delay_alu instid0(VALU_DEP_3)
	v_cmp_lt_u32_e32 vcc_lo, 38, v0
	s_or_b32 s0, vcc_lo, s0
	s_waitcnt vmcnt(0) lgkmcnt(0)
	v_fma_f64 v[1:2], v[5:6], v[7:8], v[1:2]
	s_and_not1_b32 exec_lo, exec_lo, s0
	s_cbranch_execnz .LBB40_791
; %bb.792:
	s_or_b32 exec_lo, exec_lo, s0
.LBB40_793:
	s_delay_alu instid0(SALU_CYCLE_1)
	s_or_b32 exec_lo, exec_lo, s2
	v_mov_b32_e32 v0, 0
	ds_load_b64 v[3:4], v0 offset:320
	s_waitcnt lgkmcnt(0)
	v_mul_f64 v[0:1], v[1:2], v[3:4]
	scratch_store_b64 off, v[0:1], off offset:320
.LBB40_794:
	s_or_b32 exec_lo, exec_lo, s1
.LBB40_795:
	s_clause 0x8
	scratch_load_b128 v[0:3], off, off
	scratch_load_b128 v[4:7], off, off offset:16
	scratch_load_b128 v[8:11], off, off offset:32
	;; [unrolled: 1-line block ×8, first 2 shown]
	s_waitcnt vmcnt(8)
	s_clause 0x1
	global_store_b64 v[15:16], v[0:1], off
	global_store_b64 v[19:20], v[2:3], off
	scratch_load_b128 v[0:3], off, off offset:144
	s_waitcnt vmcnt(8)
	s_clause 0x1
	global_store_b64 v[13:14], v[4:5], off
	global_store_b64 v[17:18], v[6:7], off
	s_waitcnt vmcnt(7)
	s_clause 0x1
	global_store_b64 v[21:22], v[8:9], off
	global_store_b64 v[23:24], v[10:11], off
	;; [unrolled: 4-line block ×5, first 2 shown]
	s_clause 0xa
	scratch_load_b128 v[12:15], off, off offset:160
	scratch_load_b128 v[4:7], off, off offset:176
	;; [unrolled: 1-line block ×10, first 2 shown]
	scratch_load_b64 v[41:42], off, off offset:320
	s_waitcnt vmcnt(14)
	s_clause 0x1
	global_store_b64 v[33:34], v[107:108], off
	global_store_b64 v[35:36], v[109:110], off
	s_waitcnt vmcnt(13)
	s_clause 0x1
	global_store_b64 v[37:38], v[111:112], off
	global_store_b64 v[39:40], v[113:114], off
	s_waitcnt vmcnt(12)
	s_clause 0x1
	global_store_b64 v[43:44], v[115:116], off
	global_store_b64 v[47:48], v[117:118], off
	s_waitcnt vmcnt(11)
	s_clause 0x1
	global_store_b64 v[49:50], v[0:1], off
	global_store_b64 v[51:52], v[2:3], off
	s_waitcnt vmcnt(10)
	s_clause 0x1
	global_store_b64 v[53:54], v[12:13], off
	global_store_b64 v[55:56], v[14:15], off
	s_waitcnt vmcnt(9)
	s_clause 0x1
	global_store_b64 v[57:58], v[4:5], off
	global_store_b64 v[59:60], v[6:7], off
	s_waitcnt vmcnt(8)
	s_clause 0x1
	global_store_b64 v[61:62], v[16:17], off
	global_store_b64 v[63:64], v[18:19], off
	s_waitcnt vmcnt(7)
	s_clause 0x1
	global_store_b64 v[65:66], v[8:9], off
	global_store_b64 v[67:68], v[10:11], off
	s_waitcnt vmcnt(6)
	s_clause 0x1
	global_store_b64 v[69:70], v[20:21], off
	global_store_b64 v[71:72], v[22:23], off
	s_waitcnt vmcnt(5)
	s_clause 0x1
	global_store_b64 v[73:74], v[24:25], off
	global_store_b64 v[75:76], v[26:27], off
	s_waitcnt vmcnt(4)
	s_clause 0x1
	global_store_b64 v[77:78], v[95:96], off
	global_store_b64 v[79:80], v[97:98], off
	s_waitcnt vmcnt(3)
	s_clause 0x1
	global_store_b64 v[81:82], v[28:29], off
	global_store_b64 v[83:84], v[30:31], off
	s_waitcnt vmcnt(2)
	s_clause 0x1
	global_store_b64 v[85:86], v[99:100], off
	global_store_b64 v[87:88], v[101:102], off
	s_waitcnt vmcnt(1)
	s_clause 0x1
	global_store_b64 v[89:90], v[103:104], off
	global_store_b64 v[91:92], v[105:106], off
	s_waitcnt vmcnt(0)
	global_store_b64 v[93:94], v[41:42], off
.LBB40_796:
	s_endpgm
	.section	.rodata,"a",@progbits
	.p2align	6, 0x0
	.amdhsa_kernel _ZN9rocsolver6v33100L18trti2_kernel_smallILi41EdPdEEv13rocblas_fill_17rocblas_diagonal_T1_iil
		.amdhsa_group_segment_fixed_size 664
		.amdhsa_private_segment_fixed_size 336
		.amdhsa_kernarg_size 32
		.amdhsa_user_sgpr_count 15
		.amdhsa_user_sgpr_dispatch_ptr 0
		.amdhsa_user_sgpr_queue_ptr 0
		.amdhsa_user_sgpr_kernarg_segment_ptr 1
		.amdhsa_user_sgpr_dispatch_id 0
		.amdhsa_user_sgpr_private_segment_size 0
		.amdhsa_wavefront_size32 1
		.amdhsa_uses_dynamic_stack 0
		.amdhsa_enable_private_segment 1
		.amdhsa_system_sgpr_workgroup_id_x 1
		.amdhsa_system_sgpr_workgroup_id_y 0
		.amdhsa_system_sgpr_workgroup_id_z 0
		.amdhsa_system_sgpr_workgroup_info 0
		.amdhsa_system_vgpr_workitem_id 0
		.amdhsa_next_free_vgpr 119
		.amdhsa_next_free_sgpr 18
		.amdhsa_reserve_vcc 1
		.amdhsa_float_round_mode_32 0
		.amdhsa_float_round_mode_16_64 0
		.amdhsa_float_denorm_mode_32 3
		.amdhsa_float_denorm_mode_16_64 3
		.amdhsa_dx10_clamp 1
		.amdhsa_ieee_mode 1
		.amdhsa_fp16_overflow 0
		.amdhsa_workgroup_processor_mode 1
		.amdhsa_memory_ordered 1
		.amdhsa_forward_progress 0
		.amdhsa_shared_vgpr_count 0
		.amdhsa_exception_fp_ieee_invalid_op 0
		.amdhsa_exception_fp_denorm_src 0
		.amdhsa_exception_fp_ieee_div_zero 0
		.amdhsa_exception_fp_ieee_overflow 0
		.amdhsa_exception_fp_ieee_underflow 0
		.amdhsa_exception_fp_ieee_inexact 0
		.amdhsa_exception_int_div_zero 0
	.end_amdhsa_kernel
	.section	.text._ZN9rocsolver6v33100L18trti2_kernel_smallILi41EdPdEEv13rocblas_fill_17rocblas_diagonal_T1_iil,"axG",@progbits,_ZN9rocsolver6v33100L18trti2_kernel_smallILi41EdPdEEv13rocblas_fill_17rocblas_diagonal_T1_iil,comdat
.Lfunc_end40:
	.size	_ZN9rocsolver6v33100L18trti2_kernel_smallILi41EdPdEEv13rocblas_fill_17rocblas_diagonal_T1_iil, .Lfunc_end40-_ZN9rocsolver6v33100L18trti2_kernel_smallILi41EdPdEEv13rocblas_fill_17rocblas_diagonal_T1_iil
                                        ; -- End function
	.section	.AMDGPU.csdata,"",@progbits
; Kernel info:
; codeLenInByte = 22312
; NumSgprs: 20
; NumVgprs: 119
; ScratchSize: 336
; MemoryBound: 0
; FloatMode: 240
; IeeeMode: 1
; LDSByteSize: 664 bytes/workgroup (compile time only)
; SGPRBlocks: 2
; VGPRBlocks: 14
; NumSGPRsForWavesPerEU: 20
; NumVGPRsForWavesPerEU: 119
; Occupancy: 12
; WaveLimiterHint : 0
; COMPUTE_PGM_RSRC2:SCRATCH_EN: 1
; COMPUTE_PGM_RSRC2:USER_SGPR: 15
; COMPUTE_PGM_RSRC2:TRAP_HANDLER: 0
; COMPUTE_PGM_RSRC2:TGID_X_EN: 1
; COMPUTE_PGM_RSRC2:TGID_Y_EN: 0
; COMPUTE_PGM_RSRC2:TGID_Z_EN: 0
; COMPUTE_PGM_RSRC2:TIDIG_COMP_CNT: 0
	.section	.text._ZN9rocsolver6v33100L18trti2_kernel_smallILi42EdPdEEv13rocblas_fill_17rocblas_diagonal_T1_iil,"axG",@progbits,_ZN9rocsolver6v33100L18trti2_kernel_smallILi42EdPdEEv13rocblas_fill_17rocblas_diagonal_T1_iil,comdat
	.globl	_ZN9rocsolver6v33100L18trti2_kernel_smallILi42EdPdEEv13rocblas_fill_17rocblas_diagonal_T1_iil ; -- Begin function _ZN9rocsolver6v33100L18trti2_kernel_smallILi42EdPdEEv13rocblas_fill_17rocblas_diagonal_T1_iil
	.p2align	8
	.type	_ZN9rocsolver6v33100L18trti2_kernel_smallILi42EdPdEEv13rocblas_fill_17rocblas_diagonal_T1_iil,@function
_ZN9rocsolver6v33100L18trti2_kernel_smallILi42EdPdEEv13rocblas_fill_17rocblas_diagonal_T1_iil: ; @_ZN9rocsolver6v33100L18trti2_kernel_smallILi42EdPdEEv13rocblas_fill_17rocblas_diagonal_T1_iil
; %bb.0:
	s_mov_b32 s2, exec_lo
	v_cmpx_gt_u32_e32 42, v0
	s_cbranch_execz .LBB41_816
; %bb.1:
	s_load_b256 s[0:7], s[0:1], 0x0
	s_ashr_i32 s8, s15, 31
	v_lshlrev_b32_e32 v87, 3, v0
	s_waitcnt lgkmcnt(0)
	s_mul_i32 s7, s15, s7
	s_mul_hi_u32 s9, s15, s6
	s_mul_i32 s8, s8, s6
	s_add_i32 s7, s9, s7
	s_mul_i32 s6, s15, s6
	s_add_i32 s7, s7, s8
	s_ashr_i32 s9, s4, 31
	s_lshl_b64 s[6:7], s[6:7], 3
	s_mov_b32 s8, s4
	s_add_u32 s4, s2, s6
	s_addc_u32 s7, s3, s7
	s_lshl_b64 s[2:3], s[8:9], 3
	v_add3_u32 v5, s5, s5, v0
	s_add_u32 s2, s4, s2
	s_addc_u32 s3, s7, s3
	v_add_co_u32 v9, s4, s2, v87
	s_mov_b32 s6, s5
	s_ashr_i32 s7, s5, 31
	v_add_co_ci_u32_e64 v10, null, s3, 0, s4
	s_lshl_b64 s[6:7], s[6:7], 3
	v_add_nc_u32_e32 v17, s5, v5
	v_add_co_u32 v11, vcc_lo, v9, s6
	v_ashrrev_i32_e32 v6, 31, v5
	v_add_co_ci_u32_e32 v12, vcc_lo, s7, v10, vcc_lo
	s_delay_alu instid0(VALU_DEP_4)
	v_ashrrev_i32_e32 v18, 31, v17
	s_clause 0x1
	global_load_b64 v[1:2], v87, s[2:3]
	global_load_b64 v[3:4], v[11:12], off
	v_lshlrev_b64 v[5:6], 3, v[5:6]
	s_cmpk_lg_i32 s1, 0x84
	v_lshlrev_b64 v[7:8], 3, v[17:18]
	v_add_nc_u32_e32 v17, s5, v17
	s_delay_alu instid0(VALU_DEP_3) | instskip(NEXT) | instid1(VALU_DEP_4)
	v_add_co_u32 v13, vcc_lo, s2, v5
	v_add_co_ci_u32_e32 v14, vcc_lo, s3, v6, vcc_lo
	s_delay_alu instid0(VALU_DEP_4)
	v_add_co_u32 v15, vcc_lo, s2, v7
	v_add_co_ci_u32_e32 v16, vcc_lo, s3, v8, vcc_lo
	s_clause 0x1
	global_load_b64 v[5:6], v[13:14], off
	global_load_b64 v[7:8], v[15:16], off
	v_add_nc_u32_e32 v19, s5, v17
	v_ashrrev_i32_e32 v18, 31, v17
	s_delay_alu instid0(VALU_DEP_2) | instskip(SKIP_1) | instid1(VALU_DEP_3)
	v_add_nc_u32_e32 v29, s5, v19
	v_ashrrev_i32_e32 v20, 31, v19
	v_lshlrev_b64 v[17:18], 3, v[17:18]
	s_delay_alu instid0(VALU_DEP_3) | instskip(SKIP_1) | instid1(VALU_DEP_4)
	v_add_nc_u32_e32 v21, s5, v29
	v_ashrrev_i32_e32 v30, 31, v29
	v_lshlrev_b64 v[19:20], 3, v[19:20]
	s_delay_alu instid0(VALU_DEP_4) | instskip(NEXT) | instid1(VALU_DEP_4)
	v_add_co_u32 v17, vcc_lo, s2, v17
	v_add_nc_u32_e32 v23, s5, v21
	v_ashrrev_i32_e32 v22, 31, v21
	v_lshlrev_b64 v[29:30], 3, v[29:30]
	v_add_co_ci_u32_e32 v18, vcc_lo, s3, v18, vcc_lo
	s_delay_alu instid0(VALU_DEP_4) | instskip(SKIP_3) | instid1(VALU_DEP_4)
	v_add_nc_u32_e32 v25, s5, v23
	v_ashrrev_i32_e32 v24, 31, v23
	v_add_co_u32 v19, vcc_lo, s2, v19
	v_lshlrev_b64 v[34:35], 3, v[21:22]
	v_add_nc_u32_e32 v28, s5, v25
	v_add_co_ci_u32_e32 v20, vcc_lo, s3, v20, vcc_lo
	v_add_co_u32 v21, vcc_lo, s2, v29
	s_delay_alu instid0(VALU_DEP_3) | instskip(SKIP_3) | instid1(VALU_DEP_4)
	v_add_nc_u32_e32 v31, s5, v28
	v_lshlrev_b64 v[36:37], 3, v[23:24]
	v_ashrrev_i32_e32 v26, 31, v25
	v_add_co_ci_u32_e32 v22, vcc_lo, s3, v30, vcc_lo
	v_add_nc_u32_e32 v27, s5, v31
	v_add_co_u32 v23, vcc_lo, s2, v34
	v_ashrrev_i32_e32 v29, 31, v28
	v_add_co_ci_u32_e32 v24, vcc_lo, s3, v35, vcc_lo
	s_delay_alu instid0(VALU_DEP_4) | instskip(SKIP_3) | instid1(VALU_DEP_4)
	v_add_nc_u32_e32 v33, s5, v27
	v_lshlrev_b64 v[34:35], 3, v[25:26]
	v_add_co_u32 v25, vcc_lo, s2, v36
	v_ashrrev_i32_e32 v32, 31, v31
	v_add_nc_u32_e32 v39, s5, v33
	s_clause 0x1
	global_load_b64 v[56:57], v[17:18], off
	global_load_b64 v[58:59], v[19:20], off
	v_add_co_ci_u32_e32 v26, vcc_lo, s3, v37, vcc_lo
	v_add_nc_u32_e32 v41, s5, v39
	v_lshlrev_b64 v[36:37], 3, v[28:29]
	v_ashrrev_i32_e32 v28, 31, v27
	v_add_co_u32 v29, vcc_lo, s2, v34
	s_delay_alu instid0(VALU_DEP_4) | instskip(SKIP_3) | instid1(VALU_DEP_4)
	v_add_nc_u32_e32 v43, s5, v41
	v_lshlrev_b64 v[31:32], 3, v[31:32]
	v_add_co_ci_u32_e32 v30, vcc_lo, s3, v35, vcc_lo
	v_add_co_u32 v35, vcc_lo, s2, v36
	v_add_nc_u32_e32 v45, s5, v43
	v_lshlrev_b64 v[27:28], 3, v[27:28]
	v_ashrrev_i32_e32 v34, 31, v33
	v_add_co_ci_u32_e32 v36, vcc_lo, s3, v37, vcc_lo
	s_delay_alu instid0(VALU_DEP_4) | instskip(SKIP_3) | instid1(VALU_DEP_4)
	v_add_nc_u32_e32 v47, s5, v45
	v_add_co_u32 v37, vcc_lo, s2, v31
	v_ashrrev_i32_e32 v40, 31, v39
	v_add_co_ci_u32_e32 v38, vcc_lo, s3, v32, vcc_lo
	v_add_nc_u32_e32 v49, s5, v47
	v_lshlrev_b64 v[33:34], 3, v[33:34]
	v_add_co_u32 v31, vcc_lo, s2, v27
	v_ashrrev_i32_e32 v42, 31, v41
	s_delay_alu instid0(VALU_DEP_4)
	v_add_nc_u32_e32 v51, s5, v49
	v_add_co_ci_u32_e32 v32, vcc_lo, s3, v28, vcc_lo
	s_clause 0x3
	global_load_b64 v[60:61], v[21:22], off
	global_load_b64 v[62:63], v[23:24], off
	global_load_b64 v[64:65], v[25:26], off
	global_load_b64 v[66:67], v[29:30], off
	v_add_nc_u32_e32 v53, s5, v51
	v_ashrrev_i32_e32 v44, 31, v43
	v_ashrrev_i32_e32 v46, 31, v45
	v_ashrrev_i32_e32 v48, 31, v47
	v_ashrrev_i32_e32 v50, 31, v49
	v_add_nc_u32_e32 v55, s5, v53
	v_ashrrev_i32_e32 v52, 31, v51
	v_ashrrev_i32_e32 v54, 31, v53
	s_delay_alu instid0(VALU_DEP_3) | instskip(NEXT) | instid1(VALU_DEP_1)
	v_add_nc_u32_e32 v84, s5, v55
	v_add_nc_u32_e32 v88, s5, v84
	v_ashrrev_i32_e32 v85, 31, v84
	s_delay_alu instid0(VALU_DEP_2) | instskip(SKIP_1) | instid1(VALU_DEP_2)
	v_add_nc_u32_e32 v100, s5, v88
	v_ashrrev_i32_e32 v89, 31, v88
	v_add_nc_u32_e32 v108, s5, v100
	v_ashrrev_i32_e32 v101, 31, v100
	s_delay_alu instid0(VALU_DEP_2) | instskip(SKIP_1) | instid1(VALU_DEP_2)
	v_add_nc_u32_e32 v110, s5, v108
	v_ashrrev_i32_e32 v109, 31, v108
	;; [unrolled: 5-line block ×9, first 2 shown]
	v_ashrrev_i32_e32 v69, 31, v68
	s_delay_alu instid0(VALU_DEP_1) | instskip(NEXT) | instid1(VALU_DEP_1)
	v_lshlrev_b64 v[68:69], 3, v[68:69]
	v_add_co_u32 v27, vcc_lo, s2, v68
	s_delay_alu instid0(VALU_DEP_2)
	v_add_co_ci_u32_e32 v28, vcc_lo, s3, v69, vcc_lo
	v_add_co_u32 v33, vcc_lo, s2, v33
	v_add_co_ci_u32_e32 v34, vcc_lo, s3, v34, vcc_lo
	global_load_b64 v[90:91], v[27:28], off
	s_waitcnt vmcnt(9)
	scratch_store_b128 off, v[1:4], off
	v_lshlrev_b64 v[1:2], 3, v[39:40]
	v_lshlrev_b64 v[3:4], 3, v[41:42]
	s_clause 0x3
	global_load_b64 v[68:69], v[35:36], off
	global_load_b64 v[70:71], v[37:38], off
	;; [unrolled: 1-line block ×4, first 2 shown]
	v_lshlrev_b64 v[39:40], 3, v[47:48]
	v_lshlrev_b64 v[41:42], 3, v[49:50]
	v_lshlrev_b64 v[49:50], 3, v[84:85]
	v_add_co_u32 v1, vcc_lo, s2, v1
	v_add_co_ci_u32_e32 v2, vcc_lo, s3, v2, vcc_lo
	v_add_co_u32 v3, vcc_lo, s2, v3
	v_add_co_ci_u32_e32 v4, vcc_lo, s3, v4, vcc_lo
	v_lshlrev_b64 v[85:86], 3, v[136:137]
	s_waitcnt vmcnt(11)
	scratch_store_b128 off, v[5:8], off offset:16
	s_clause 0x1
	global_load_b64 v[76:77], v[1:2], off
	global_load_b64 v[78:79], v[3:4], off
	v_lshlrev_b64 v[5:6], 3, v[43:44]
	v_lshlrev_b64 v[7:8], 3, v[45:46]
	;; [unrolled: 1-line block ×6, first 2 shown]
	v_add_co_u32 v5, vcc_lo, s2, v5
	v_add_co_ci_u32_e32 v6, vcc_lo, s3, v6, vcc_lo
	v_add_co_u32 v7, vcc_lo, s2, v7
	v_add_co_ci_u32_e32 v8, vcc_lo, s3, v8, vcc_lo
	;; [unrolled: 2-line block ×6, first 2 shown]
	s_clause 0x1
	global_load_b64 v[80:81], v[5:6], off
	global_load_b64 v[82:83], v[7:8], off
	s_waitcnt vmcnt(13)
	scratch_store_b128 off, v[56:59], off offset:32
	v_ashrrev_i32_e32 v56, 31, v55
	v_lshlrev_b64 v[57:58], 3, v[110:111]
	s_waitcnt vmcnt(11)
	scratch_store_b128 off, v[60:63], off offset:48
	s_waitcnt vmcnt(9)
	scratch_store_b128 off, v[64:67], off offset:64
	v_lshlrev_b64 v[47:48], 3, v[55:56]
	v_lshlrev_b64 v[55:56], 3, v[108:109]
	s_clause 0x3
	global_load_b64 v[92:93], v[39:40], off
	global_load_b64 v[94:95], v[41:42], off
	;; [unrolled: 1-line block ×4, first 2 shown]
	v_lshlrev_b64 v[59:60], 3, v[112:113]
	v_lshlrev_b64 v[61:62], 3, v[114:115]
	;; [unrolled: 1-line block ×3, first 2 shown]
	v_add_co_u32 v47, vcc_lo, s2, v47
	v_add_co_ci_u32_e32 v48, vcc_lo, s3, v48, vcc_lo
	v_add_co_u32 v49, vcc_lo, s2, v49
	v_add_co_ci_u32_e32 v50, vcc_lo, s3, v50, vcc_lo
	;; [unrolled: 2-line block ×7, first 2 shown]
	v_add_co_u32 v61, vcc_lo, s2, v61
	v_lshlrev_b64 v[65:66], 3, v[118:119]
	v_add_co_ci_u32_e32 v62, vcc_lo, s3, v62, vcc_lo
	v_add_co_u32 v63, vcc_lo, s2, v63
	v_add_co_ci_u32_e32 v64, vcc_lo, s3, v64, vcc_lo
	s_delay_alu instid0(VALU_DEP_4)
	v_add_co_u32 v65, vcc_lo, s2, v65
	v_add_co_ci_u32_e32 v66, vcc_lo, s3, v66, vcc_lo
	s_waitcnt vmcnt(10)
	scratch_store_b128 off, v[68:71], off offset:80
	s_waitcnt vmcnt(8)
	scratch_store_b128 off, v[72:75], off offset:96
	s_clause 0x3
	global_load_b64 v[100:101], v[47:48], off
	global_load_b64 v[102:103], v[49:50], off
	;; [unrolled: 1-line block ×4, first 2 shown]
	v_lshlrev_b64 v[67:68], 3, v[120:121]
	v_lshlrev_b64 v[69:70], 3, v[122:123]
	;; [unrolled: 1-line block ×4, first 2 shown]
	s_delay_alu instid0(VALU_DEP_4)
	v_add_co_u32 v67, vcc_lo, s2, v67
	v_add_co_ci_u32_e32 v68, vcc_lo, s3, v68, vcc_lo
	v_add_co_u32 v69, vcc_lo, s2, v69
	v_add_co_ci_u32_e32 v70, vcc_lo, s3, v70, vcc_lo
	s_waitcnt vmcnt(10)
	scratch_store_b128 off, v[76:79], off offset:112
	s_clause 0x1
	global_load_b64 v[108:109], v[55:56], off
	global_load_b64 v[110:111], v[57:58], off
	v_add_co_u32 v71, vcc_lo, s2, v71
	v_lshlrev_b64 v[75:76], 3, v[128:129]
	v_add_co_ci_u32_e32 v72, vcc_lo, s3, v72, vcc_lo
	v_add_co_u32 v73, vcc_lo, s2, v73
	v_lshlrev_b64 v[77:78], 3, v[130:131]
	v_add_co_ci_u32_e32 v74, vcc_lo, s3, v74, vcc_lo
	v_add_co_u32 v75, vcc_lo, s2, v75
	v_add_co_ci_u32_e32 v76, vcc_lo, s3, v76, vcc_lo
	s_delay_alu instid0(VALU_DEP_4)
	v_add_co_u32 v79, vcc_lo, s2, v77
	global_load_b64 v[112:113], v[59:60], off
	s_waitcnt vmcnt(11)
	scratch_store_b128 off, v[80:83], off offset:128
	v_lshlrev_b64 v[81:82], 3, v[132:133]
	v_add_co_ci_u32_e32 v80, vcc_lo, s3, v78, vcc_lo
	v_lshlrev_b64 v[77:78], 3, v[134:135]
	s_waitcnt vmcnt(9)
	scratch_store_b128 off, v[92:95], off offset:144
	s_waitcnt vmcnt(7)
	scratch_store_b128 off, v[96:99], off offset:160
	v_add_co_u32 v81, vcc_lo, s2, v81
	v_add_co_ci_u32_e32 v82, vcc_lo, s3, v82, vcc_lo
	v_add_co_u32 v83, vcc_lo, s2, v77
	v_add_co_ci_u32_e32 v84, vcc_lo, s3, v78, vcc_lo
	v_add_co_u32 v77, vcc_lo, s2, v85
	s_clause 0x3
	global_load_b64 v[114:115], v[61:62], off
	global_load_b64 v[92:93], v[63:64], off
	;; [unrolled: 1-line block ×4, first 2 shown]
	v_add_co_ci_u32_e32 v78, vcc_lo, s3, v86, vcc_lo
	v_mov_b32_e32 v85, 0
	v_mov_b32_e32 v86, 0xbff00000
	s_cselect_b32 s2, -1, 0
	s_cmpk_eq_i32 s1, 0x84
	s_waitcnt vmcnt(9)
	scratch_store_b128 off, v[100:103], off offset:176
	s_waitcnt vmcnt(7)
	scratch_store_b128 off, v[104:107], off offset:192
	s_clause 0x3
	global_load_b64 v[98:99], v[69:70], off
	global_load_b64 v[100:101], v[71:72], off
	;; [unrolled: 1-line block ×4, first 2 shown]
	s_waitcnt vmcnt(9)
	scratch_store_b128 off, v[108:111], off offset:208
	s_clause 0x3
	global_load_b64 v[106:107], v[79:80], off
	global_load_b64 v[108:109], v[81:82], off
	;; [unrolled: 1-line block ×4, first 2 shown]
	s_waitcnt vmcnt(11)
	scratch_store_b128 off, v[112:115], off offset:224
	s_waitcnt vmcnt(9)
	scratch_store_b128 off, v[92:95], off offset:240
	;; [unrolled: 2-line block ×7, first 2 shown]
	s_cbranch_scc1 .LBB41_3
; %bb.2:
	scratch_load_b64 v[85:86], v87, off
	s_waitcnt vmcnt(0)
	v_div_scale_f64 v[88:89], null, v[85:86], v[85:86], 1.0
	v_div_scale_f64 v[94:95], vcc_lo, 1.0, v[85:86], 1.0
	s_delay_alu instid0(VALU_DEP_2) | instskip(SKIP_2) | instid1(VALU_DEP_1)
	v_rcp_f64_e32 v[90:91], v[88:89]
	s_waitcnt_depctr 0xfff
	v_fma_f64 v[92:93], -v[88:89], v[90:91], 1.0
	v_fma_f64 v[90:91], v[90:91], v[92:93], v[90:91]
	s_delay_alu instid0(VALU_DEP_1) | instskip(NEXT) | instid1(VALU_DEP_1)
	v_fma_f64 v[92:93], -v[88:89], v[90:91], 1.0
	v_fma_f64 v[90:91], v[90:91], v[92:93], v[90:91]
	s_delay_alu instid0(VALU_DEP_1) | instskip(NEXT) | instid1(VALU_DEP_1)
	v_mul_f64 v[92:93], v[94:95], v[90:91]
	v_fma_f64 v[88:89], -v[88:89], v[92:93], v[94:95]
	s_delay_alu instid0(VALU_DEP_1) | instskip(NEXT) | instid1(VALU_DEP_1)
	v_div_fmas_f64 v[88:89], v[88:89], v[90:91], v[92:93]
	v_div_fixup_f64 v[85:86], v[88:89], v[85:86], 1.0
	scratch_store_b64 v87, v[85:86], off
	v_xor_b32_e32 v86, 0x80000000, v86
.LBB41_3:
	v_add_nc_u32_e32 v88, 0x150, v87
	v_add_nc_u32_e32 v89, 0, v87
	s_cmpk_eq_i32 s0, 0x79
	s_mov_b32 s0, -1
	ds_store_b64 v87, v[85:86]
	s_cbranch_scc1 .LBB41_409
; %bb.4:
	scratch_load_b64 v[85:86], off, off offset:320
	v_cmp_eq_u32_e64 s0, 41, v0
	s_movk_i32 s1, 0x50
	s_movk_i32 s3, 0x60
	s_movk_i32 s4, 0x70
	s_movk_i32 s5, 0x80
	s_movk_i32 s6, 0x90
	s_movk_i32 s7, 0xa0
	s_movk_i32 s8, 0xb0
	s_movk_i32 s9, 0xc0
	s_movk_i32 s10, 0xd0
	s_movk_i32 s11, 0xe0
	s_movk_i32 s12, 0xf0
	s_movk_i32 s13, 0x100
	s_movk_i32 s14, 0x110
	s_movk_i32 s15, 0x120
	s_movk_i32 s16, 0x130
	s_waitcnt vmcnt(0)
	ds_store_b64 v88, v[85:86]
	s_waitcnt lgkmcnt(0)
	s_waitcnt_vscnt null, 0x0
	s_barrier
	buffer_gl0_inv
	s_and_saveexec_b32 s17, s0
	s_cbranch_execz .LBB41_10
; %bb.5:
	s_and_b32 vcc_lo, exec_lo, s2
	s_cbranch_vccz .LBB41_7
; %bb.6:
	scratch_load_b64 v[85:86], v89, off
	ds_load_b64 v[90:91], v88
	s_waitcnt vmcnt(0) lgkmcnt(0)
	v_mul_f64 v[85:86], v[85:86], v[90:91]
	s_cbranch_execz .LBB41_8
	s_branch .LBB41_9
.LBB41_7:
                                        ; implicit-def: $vgpr85_vgpr86
.LBB41_8:
	ds_load_b64 v[85:86], v88
.LBB41_9:
	v_mov_b32_e32 v90, 0
	ds_load_b64 v[90:91], v90 offset:320
	s_waitcnt lgkmcnt(0)
	v_mul_f64 v[85:86], v[85:86], v[90:91]
	scratch_store_b64 off, v[85:86], off offset:320
.LBB41_10:
	s_or_b32 exec_lo, exec_lo, s17
	scratch_load_b64 v[85:86], off, off offset:312
	v_add_nc_u32_e64 v90, 0, 16
	v_add_nc_u32_e64 v91, 0, 32
	;; [unrolled: 1-line block ×19, first 2 shown]
	v_cmp_lt_u32_e64 s1, 39, v0
	s_waitcnt vmcnt(0)
	ds_store_b64 v88, v[85:86]
	s_waitcnt lgkmcnt(0)
	s_waitcnt_vscnt null, 0x0
	s_barrier
	buffer_gl0_inv
	s_and_saveexec_b32 s3, s1
	s_cbranch_execz .LBB41_18
; %bb.11:
	s_and_not1_b32 vcc_lo, exec_lo, s2
	s_cbranch_vccnz .LBB41_13
; %bb.12:
	scratch_load_b64 v[85:86], v89, off
	ds_load_b64 v[109:110], v88
	s_waitcnt vmcnt(0) lgkmcnt(0)
	v_mul_f64 v[85:86], v[85:86], v[109:110]
	s_cbranch_execz .LBB41_14
	s_branch .LBB41_15
.LBB41_13:
                                        ; implicit-def: $vgpr85_vgpr86
.LBB41_14:
	ds_load_b64 v[85:86], v88
.LBB41_15:
	s_and_saveexec_b32 s4, s0
	s_cbranch_execz .LBB41_17
; %bb.16:
	scratch_load_b64 v[109:110], off, off offset:320
	v_mov_b32_e32 v111, 0
	ds_load_b64 v[111:112], v111 offset:656
	s_waitcnt vmcnt(0) lgkmcnt(0)
	v_fma_f64 v[85:86], v[109:110], v[111:112], v[85:86]
.LBB41_17:
	s_or_b32 exec_lo, exec_lo, s4
	v_mov_b32_e32 v109, 0
	ds_load_b64 v[109:110], v109 offset:312
	s_waitcnt lgkmcnt(0)
	v_mul_f64 v[85:86], v[85:86], v[109:110]
	scratch_store_b64 off, v[85:86], off offset:312
.LBB41_18:
	s_or_b32 exec_lo, exec_lo, s3
	scratch_load_b64 v[85:86], off, off offset:304
	v_cmp_lt_u32_e64 s0, 38, v0
	s_waitcnt vmcnt(0)
	ds_store_b64 v88, v[85:86]
	s_waitcnt lgkmcnt(0)
	s_waitcnt_vscnt null, 0x0
	s_barrier
	buffer_gl0_inv
	s_and_saveexec_b32 s3, s0
	s_cbranch_execz .LBB41_28
; %bb.19:
	s_and_not1_b32 vcc_lo, exec_lo, s2
	s_cbranch_vccnz .LBB41_21
; %bb.20:
	scratch_load_b64 v[85:86], v89, off
	ds_load_b64 v[109:110], v88
	s_waitcnt vmcnt(0) lgkmcnt(0)
	v_mul_f64 v[85:86], v[85:86], v[109:110]
	s_cbranch_execz .LBB41_22
	s_branch .LBB41_23
.LBB41_21:
                                        ; implicit-def: $vgpr85_vgpr86
.LBB41_22:
	ds_load_b64 v[85:86], v88
.LBB41_23:
	s_and_saveexec_b32 s4, s1
	s_cbranch_execz .LBB41_27
; %bb.24:
	v_mov_b32_e32 v109, 0
	v_subrev_nc_u32_e32 v110, 39, v0
	s_movk_i32 s5, 0x288
	s_mov_b32 s1, 0
	s_delay_alu instid0(VALU_DEP_2)
	v_add_nc_u32_e32 v109, 0x138, v109
.LBB41_25:                              ; =>This Inner Loop Header: Depth=1
	scratch_load_b64 v[111:112], v109, off
	v_dual_mov_b32 v113, s5 :: v_dual_add_nc_u32 v110, -1, v110
	v_add_nc_u32_e32 v109, 8, v109
	s_add_i32 s5, s5, 8
	ds_load_b64 v[113:114], v113
	v_cmp_eq_u32_e32 vcc_lo, 0, v110
	s_or_b32 s1, vcc_lo, s1
	s_waitcnt vmcnt(0) lgkmcnt(0)
	v_fma_f64 v[85:86], v[111:112], v[113:114], v[85:86]
	s_and_not1_b32 exec_lo, exec_lo, s1
	s_cbranch_execnz .LBB41_25
; %bb.26:
	s_or_b32 exec_lo, exec_lo, s1
.LBB41_27:
	s_delay_alu instid0(SALU_CYCLE_1)
	s_or_b32 exec_lo, exec_lo, s4
	v_mov_b32_e32 v109, 0
	ds_load_b64 v[109:110], v109 offset:304
	s_waitcnt lgkmcnt(0)
	v_mul_f64 v[85:86], v[85:86], v[109:110]
	scratch_store_b64 off, v[85:86], off offset:304
.LBB41_28:
	s_or_b32 exec_lo, exec_lo, s3
	scratch_load_b64 v[85:86], off, off offset:296
	v_cmp_lt_u32_e64 s1, 37, v0
	s_waitcnt vmcnt(0)
	ds_store_b64 v88, v[85:86]
	s_waitcnt lgkmcnt(0)
	s_waitcnt_vscnt null, 0x0
	s_barrier
	buffer_gl0_inv
	s_and_saveexec_b32 s3, s1
	s_cbranch_execz .LBB41_38
; %bb.29:
	s_and_not1_b32 vcc_lo, exec_lo, s2
	s_cbranch_vccnz .LBB41_31
; %bb.30:
	scratch_load_b64 v[85:86], v89, off
	ds_load_b64 v[109:110], v88
	s_waitcnt vmcnt(0) lgkmcnt(0)
	v_mul_f64 v[85:86], v[85:86], v[109:110]
	s_cbranch_execz .LBB41_32
	s_branch .LBB41_33
.LBB41_31:
                                        ; implicit-def: $vgpr85_vgpr86
.LBB41_32:
	ds_load_b64 v[85:86], v88
.LBB41_33:
	s_and_saveexec_b32 s4, s0
	s_cbranch_execz .LBB41_37
; %bb.34:
	v_subrev_nc_u32_e32 v109, 38, v0
	s_movk_i32 s5, 0x280
	s_mov_b32 s0, 0
.LBB41_35:                              ; =>This Inner Loop Header: Depth=1
	scratch_load_b64 v[110:111], v108, off
	v_dual_mov_b32 v112, s5 :: v_dual_add_nc_u32 v109, -1, v109
	v_add_nc_u32_e32 v108, 8, v108
	s_add_i32 s5, s5, 8
	ds_load_b64 v[112:113], v112
	v_cmp_eq_u32_e32 vcc_lo, 0, v109
	s_or_b32 s0, vcc_lo, s0
	s_waitcnt vmcnt(0) lgkmcnt(0)
	v_fma_f64 v[85:86], v[110:111], v[112:113], v[85:86]
	s_and_not1_b32 exec_lo, exec_lo, s0
	s_cbranch_execnz .LBB41_35
; %bb.36:
	s_or_b32 exec_lo, exec_lo, s0
.LBB41_37:
	s_delay_alu instid0(SALU_CYCLE_1)
	s_or_b32 exec_lo, exec_lo, s4
	v_mov_b32_e32 v108, 0
	ds_load_b64 v[108:109], v108 offset:296
	s_waitcnt lgkmcnt(0)
	v_mul_f64 v[85:86], v[85:86], v[108:109]
	scratch_store_b64 off, v[85:86], off offset:296
.LBB41_38:
	s_or_b32 exec_lo, exec_lo, s3
	scratch_load_b64 v[85:86], off, off offset:288
	v_cmp_lt_u32_e64 s0, 36, v0
	s_waitcnt vmcnt(0)
	ds_store_b64 v88, v[85:86]
	s_waitcnt lgkmcnt(0)
	s_waitcnt_vscnt null, 0x0
	s_barrier
	buffer_gl0_inv
	s_and_saveexec_b32 s3, s0
	s_cbranch_execz .LBB41_48
; %bb.39:
	s_and_not1_b32 vcc_lo, exec_lo, s2
	s_cbranch_vccnz .LBB41_41
; %bb.40:
	scratch_load_b64 v[85:86], v89, off
	ds_load_b64 v[108:109], v88
	s_waitcnt vmcnt(0) lgkmcnt(0)
	v_mul_f64 v[85:86], v[85:86], v[108:109]
	s_cbranch_execz .LBB41_42
	s_branch .LBB41_43
.LBB41_41:
                                        ; implicit-def: $vgpr85_vgpr86
.LBB41_42:
	ds_load_b64 v[85:86], v88
.LBB41_43:
	s_and_saveexec_b32 s4, s1
	s_cbranch_execz .LBB41_47
; %bb.44:
	v_mov_b32_e32 v108, 0
	v_subrev_nc_u32_e32 v109, 37, v0
	s_movk_i32 s5, 0x278
	s_mov_b32 s1, 0
	s_delay_alu instid0(VALU_DEP_2)
	v_add_nc_u32_e32 v108, 0x128, v108
.LBB41_45:                              ; =>This Inner Loop Header: Depth=1
	scratch_load_b64 v[110:111], v108, off
	v_dual_mov_b32 v112, s5 :: v_dual_add_nc_u32 v109, -1, v109
	v_add_nc_u32_e32 v108, 8, v108
	s_add_i32 s5, s5, 8
	ds_load_b64 v[112:113], v112
	v_cmp_eq_u32_e32 vcc_lo, 0, v109
	s_or_b32 s1, vcc_lo, s1
	s_waitcnt vmcnt(0) lgkmcnt(0)
	v_fma_f64 v[85:86], v[110:111], v[112:113], v[85:86]
	s_and_not1_b32 exec_lo, exec_lo, s1
	s_cbranch_execnz .LBB41_45
; %bb.46:
	s_or_b32 exec_lo, exec_lo, s1
.LBB41_47:
	s_delay_alu instid0(SALU_CYCLE_1)
	s_or_b32 exec_lo, exec_lo, s4
	v_mov_b32_e32 v108, 0
	ds_load_b64 v[108:109], v108 offset:288
	s_waitcnt lgkmcnt(0)
	v_mul_f64 v[85:86], v[85:86], v[108:109]
	scratch_store_b64 off, v[85:86], off offset:288
.LBB41_48:
	s_or_b32 exec_lo, exec_lo, s3
	scratch_load_b64 v[85:86], off, off offset:280
	v_cmp_lt_u32_e64 s1, 35, v0
	s_waitcnt vmcnt(0)
	ds_store_b64 v88, v[85:86]
	s_waitcnt lgkmcnt(0)
	s_waitcnt_vscnt null, 0x0
	s_barrier
	buffer_gl0_inv
	s_and_saveexec_b32 s3, s1
	s_cbranch_execz .LBB41_58
; %bb.49:
	s_and_not1_b32 vcc_lo, exec_lo, s2
	s_cbranch_vccnz .LBB41_51
; %bb.50:
	scratch_load_b64 v[85:86], v89, off
	ds_load_b64 v[108:109], v88
	s_waitcnt vmcnt(0) lgkmcnt(0)
	v_mul_f64 v[85:86], v[85:86], v[108:109]
	s_cbranch_execz .LBB41_52
	s_branch .LBB41_53
.LBB41_51:
                                        ; implicit-def: $vgpr85_vgpr86
.LBB41_52:
	ds_load_b64 v[85:86], v88
.LBB41_53:
	s_and_saveexec_b32 s4, s0
	s_cbranch_execz .LBB41_57
; %bb.54:
	v_subrev_nc_u32_e32 v108, 36, v0
	s_movk_i32 s5, 0x270
	s_mov_b32 s0, 0
.LBB41_55:                              ; =>This Inner Loop Header: Depth=1
	scratch_load_b64 v[109:110], v107, off
	v_dual_mov_b32 v111, s5 :: v_dual_add_nc_u32 v108, -1, v108
	v_add_nc_u32_e32 v107, 8, v107
	s_add_i32 s5, s5, 8
	ds_load_b64 v[111:112], v111
	v_cmp_eq_u32_e32 vcc_lo, 0, v108
	s_or_b32 s0, vcc_lo, s0
	s_waitcnt vmcnt(0) lgkmcnt(0)
	v_fma_f64 v[85:86], v[109:110], v[111:112], v[85:86]
	s_and_not1_b32 exec_lo, exec_lo, s0
	s_cbranch_execnz .LBB41_55
; %bb.56:
	s_or_b32 exec_lo, exec_lo, s0
.LBB41_57:
	s_delay_alu instid0(SALU_CYCLE_1)
	s_or_b32 exec_lo, exec_lo, s4
	v_mov_b32_e32 v107, 0
	ds_load_b64 v[107:108], v107 offset:280
	s_waitcnt lgkmcnt(0)
	v_mul_f64 v[85:86], v[85:86], v[107:108]
	scratch_store_b64 off, v[85:86], off offset:280
.LBB41_58:
	s_or_b32 exec_lo, exec_lo, s3
	scratch_load_b64 v[85:86], off, off offset:272
	v_cmp_lt_u32_e64 s0, 34, v0
	s_waitcnt vmcnt(0)
	ds_store_b64 v88, v[85:86]
	s_waitcnt lgkmcnt(0)
	s_waitcnt_vscnt null, 0x0
	s_barrier
	buffer_gl0_inv
	s_and_saveexec_b32 s3, s0
	s_cbranch_execz .LBB41_68
; %bb.59:
	s_and_not1_b32 vcc_lo, exec_lo, s2
	s_cbranch_vccnz .LBB41_61
; %bb.60:
	scratch_load_b64 v[85:86], v89, off
	ds_load_b64 v[107:108], v88
	s_waitcnt vmcnt(0) lgkmcnt(0)
	v_mul_f64 v[85:86], v[85:86], v[107:108]
	s_cbranch_execz .LBB41_62
	s_branch .LBB41_63
.LBB41_61:
                                        ; implicit-def: $vgpr85_vgpr86
.LBB41_62:
	ds_load_b64 v[85:86], v88
.LBB41_63:
	s_and_saveexec_b32 s4, s1
	s_cbranch_execz .LBB41_67
; %bb.64:
	v_mov_b32_e32 v107, 0
	v_subrev_nc_u32_e32 v108, 35, v0
	s_movk_i32 s5, 0x268
	s_mov_b32 s1, 0
	s_delay_alu instid0(VALU_DEP_2)
	v_add_nc_u32_e32 v107, 0x118, v107
.LBB41_65:                              ; =>This Inner Loop Header: Depth=1
	scratch_load_b64 v[109:110], v107, off
	v_dual_mov_b32 v111, s5 :: v_dual_add_nc_u32 v108, -1, v108
	v_add_nc_u32_e32 v107, 8, v107
	s_add_i32 s5, s5, 8
	ds_load_b64 v[111:112], v111
	v_cmp_eq_u32_e32 vcc_lo, 0, v108
	s_or_b32 s1, vcc_lo, s1
	s_waitcnt vmcnt(0) lgkmcnt(0)
	v_fma_f64 v[85:86], v[109:110], v[111:112], v[85:86]
	s_and_not1_b32 exec_lo, exec_lo, s1
	s_cbranch_execnz .LBB41_65
; %bb.66:
	s_or_b32 exec_lo, exec_lo, s1
.LBB41_67:
	s_delay_alu instid0(SALU_CYCLE_1)
	s_or_b32 exec_lo, exec_lo, s4
	v_mov_b32_e32 v107, 0
	ds_load_b64 v[107:108], v107 offset:272
	s_waitcnt lgkmcnt(0)
	v_mul_f64 v[85:86], v[85:86], v[107:108]
	scratch_store_b64 off, v[85:86], off offset:272
.LBB41_68:
	s_or_b32 exec_lo, exec_lo, s3
	scratch_load_b64 v[85:86], off, off offset:264
	v_cmp_lt_u32_e64 s1, 33, v0
	s_waitcnt vmcnt(0)
	ds_store_b64 v88, v[85:86]
	s_waitcnt lgkmcnt(0)
	s_waitcnt_vscnt null, 0x0
	s_barrier
	buffer_gl0_inv
	s_and_saveexec_b32 s3, s1
	s_cbranch_execz .LBB41_78
; %bb.69:
	s_and_not1_b32 vcc_lo, exec_lo, s2
	s_cbranch_vccnz .LBB41_71
; %bb.70:
	scratch_load_b64 v[85:86], v89, off
	ds_load_b64 v[107:108], v88
	s_waitcnt vmcnt(0) lgkmcnt(0)
	v_mul_f64 v[85:86], v[85:86], v[107:108]
	s_cbranch_execz .LBB41_72
	s_branch .LBB41_73
.LBB41_71:
                                        ; implicit-def: $vgpr85_vgpr86
.LBB41_72:
	ds_load_b64 v[85:86], v88
.LBB41_73:
	s_and_saveexec_b32 s4, s0
	s_cbranch_execz .LBB41_77
; %bb.74:
	v_subrev_nc_u32_e32 v107, 34, v0
	s_movk_i32 s5, 0x260
	s_mov_b32 s0, 0
.LBB41_75:                              ; =>This Inner Loop Header: Depth=1
	scratch_load_b64 v[108:109], v106, off
	v_dual_mov_b32 v110, s5 :: v_dual_add_nc_u32 v107, -1, v107
	v_add_nc_u32_e32 v106, 8, v106
	s_add_i32 s5, s5, 8
	ds_load_b64 v[110:111], v110
	v_cmp_eq_u32_e32 vcc_lo, 0, v107
	s_or_b32 s0, vcc_lo, s0
	s_waitcnt vmcnt(0) lgkmcnt(0)
	v_fma_f64 v[85:86], v[108:109], v[110:111], v[85:86]
	s_and_not1_b32 exec_lo, exec_lo, s0
	s_cbranch_execnz .LBB41_75
; %bb.76:
	s_or_b32 exec_lo, exec_lo, s0
.LBB41_77:
	s_delay_alu instid0(SALU_CYCLE_1)
	s_or_b32 exec_lo, exec_lo, s4
	v_mov_b32_e32 v106, 0
	ds_load_b64 v[106:107], v106 offset:264
	s_waitcnt lgkmcnt(0)
	v_mul_f64 v[85:86], v[85:86], v[106:107]
	scratch_store_b64 off, v[85:86], off offset:264
.LBB41_78:
	s_or_b32 exec_lo, exec_lo, s3
	scratch_load_b64 v[85:86], off, off offset:256
	v_cmp_lt_u32_e64 s0, 32, v0
	s_waitcnt vmcnt(0)
	ds_store_b64 v88, v[85:86]
	s_waitcnt lgkmcnt(0)
	s_waitcnt_vscnt null, 0x0
	s_barrier
	buffer_gl0_inv
	s_and_saveexec_b32 s3, s0
	s_cbranch_execz .LBB41_88
; %bb.79:
	s_and_not1_b32 vcc_lo, exec_lo, s2
	s_cbranch_vccnz .LBB41_81
; %bb.80:
	scratch_load_b64 v[85:86], v89, off
	ds_load_b64 v[106:107], v88
	s_waitcnt vmcnt(0) lgkmcnt(0)
	v_mul_f64 v[85:86], v[85:86], v[106:107]
	s_cbranch_execz .LBB41_82
	s_branch .LBB41_83
.LBB41_81:
                                        ; implicit-def: $vgpr85_vgpr86
.LBB41_82:
	ds_load_b64 v[85:86], v88
.LBB41_83:
	s_and_saveexec_b32 s4, s1
	s_cbranch_execz .LBB41_87
; %bb.84:
	v_mov_b32_e32 v106, 0
	v_subrev_nc_u32_e32 v107, 33, v0
	s_movk_i32 s5, 0x258
	s_mov_b32 s1, 0
	s_delay_alu instid0(VALU_DEP_2)
	v_add_nc_u32_e32 v106, 0x108, v106
.LBB41_85:                              ; =>This Inner Loop Header: Depth=1
	scratch_load_b64 v[108:109], v106, off
	v_dual_mov_b32 v110, s5 :: v_dual_add_nc_u32 v107, -1, v107
	v_add_nc_u32_e32 v106, 8, v106
	s_add_i32 s5, s5, 8
	ds_load_b64 v[110:111], v110
	v_cmp_eq_u32_e32 vcc_lo, 0, v107
	s_or_b32 s1, vcc_lo, s1
	s_waitcnt vmcnt(0) lgkmcnt(0)
	v_fma_f64 v[85:86], v[108:109], v[110:111], v[85:86]
	s_and_not1_b32 exec_lo, exec_lo, s1
	s_cbranch_execnz .LBB41_85
; %bb.86:
	s_or_b32 exec_lo, exec_lo, s1
.LBB41_87:
	s_delay_alu instid0(SALU_CYCLE_1)
	s_or_b32 exec_lo, exec_lo, s4
	v_mov_b32_e32 v106, 0
	ds_load_b64 v[106:107], v106 offset:256
	s_waitcnt lgkmcnt(0)
	v_mul_f64 v[85:86], v[85:86], v[106:107]
	scratch_store_b64 off, v[85:86], off offset:256
.LBB41_88:
	s_or_b32 exec_lo, exec_lo, s3
	scratch_load_b64 v[85:86], off, off offset:248
	v_cmp_lt_u32_e64 s1, 31, v0
	s_waitcnt vmcnt(0)
	ds_store_b64 v88, v[85:86]
	s_waitcnt lgkmcnt(0)
	s_waitcnt_vscnt null, 0x0
	s_barrier
	buffer_gl0_inv
	s_and_saveexec_b32 s3, s1
	s_cbranch_execz .LBB41_98
; %bb.89:
	s_and_not1_b32 vcc_lo, exec_lo, s2
	s_cbranch_vccnz .LBB41_91
; %bb.90:
	scratch_load_b64 v[85:86], v89, off
	ds_load_b64 v[106:107], v88
	s_waitcnt vmcnt(0) lgkmcnt(0)
	v_mul_f64 v[85:86], v[85:86], v[106:107]
	s_cbranch_execz .LBB41_92
	s_branch .LBB41_93
.LBB41_91:
                                        ; implicit-def: $vgpr85_vgpr86
.LBB41_92:
	ds_load_b64 v[85:86], v88
.LBB41_93:
	s_and_saveexec_b32 s4, s0
	s_cbranch_execz .LBB41_97
; %bb.94:
	v_subrev_nc_u32_e32 v106, 32, v0
	s_movk_i32 s5, 0x250
	s_mov_b32 s0, 0
.LBB41_95:                              ; =>This Inner Loop Header: Depth=1
	scratch_load_b64 v[107:108], v105, off
	v_dual_mov_b32 v109, s5 :: v_dual_add_nc_u32 v106, -1, v106
	v_add_nc_u32_e32 v105, 8, v105
	s_add_i32 s5, s5, 8
	ds_load_b64 v[109:110], v109
	v_cmp_eq_u32_e32 vcc_lo, 0, v106
	s_or_b32 s0, vcc_lo, s0
	s_waitcnt vmcnt(0) lgkmcnt(0)
	v_fma_f64 v[85:86], v[107:108], v[109:110], v[85:86]
	s_and_not1_b32 exec_lo, exec_lo, s0
	s_cbranch_execnz .LBB41_95
; %bb.96:
	s_or_b32 exec_lo, exec_lo, s0
.LBB41_97:
	s_delay_alu instid0(SALU_CYCLE_1)
	s_or_b32 exec_lo, exec_lo, s4
	v_mov_b32_e32 v105, 0
	ds_load_b64 v[105:106], v105 offset:248
	s_waitcnt lgkmcnt(0)
	v_mul_f64 v[85:86], v[85:86], v[105:106]
	scratch_store_b64 off, v[85:86], off offset:248
.LBB41_98:
	s_or_b32 exec_lo, exec_lo, s3
	scratch_load_b64 v[85:86], off, off offset:240
	v_cmp_lt_u32_e64 s0, 30, v0
	s_waitcnt vmcnt(0)
	ds_store_b64 v88, v[85:86]
	s_waitcnt lgkmcnt(0)
	s_waitcnt_vscnt null, 0x0
	s_barrier
	buffer_gl0_inv
	s_and_saveexec_b32 s3, s0
	s_cbranch_execz .LBB41_108
; %bb.99:
	s_and_not1_b32 vcc_lo, exec_lo, s2
	s_cbranch_vccnz .LBB41_101
; %bb.100:
	scratch_load_b64 v[85:86], v89, off
	ds_load_b64 v[105:106], v88
	s_waitcnt vmcnt(0) lgkmcnt(0)
	v_mul_f64 v[85:86], v[85:86], v[105:106]
	s_cbranch_execz .LBB41_102
	s_branch .LBB41_103
.LBB41_101:
                                        ; implicit-def: $vgpr85_vgpr86
.LBB41_102:
	ds_load_b64 v[85:86], v88
.LBB41_103:
	s_and_saveexec_b32 s4, s1
	s_cbranch_execz .LBB41_107
; %bb.104:
	v_mov_b32_e32 v105, 0
	v_subrev_nc_u32_e32 v106, 31, v0
	s_movk_i32 s5, 0x248
	s_mov_b32 s1, 0
	s_delay_alu instid0(VALU_DEP_2)
	v_add_nc_u32_e32 v105, 0xf8, v105
.LBB41_105:                             ; =>This Inner Loop Header: Depth=1
	scratch_load_b64 v[107:108], v105, off
	v_dual_mov_b32 v109, s5 :: v_dual_add_nc_u32 v106, -1, v106
	v_add_nc_u32_e32 v105, 8, v105
	s_add_i32 s5, s5, 8
	ds_load_b64 v[109:110], v109
	v_cmp_eq_u32_e32 vcc_lo, 0, v106
	s_or_b32 s1, vcc_lo, s1
	s_waitcnt vmcnt(0) lgkmcnt(0)
	v_fma_f64 v[85:86], v[107:108], v[109:110], v[85:86]
	s_and_not1_b32 exec_lo, exec_lo, s1
	s_cbranch_execnz .LBB41_105
; %bb.106:
	s_or_b32 exec_lo, exec_lo, s1
.LBB41_107:
	s_delay_alu instid0(SALU_CYCLE_1)
	s_or_b32 exec_lo, exec_lo, s4
	v_mov_b32_e32 v105, 0
	ds_load_b64 v[105:106], v105 offset:240
	s_waitcnt lgkmcnt(0)
	v_mul_f64 v[85:86], v[85:86], v[105:106]
	scratch_store_b64 off, v[85:86], off offset:240
.LBB41_108:
	s_or_b32 exec_lo, exec_lo, s3
	scratch_load_b64 v[85:86], off, off offset:232
	v_cmp_lt_u32_e64 s1, 29, v0
	s_waitcnt vmcnt(0)
	ds_store_b64 v88, v[85:86]
	s_waitcnt lgkmcnt(0)
	s_waitcnt_vscnt null, 0x0
	s_barrier
	buffer_gl0_inv
	s_and_saveexec_b32 s3, s1
	s_cbranch_execz .LBB41_118
; %bb.109:
	s_and_not1_b32 vcc_lo, exec_lo, s2
	s_cbranch_vccnz .LBB41_111
; %bb.110:
	scratch_load_b64 v[85:86], v89, off
	ds_load_b64 v[105:106], v88
	s_waitcnt vmcnt(0) lgkmcnt(0)
	v_mul_f64 v[85:86], v[85:86], v[105:106]
	s_cbranch_execz .LBB41_112
	s_branch .LBB41_113
.LBB41_111:
                                        ; implicit-def: $vgpr85_vgpr86
.LBB41_112:
	ds_load_b64 v[85:86], v88
.LBB41_113:
	s_and_saveexec_b32 s4, s0
	s_cbranch_execz .LBB41_117
; %bb.114:
	v_subrev_nc_u32_e32 v105, 30, v0
	s_movk_i32 s5, 0x240
	s_mov_b32 s0, 0
.LBB41_115:                             ; =>This Inner Loop Header: Depth=1
	scratch_load_b64 v[106:107], v104, off
	v_dual_mov_b32 v108, s5 :: v_dual_add_nc_u32 v105, -1, v105
	v_add_nc_u32_e32 v104, 8, v104
	s_add_i32 s5, s5, 8
	ds_load_b64 v[108:109], v108
	v_cmp_eq_u32_e32 vcc_lo, 0, v105
	s_or_b32 s0, vcc_lo, s0
	s_waitcnt vmcnt(0) lgkmcnt(0)
	v_fma_f64 v[85:86], v[106:107], v[108:109], v[85:86]
	s_and_not1_b32 exec_lo, exec_lo, s0
	s_cbranch_execnz .LBB41_115
; %bb.116:
	s_or_b32 exec_lo, exec_lo, s0
.LBB41_117:
	s_delay_alu instid0(SALU_CYCLE_1)
	s_or_b32 exec_lo, exec_lo, s4
	v_mov_b32_e32 v104, 0
	ds_load_b64 v[104:105], v104 offset:232
	s_waitcnt lgkmcnt(0)
	v_mul_f64 v[85:86], v[85:86], v[104:105]
	scratch_store_b64 off, v[85:86], off offset:232
.LBB41_118:
	s_or_b32 exec_lo, exec_lo, s3
	scratch_load_b64 v[85:86], off, off offset:224
	v_cmp_lt_u32_e64 s0, 28, v0
	s_waitcnt vmcnt(0)
	ds_store_b64 v88, v[85:86]
	s_waitcnt lgkmcnt(0)
	s_waitcnt_vscnt null, 0x0
	s_barrier
	buffer_gl0_inv
	s_and_saveexec_b32 s3, s0
	s_cbranch_execz .LBB41_128
; %bb.119:
	s_and_not1_b32 vcc_lo, exec_lo, s2
	s_cbranch_vccnz .LBB41_121
; %bb.120:
	scratch_load_b64 v[85:86], v89, off
	ds_load_b64 v[104:105], v88
	s_waitcnt vmcnt(0) lgkmcnt(0)
	v_mul_f64 v[85:86], v[85:86], v[104:105]
	s_cbranch_execz .LBB41_122
	s_branch .LBB41_123
.LBB41_121:
                                        ; implicit-def: $vgpr85_vgpr86
.LBB41_122:
	ds_load_b64 v[85:86], v88
.LBB41_123:
	s_and_saveexec_b32 s4, s1
	s_cbranch_execz .LBB41_127
; %bb.124:
	v_mov_b32_e32 v104, 0
	v_subrev_nc_u32_e32 v105, 29, v0
	s_movk_i32 s5, 0x238
	s_mov_b32 s1, 0
	s_delay_alu instid0(VALU_DEP_2)
	v_add_nc_u32_e32 v104, 0xe8, v104
.LBB41_125:                             ; =>This Inner Loop Header: Depth=1
	scratch_load_b64 v[106:107], v104, off
	v_dual_mov_b32 v108, s5 :: v_dual_add_nc_u32 v105, -1, v105
	v_add_nc_u32_e32 v104, 8, v104
	s_add_i32 s5, s5, 8
	ds_load_b64 v[108:109], v108
	v_cmp_eq_u32_e32 vcc_lo, 0, v105
	s_or_b32 s1, vcc_lo, s1
	s_waitcnt vmcnt(0) lgkmcnt(0)
	v_fma_f64 v[85:86], v[106:107], v[108:109], v[85:86]
	s_and_not1_b32 exec_lo, exec_lo, s1
	s_cbranch_execnz .LBB41_125
; %bb.126:
	s_or_b32 exec_lo, exec_lo, s1
.LBB41_127:
	s_delay_alu instid0(SALU_CYCLE_1)
	s_or_b32 exec_lo, exec_lo, s4
	v_mov_b32_e32 v104, 0
	ds_load_b64 v[104:105], v104 offset:224
	s_waitcnt lgkmcnt(0)
	v_mul_f64 v[85:86], v[85:86], v[104:105]
	scratch_store_b64 off, v[85:86], off offset:224
.LBB41_128:
	s_or_b32 exec_lo, exec_lo, s3
	scratch_load_b64 v[85:86], off, off offset:216
	v_cmp_lt_u32_e64 s1, 27, v0
	s_waitcnt vmcnt(0)
	ds_store_b64 v88, v[85:86]
	s_waitcnt lgkmcnt(0)
	s_waitcnt_vscnt null, 0x0
	s_barrier
	buffer_gl0_inv
	s_and_saveexec_b32 s3, s1
	s_cbranch_execz .LBB41_138
; %bb.129:
	s_and_not1_b32 vcc_lo, exec_lo, s2
	s_cbranch_vccnz .LBB41_131
; %bb.130:
	scratch_load_b64 v[85:86], v89, off
	ds_load_b64 v[104:105], v88
	s_waitcnt vmcnt(0) lgkmcnt(0)
	v_mul_f64 v[85:86], v[85:86], v[104:105]
	s_cbranch_execz .LBB41_132
	s_branch .LBB41_133
.LBB41_131:
                                        ; implicit-def: $vgpr85_vgpr86
.LBB41_132:
	ds_load_b64 v[85:86], v88
.LBB41_133:
	s_and_saveexec_b32 s4, s0
	s_cbranch_execz .LBB41_137
; %bb.134:
	v_subrev_nc_u32_e32 v104, 28, v0
	s_movk_i32 s5, 0x230
	s_mov_b32 s0, 0
.LBB41_135:                             ; =>This Inner Loop Header: Depth=1
	scratch_load_b64 v[105:106], v103, off
	v_dual_mov_b32 v107, s5 :: v_dual_add_nc_u32 v104, -1, v104
	v_add_nc_u32_e32 v103, 8, v103
	s_add_i32 s5, s5, 8
	ds_load_b64 v[107:108], v107
	v_cmp_eq_u32_e32 vcc_lo, 0, v104
	s_or_b32 s0, vcc_lo, s0
	s_waitcnt vmcnt(0) lgkmcnt(0)
	v_fma_f64 v[85:86], v[105:106], v[107:108], v[85:86]
	s_and_not1_b32 exec_lo, exec_lo, s0
	s_cbranch_execnz .LBB41_135
; %bb.136:
	s_or_b32 exec_lo, exec_lo, s0
.LBB41_137:
	s_delay_alu instid0(SALU_CYCLE_1)
	s_or_b32 exec_lo, exec_lo, s4
	v_mov_b32_e32 v103, 0
	ds_load_b64 v[103:104], v103 offset:216
	s_waitcnt lgkmcnt(0)
	v_mul_f64 v[85:86], v[85:86], v[103:104]
	scratch_store_b64 off, v[85:86], off offset:216
.LBB41_138:
	s_or_b32 exec_lo, exec_lo, s3
	scratch_load_b64 v[85:86], off, off offset:208
	v_cmp_lt_u32_e64 s0, 26, v0
	s_waitcnt vmcnt(0)
	ds_store_b64 v88, v[85:86]
	s_waitcnt lgkmcnt(0)
	s_waitcnt_vscnt null, 0x0
	s_barrier
	buffer_gl0_inv
	s_and_saveexec_b32 s3, s0
	s_cbranch_execz .LBB41_148
; %bb.139:
	s_and_not1_b32 vcc_lo, exec_lo, s2
	s_cbranch_vccnz .LBB41_141
; %bb.140:
	scratch_load_b64 v[85:86], v89, off
	ds_load_b64 v[103:104], v88
	s_waitcnt vmcnt(0) lgkmcnt(0)
	v_mul_f64 v[85:86], v[85:86], v[103:104]
	s_cbranch_execz .LBB41_142
	s_branch .LBB41_143
.LBB41_141:
                                        ; implicit-def: $vgpr85_vgpr86
.LBB41_142:
	ds_load_b64 v[85:86], v88
.LBB41_143:
	s_and_saveexec_b32 s4, s1
	s_cbranch_execz .LBB41_147
; %bb.144:
	v_mov_b32_e32 v103, 0
	v_subrev_nc_u32_e32 v104, 27, v0
	s_movk_i32 s5, 0x228
	s_mov_b32 s1, 0
	s_delay_alu instid0(VALU_DEP_2)
	v_add_nc_u32_e32 v103, 0xd8, v103
.LBB41_145:                             ; =>This Inner Loop Header: Depth=1
	scratch_load_b64 v[105:106], v103, off
	v_dual_mov_b32 v107, s5 :: v_dual_add_nc_u32 v104, -1, v104
	v_add_nc_u32_e32 v103, 8, v103
	s_add_i32 s5, s5, 8
	ds_load_b64 v[107:108], v107
	v_cmp_eq_u32_e32 vcc_lo, 0, v104
	s_or_b32 s1, vcc_lo, s1
	s_waitcnt vmcnt(0) lgkmcnt(0)
	v_fma_f64 v[85:86], v[105:106], v[107:108], v[85:86]
	s_and_not1_b32 exec_lo, exec_lo, s1
	s_cbranch_execnz .LBB41_145
; %bb.146:
	s_or_b32 exec_lo, exec_lo, s1
.LBB41_147:
	s_delay_alu instid0(SALU_CYCLE_1)
	s_or_b32 exec_lo, exec_lo, s4
	v_mov_b32_e32 v103, 0
	ds_load_b64 v[103:104], v103 offset:208
	s_waitcnt lgkmcnt(0)
	v_mul_f64 v[85:86], v[85:86], v[103:104]
	scratch_store_b64 off, v[85:86], off offset:208
.LBB41_148:
	s_or_b32 exec_lo, exec_lo, s3
	scratch_load_b64 v[85:86], off, off offset:200
	v_cmp_lt_u32_e64 s1, 25, v0
	s_waitcnt vmcnt(0)
	ds_store_b64 v88, v[85:86]
	s_waitcnt lgkmcnt(0)
	s_waitcnt_vscnt null, 0x0
	s_barrier
	buffer_gl0_inv
	s_and_saveexec_b32 s3, s1
	s_cbranch_execz .LBB41_158
; %bb.149:
	s_and_not1_b32 vcc_lo, exec_lo, s2
	s_cbranch_vccnz .LBB41_151
; %bb.150:
	scratch_load_b64 v[85:86], v89, off
	ds_load_b64 v[103:104], v88
	s_waitcnt vmcnt(0) lgkmcnt(0)
	v_mul_f64 v[85:86], v[85:86], v[103:104]
	s_cbranch_execz .LBB41_152
	s_branch .LBB41_153
.LBB41_151:
                                        ; implicit-def: $vgpr85_vgpr86
.LBB41_152:
	ds_load_b64 v[85:86], v88
.LBB41_153:
	s_and_saveexec_b32 s4, s0
	s_cbranch_execz .LBB41_157
; %bb.154:
	v_subrev_nc_u32_e32 v103, 26, v0
	s_movk_i32 s5, 0x220
	s_mov_b32 s0, 0
.LBB41_155:                             ; =>This Inner Loop Header: Depth=1
	scratch_load_b64 v[104:105], v102, off
	v_dual_mov_b32 v106, s5 :: v_dual_add_nc_u32 v103, -1, v103
	v_add_nc_u32_e32 v102, 8, v102
	s_add_i32 s5, s5, 8
	ds_load_b64 v[106:107], v106
	v_cmp_eq_u32_e32 vcc_lo, 0, v103
	s_or_b32 s0, vcc_lo, s0
	s_waitcnt vmcnt(0) lgkmcnt(0)
	v_fma_f64 v[85:86], v[104:105], v[106:107], v[85:86]
	s_and_not1_b32 exec_lo, exec_lo, s0
	s_cbranch_execnz .LBB41_155
; %bb.156:
	s_or_b32 exec_lo, exec_lo, s0
.LBB41_157:
	s_delay_alu instid0(SALU_CYCLE_1)
	s_or_b32 exec_lo, exec_lo, s4
	v_mov_b32_e32 v102, 0
	ds_load_b64 v[102:103], v102 offset:200
	s_waitcnt lgkmcnt(0)
	v_mul_f64 v[85:86], v[85:86], v[102:103]
	scratch_store_b64 off, v[85:86], off offset:200
.LBB41_158:
	s_or_b32 exec_lo, exec_lo, s3
	scratch_load_b64 v[85:86], off, off offset:192
	v_cmp_lt_u32_e64 s0, 24, v0
	s_waitcnt vmcnt(0)
	ds_store_b64 v88, v[85:86]
	s_waitcnt lgkmcnt(0)
	s_waitcnt_vscnt null, 0x0
	s_barrier
	buffer_gl0_inv
	s_and_saveexec_b32 s3, s0
	s_cbranch_execz .LBB41_168
; %bb.159:
	s_and_not1_b32 vcc_lo, exec_lo, s2
	s_cbranch_vccnz .LBB41_161
; %bb.160:
	scratch_load_b64 v[85:86], v89, off
	ds_load_b64 v[102:103], v88
	s_waitcnt vmcnt(0) lgkmcnt(0)
	v_mul_f64 v[85:86], v[85:86], v[102:103]
	s_cbranch_execz .LBB41_162
	s_branch .LBB41_163
.LBB41_161:
                                        ; implicit-def: $vgpr85_vgpr86
.LBB41_162:
	ds_load_b64 v[85:86], v88
.LBB41_163:
	s_and_saveexec_b32 s4, s1
	s_cbranch_execz .LBB41_167
; %bb.164:
	v_mov_b32_e32 v102, 0
	v_subrev_nc_u32_e32 v103, 25, v0
	s_movk_i32 s5, 0x218
	s_mov_b32 s1, 0
	s_delay_alu instid0(VALU_DEP_2)
	v_add_nc_u32_e32 v102, 0xc8, v102
.LBB41_165:                             ; =>This Inner Loop Header: Depth=1
	scratch_load_b64 v[104:105], v102, off
	v_dual_mov_b32 v106, s5 :: v_dual_add_nc_u32 v103, -1, v103
	v_add_nc_u32_e32 v102, 8, v102
	s_add_i32 s5, s5, 8
	ds_load_b64 v[106:107], v106
	v_cmp_eq_u32_e32 vcc_lo, 0, v103
	s_or_b32 s1, vcc_lo, s1
	s_waitcnt vmcnt(0) lgkmcnt(0)
	v_fma_f64 v[85:86], v[104:105], v[106:107], v[85:86]
	s_and_not1_b32 exec_lo, exec_lo, s1
	s_cbranch_execnz .LBB41_165
; %bb.166:
	s_or_b32 exec_lo, exec_lo, s1
.LBB41_167:
	s_delay_alu instid0(SALU_CYCLE_1)
	s_or_b32 exec_lo, exec_lo, s4
	v_mov_b32_e32 v102, 0
	ds_load_b64 v[102:103], v102 offset:192
	s_waitcnt lgkmcnt(0)
	v_mul_f64 v[85:86], v[85:86], v[102:103]
	scratch_store_b64 off, v[85:86], off offset:192
.LBB41_168:
	s_or_b32 exec_lo, exec_lo, s3
	scratch_load_b64 v[85:86], off, off offset:184
	v_cmp_lt_u32_e64 s1, 23, v0
	s_waitcnt vmcnt(0)
	ds_store_b64 v88, v[85:86]
	s_waitcnt lgkmcnt(0)
	s_waitcnt_vscnt null, 0x0
	s_barrier
	buffer_gl0_inv
	s_and_saveexec_b32 s3, s1
	s_cbranch_execz .LBB41_178
; %bb.169:
	s_and_not1_b32 vcc_lo, exec_lo, s2
	s_cbranch_vccnz .LBB41_171
; %bb.170:
	scratch_load_b64 v[85:86], v89, off
	ds_load_b64 v[102:103], v88
	s_waitcnt vmcnt(0) lgkmcnt(0)
	v_mul_f64 v[85:86], v[85:86], v[102:103]
	s_cbranch_execz .LBB41_172
	s_branch .LBB41_173
.LBB41_171:
                                        ; implicit-def: $vgpr85_vgpr86
.LBB41_172:
	ds_load_b64 v[85:86], v88
.LBB41_173:
	s_and_saveexec_b32 s4, s0
	s_cbranch_execz .LBB41_177
; %bb.174:
	v_subrev_nc_u32_e32 v102, 24, v0
	s_movk_i32 s5, 0x210
	s_mov_b32 s0, 0
.LBB41_175:                             ; =>This Inner Loop Header: Depth=1
	scratch_load_b64 v[103:104], v101, off
	v_dual_mov_b32 v105, s5 :: v_dual_add_nc_u32 v102, -1, v102
	v_add_nc_u32_e32 v101, 8, v101
	s_add_i32 s5, s5, 8
	ds_load_b64 v[105:106], v105
	v_cmp_eq_u32_e32 vcc_lo, 0, v102
	s_or_b32 s0, vcc_lo, s0
	s_waitcnt vmcnt(0) lgkmcnt(0)
	v_fma_f64 v[85:86], v[103:104], v[105:106], v[85:86]
	s_and_not1_b32 exec_lo, exec_lo, s0
	s_cbranch_execnz .LBB41_175
; %bb.176:
	s_or_b32 exec_lo, exec_lo, s0
.LBB41_177:
	s_delay_alu instid0(SALU_CYCLE_1)
	s_or_b32 exec_lo, exec_lo, s4
	v_mov_b32_e32 v101, 0
	ds_load_b64 v[101:102], v101 offset:184
	s_waitcnt lgkmcnt(0)
	v_mul_f64 v[85:86], v[85:86], v[101:102]
	scratch_store_b64 off, v[85:86], off offset:184
.LBB41_178:
	s_or_b32 exec_lo, exec_lo, s3
	scratch_load_b64 v[85:86], off, off offset:176
	v_cmp_lt_u32_e64 s0, 22, v0
	s_waitcnt vmcnt(0)
	ds_store_b64 v88, v[85:86]
	s_waitcnt lgkmcnt(0)
	s_waitcnt_vscnt null, 0x0
	s_barrier
	buffer_gl0_inv
	s_and_saveexec_b32 s3, s0
	s_cbranch_execz .LBB41_188
; %bb.179:
	s_and_not1_b32 vcc_lo, exec_lo, s2
	s_cbranch_vccnz .LBB41_181
; %bb.180:
	scratch_load_b64 v[85:86], v89, off
	ds_load_b64 v[101:102], v88
	s_waitcnt vmcnt(0) lgkmcnt(0)
	v_mul_f64 v[85:86], v[85:86], v[101:102]
	s_cbranch_execz .LBB41_182
	s_branch .LBB41_183
.LBB41_181:
                                        ; implicit-def: $vgpr85_vgpr86
.LBB41_182:
	ds_load_b64 v[85:86], v88
.LBB41_183:
	s_and_saveexec_b32 s4, s1
	s_cbranch_execz .LBB41_187
; %bb.184:
	v_mov_b32_e32 v101, 0
	v_subrev_nc_u32_e32 v102, 23, v0
	s_movk_i32 s5, 0x208
	s_mov_b32 s1, 0
	s_delay_alu instid0(VALU_DEP_2)
	v_add_nc_u32_e32 v101, 0xb8, v101
.LBB41_185:                             ; =>This Inner Loop Header: Depth=1
	scratch_load_b64 v[103:104], v101, off
	v_dual_mov_b32 v105, s5 :: v_dual_add_nc_u32 v102, -1, v102
	v_add_nc_u32_e32 v101, 8, v101
	s_add_i32 s5, s5, 8
	ds_load_b64 v[105:106], v105
	v_cmp_eq_u32_e32 vcc_lo, 0, v102
	s_or_b32 s1, vcc_lo, s1
	s_waitcnt vmcnt(0) lgkmcnt(0)
	v_fma_f64 v[85:86], v[103:104], v[105:106], v[85:86]
	s_and_not1_b32 exec_lo, exec_lo, s1
	s_cbranch_execnz .LBB41_185
; %bb.186:
	s_or_b32 exec_lo, exec_lo, s1
.LBB41_187:
	s_delay_alu instid0(SALU_CYCLE_1)
	s_or_b32 exec_lo, exec_lo, s4
	v_mov_b32_e32 v101, 0
	ds_load_b64 v[101:102], v101 offset:176
	s_waitcnt lgkmcnt(0)
	v_mul_f64 v[85:86], v[85:86], v[101:102]
	scratch_store_b64 off, v[85:86], off offset:176
.LBB41_188:
	s_or_b32 exec_lo, exec_lo, s3
	scratch_load_b64 v[85:86], off, off offset:168
	v_cmp_lt_u32_e64 s1, 21, v0
	s_waitcnt vmcnt(0)
	ds_store_b64 v88, v[85:86]
	s_waitcnt lgkmcnt(0)
	s_waitcnt_vscnt null, 0x0
	s_barrier
	buffer_gl0_inv
	s_and_saveexec_b32 s3, s1
	s_cbranch_execz .LBB41_198
; %bb.189:
	s_and_not1_b32 vcc_lo, exec_lo, s2
	s_cbranch_vccnz .LBB41_191
; %bb.190:
	scratch_load_b64 v[85:86], v89, off
	ds_load_b64 v[101:102], v88
	s_waitcnt vmcnt(0) lgkmcnt(0)
	v_mul_f64 v[85:86], v[85:86], v[101:102]
	s_cbranch_execz .LBB41_192
	s_branch .LBB41_193
.LBB41_191:
                                        ; implicit-def: $vgpr85_vgpr86
.LBB41_192:
	ds_load_b64 v[85:86], v88
.LBB41_193:
	s_and_saveexec_b32 s4, s0
	s_cbranch_execz .LBB41_197
; %bb.194:
	v_subrev_nc_u32_e32 v101, 22, v0
	s_movk_i32 s5, 0x200
	s_mov_b32 s0, 0
.LBB41_195:                             ; =>This Inner Loop Header: Depth=1
	scratch_load_b64 v[102:103], v100, off
	v_dual_mov_b32 v104, s5 :: v_dual_add_nc_u32 v101, -1, v101
	v_add_nc_u32_e32 v100, 8, v100
	s_add_i32 s5, s5, 8
	ds_load_b64 v[104:105], v104
	v_cmp_eq_u32_e32 vcc_lo, 0, v101
	s_or_b32 s0, vcc_lo, s0
	s_waitcnt vmcnt(0) lgkmcnt(0)
	v_fma_f64 v[85:86], v[102:103], v[104:105], v[85:86]
	s_and_not1_b32 exec_lo, exec_lo, s0
	s_cbranch_execnz .LBB41_195
; %bb.196:
	s_or_b32 exec_lo, exec_lo, s0
.LBB41_197:
	s_delay_alu instid0(SALU_CYCLE_1)
	s_or_b32 exec_lo, exec_lo, s4
	v_mov_b32_e32 v100, 0
	ds_load_b64 v[100:101], v100 offset:168
	s_waitcnt lgkmcnt(0)
	v_mul_f64 v[85:86], v[85:86], v[100:101]
	scratch_store_b64 off, v[85:86], off offset:168
.LBB41_198:
	s_or_b32 exec_lo, exec_lo, s3
	scratch_load_b64 v[85:86], off, off offset:160
	v_cmp_lt_u32_e64 s0, 20, v0
	s_waitcnt vmcnt(0)
	ds_store_b64 v88, v[85:86]
	s_waitcnt lgkmcnt(0)
	s_waitcnt_vscnt null, 0x0
	s_barrier
	buffer_gl0_inv
	s_and_saveexec_b32 s3, s0
	s_cbranch_execz .LBB41_208
; %bb.199:
	s_and_not1_b32 vcc_lo, exec_lo, s2
	s_cbranch_vccnz .LBB41_201
; %bb.200:
	scratch_load_b64 v[85:86], v89, off
	ds_load_b64 v[100:101], v88
	s_waitcnt vmcnt(0) lgkmcnt(0)
	v_mul_f64 v[85:86], v[85:86], v[100:101]
	s_cbranch_execz .LBB41_202
	s_branch .LBB41_203
.LBB41_201:
                                        ; implicit-def: $vgpr85_vgpr86
.LBB41_202:
	ds_load_b64 v[85:86], v88
.LBB41_203:
	s_and_saveexec_b32 s4, s1
	s_cbranch_execz .LBB41_207
; %bb.204:
	v_mov_b32_e32 v100, 0
	v_subrev_nc_u32_e32 v101, 21, v0
	s_movk_i32 s5, 0x1f8
	s_mov_b32 s1, 0
	s_delay_alu instid0(VALU_DEP_2)
	v_add_nc_u32_e32 v100, 0xa8, v100
.LBB41_205:                             ; =>This Inner Loop Header: Depth=1
	scratch_load_b64 v[102:103], v100, off
	v_dual_mov_b32 v104, s5 :: v_dual_add_nc_u32 v101, -1, v101
	v_add_nc_u32_e32 v100, 8, v100
	s_add_i32 s5, s5, 8
	ds_load_b64 v[104:105], v104
	v_cmp_eq_u32_e32 vcc_lo, 0, v101
	s_or_b32 s1, vcc_lo, s1
	s_waitcnt vmcnt(0) lgkmcnt(0)
	v_fma_f64 v[85:86], v[102:103], v[104:105], v[85:86]
	s_and_not1_b32 exec_lo, exec_lo, s1
	s_cbranch_execnz .LBB41_205
; %bb.206:
	s_or_b32 exec_lo, exec_lo, s1
.LBB41_207:
	s_delay_alu instid0(SALU_CYCLE_1)
	s_or_b32 exec_lo, exec_lo, s4
	v_mov_b32_e32 v100, 0
	ds_load_b64 v[100:101], v100 offset:160
	s_waitcnt lgkmcnt(0)
	v_mul_f64 v[85:86], v[85:86], v[100:101]
	scratch_store_b64 off, v[85:86], off offset:160
.LBB41_208:
	s_or_b32 exec_lo, exec_lo, s3
	scratch_load_b64 v[85:86], off, off offset:152
	v_cmp_lt_u32_e64 s1, 19, v0
	s_waitcnt vmcnt(0)
	ds_store_b64 v88, v[85:86]
	s_waitcnt lgkmcnt(0)
	s_waitcnt_vscnt null, 0x0
	s_barrier
	buffer_gl0_inv
	s_and_saveexec_b32 s3, s1
	s_cbranch_execz .LBB41_218
; %bb.209:
	s_and_not1_b32 vcc_lo, exec_lo, s2
	s_cbranch_vccnz .LBB41_211
; %bb.210:
	scratch_load_b64 v[85:86], v89, off
	ds_load_b64 v[100:101], v88
	s_waitcnt vmcnt(0) lgkmcnt(0)
	v_mul_f64 v[85:86], v[85:86], v[100:101]
	s_cbranch_execz .LBB41_212
	s_branch .LBB41_213
.LBB41_211:
                                        ; implicit-def: $vgpr85_vgpr86
.LBB41_212:
	ds_load_b64 v[85:86], v88
.LBB41_213:
	s_and_saveexec_b32 s4, s0
	s_cbranch_execz .LBB41_217
; %bb.214:
	v_subrev_nc_u32_e32 v100, 20, v0
	s_movk_i32 s5, 0x1f0
	s_mov_b32 s0, 0
.LBB41_215:                             ; =>This Inner Loop Header: Depth=1
	scratch_load_b64 v[101:102], v99, off
	v_dual_mov_b32 v103, s5 :: v_dual_add_nc_u32 v100, -1, v100
	v_add_nc_u32_e32 v99, 8, v99
	s_add_i32 s5, s5, 8
	ds_load_b64 v[103:104], v103
	v_cmp_eq_u32_e32 vcc_lo, 0, v100
	s_or_b32 s0, vcc_lo, s0
	s_waitcnt vmcnt(0) lgkmcnt(0)
	v_fma_f64 v[85:86], v[101:102], v[103:104], v[85:86]
	s_and_not1_b32 exec_lo, exec_lo, s0
	s_cbranch_execnz .LBB41_215
; %bb.216:
	s_or_b32 exec_lo, exec_lo, s0
.LBB41_217:
	s_delay_alu instid0(SALU_CYCLE_1)
	s_or_b32 exec_lo, exec_lo, s4
	v_mov_b32_e32 v99, 0
	ds_load_b64 v[99:100], v99 offset:152
	s_waitcnt lgkmcnt(0)
	v_mul_f64 v[85:86], v[85:86], v[99:100]
	scratch_store_b64 off, v[85:86], off offset:152
.LBB41_218:
	s_or_b32 exec_lo, exec_lo, s3
	scratch_load_b64 v[85:86], off, off offset:144
	v_cmp_lt_u32_e64 s0, 18, v0
	s_waitcnt vmcnt(0)
	ds_store_b64 v88, v[85:86]
	s_waitcnt lgkmcnt(0)
	s_waitcnt_vscnt null, 0x0
	s_barrier
	buffer_gl0_inv
	s_and_saveexec_b32 s3, s0
	s_cbranch_execz .LBB41_228
; %bb.219:
	s_and_not1_b32 vcc_lo, exec_lo, s2
	s_cbranch_vccnz .LBB41_221
; %bb.220:
	scratch_load_b64 v[85:86], v89, off
	ds_load_b64 v[99:100], v88
	s_waitcnt vmcnt(0) lgkmcnt(0)
	v_mul_f64 v[85:86], v[85:86], v[99:100]
	s_cbranch_execz .LBB41_222
	s_branch .LBB41_223
.LBB41_221:
                                        ; implicit-def: $vgpr85_vgpr86
.LBB41_222:
	ds_load_b64 v[85:86], v88
.LBB41_223:
	s_and_saveexec_b32 s4, s1
	s_cbranch_execz .LBB41_227
; %bb.224:
	v_mov_b32_e32 v99, 0
	v_subrev_nc_u32_e32 v100, 19, v0
	s_movk_i32 s5, 0x1e8
	s_mov_b32 s1, 0
	s_delay_alu instid0(VALU_DEP_2)
	v_add_nc_u32_e32 v99, 0x98, v99
.LBB41_225:                             ; =>This Inner Loop Header: Depth=1
	scratch_load_b64 v[101:102], v99, off
	v_dual_mov_b32 v103, s5 :: v_dual_add_nc_u32 v100, -1, v100
	v_add_nc_u32_e32 v99, 8, v99
	s_add_i32 s5, s5, 8
	ds_load_b64 v[103:104], v103
	v_cmp_eq_u32_e32 vcc_lo, 0, v100
	s_or_b32 s1, vcc_lo, s1
	s_waitcnt vmcnt(0) lgkmcnt(0)
	v_fma_f64 v[85:86], v[101:102], v[103:104], v[85:86]
	s_and_not1_b32 exec_lo, exec_lo, s1
	s_cbranch_execnz .LBB41_225
; %bb.226:
	s_or_b32 exec_lo, exec_lo, s1
.LBB41_227:
	s_delay_alu instid0(SALU_CYCLE_1)
	s_or_b32 exec_lo, exec_lo, s4
	v_mov_b32_e32 v99, 0
	ds_load_b64 v[99:100], v99 offset:144
	s_waitcnt lgkmcnt(0)
	v_mul_f64 v[85:86], v[85:86], v[99:100]
	scratch_store_b64 off, v[85:86], off offset:144
.LBB41_228:
	s_or_b32 exec_lo, exec_lo, s3
	scratch_load_b64 v[85:86], off, off offset:136
	v_cmp_lt_u32_e64 s1, 17, v0
	s_waitcnt vmcnt(0)
	ds_store_b64 v88, v[85:86]
	s_waitcnt lgkmcnt(0)
	s_waitcnt_vscnt null, 0x0
	s_barrier
	buffer_gl0_inv
	s_and_saveexec_b32 s3, s1
	s_cbranch_execz .LBB41_238
; %bb.229:
	s_and_not1_b32 vcc_lo, exec_lo, s2
	s_cbranch_vccnz .LBB41_231
; %bb.230:
	scratch_load_b64 v[85:86], v89, off
	ds_load_b64 v[99:100], v88
	s_waitcnt vmcnt(0) lgkmcnt(0)
	v_mul_f64 v[85:86], v[85:86], v[99:100]
	s_cbranch_execz .LBB41_232
	s_branch .LBB41_233
.LBB41_231:
                                        ; implicit-def: $vgpr85_vgpr86
.LBB41_232:
	ds_load_b64 v[85:86], v88
.LBB41_233:
	s_and_saveexec_b32 s4, s0
	s_cbranch_execz .LBB41_237
; %bb.234:
	v_subrev_nc_u32_e32 v99, 18, v0
	s_movk_i32 s5, 0x1e0
	s_mov_b32 s0, 0
.LBB41_235:                             ; =>This Inner Loop Header: Depth=1
	scratch_load_b64 v[100:101], v98, off
	v_dual_mov_b32 v102, s5 :: v_dual_add_nc_u32 v99, -1, v99
	v_add_nc_u32_e32 v98, 8, v98
	s_add_i32 s5, s5, 8
	ds_load_b64 v[102:103], v102
	v_cmp_eq_u32_e32 vcc_lo, 0, v99
	s_or_b32 s0, vcc_lo, s0
	s_waitcnt vmcnt(0) lgkmcnt(0)
	v_fma_f64 v[85:86], v[100:101], v[102:103], v[85:86]
	s_and_not1_b32 exec_lo, exec_lo, s0
	s_cbranch_execnz .LBB41_235
; %bb.236:
	s_or_b32 exec_lo, exec_lo, s0
.LBB41_237:
	s_delay_alu instid0(SALU_CYCLE_1)
	s_or_b32 exec_lo, exec_lo, s4
	v_mov_b32_e32 v98, 0
	ds_load_b64 v[98:99], v98 offset:136
	s_waitcnt lgkmcnt(0)
	v_mul_f64 v[85:86], v[85:86], v[98:99]
	scratch_store_b64 off, v[85:86], off offset:136
.LBB41_238:
	s_or_b32 exec_lo, exec_lo, s3
	scratch_load_b64 v[85:86], off, off offset:128
	v_cmp_lt_u32_e64 s0, 16, v0
	s_waitcnt vmcnt(0)
	ds_store_b64 v88, v[85:86]
	s_waitcnt lgkmcnt(0)
	s_waitcnt_vscnt null, 0x0
	s_barrier
	buffer_gl0_inv
	s_and_saveexec_b32 s3, s0
	s_cbranch_execz .LBB41_248
; %bb.239:
	s_and_not1_b32 vcc_lo, exec_lo, s2
	s_cbranch_vccnz .LBB41_241
; %bb.240:
	scratch_load_b64 v[85:86], v89, off
	ds_load_b64 v[98:99], v88
	s_waitcnt vmcnt(0) lgkmcnt(0)
	v_mul_f64 v[85:86], v[85:86], v[98:99]
	s_cbranch_execz .LBB41_242
	s_branch .LBB41_243
.LBB41_241:
                                        ; implicit-def: $vgpr85_vgpr86
.LBB41_242:
	ds_load_b64 v[85:86], v88
.LBB41_243:
	s_and_saveexec_b32 s4, s1
	s_cbranch_execz .LBB41_247
; %bb.244:
	v_mov_b32_e32 v98, 0
	v_subrev_nc_u32_e32 v99, 17, v0
	s_movk_i32 s5, 0x1d8
	s_mov_b32 s1, 0
	s_delay_alu instid0(VALU_DEP_2)
	v_add_nc_u32_e32 v98, 0x88, v98
.LBB41_245:                             ; =>This Inner Loop Header: Depth=1
	scratch_load_b64 v[100:101], v98, off
	v_dual_mov_b32 v102, s5 :: v_dual_add_nc_u32 v99, -1, v99
	v_add_nc_u32_e32 v98, 8, v98
	s_add_i32 s5, s5, 8
	ds_load_b64 v[102:103], v102
	v_cmp_eq_u32_e32 vcc_lo, 0, v99
	s_or_b32 s1, vcc_lo, s1
	s_waitcnt vmcnt(0) lgkmcnt(0)
	v_fma_f64 v[85:86], v[100:101], v[102:103], v[85:86]
	s_and_not1_b32 exec_lo, exec_lo, s1
	s_cbranch_execnz .LBB41_245
; %bb.246:
	s_or_b32 exec_lo, exec_lo, s1
.LBB41_247:
	s_delay_alu instid0(SALU_CYCLE_1)
	s_or_b32 exec_lo, exec_lo, s4
	v_mov_b32_e32 v98, 0
	ds_load_b64 v[98:99], v98 offset:128
	s_waitcnt lgkmcnt(0)
	v_mul_f64 v[85:86], v[85:86], v[98:99]
	scratch_store_b64 off, v[85:86], off offset:128
.LBB41_248:
	s_or_b32 exec_lo, exec_lo, s3
	scratch_load_b64 v[85:86], off, off offset:120
	v_cmp_lt_u32_e64 s1, 15, v0
	s_waitcnt vmcnt(0)
	ds_store_b64 v88, v[85:86]
	s_waitcnt lgkmcnt(0)
	s_waitcnt_vscnt null, 0x0
	s_barrier
	buffer_gl0_inv
	s_and_saveexec_b32 s3, s1
	s_cbranch_execz .LBB41_258
; %bb.249:
	s_and_not1_b32 vcc_lo, exec_lo, s2
	s_cbranch_vccnz .LBB41_251
; %bb.250:
	scratch_load_b64 v[85:86], v89, off
	ds_load_b64 v[98:99], v88
	s_waitcnt vmcnt(0) lgkmcnt(0)
	v_mul_f64 v[85:86], v[85:86], v[98:99]
	s_cbranch_execz .LBB41_252
	s_branch .LBB41_253
.LBB41_251:
                                        ; implicit-def: $vgpr85_vgpr86
.LBB41_252:
	ds_load_b64 v[85:86], v88
.LBB41_253:
	s_and_saveexec_b32 s4, s0
	s_cbranch_execz .LBB41_257
; %bb.254:
	v_add_nc_u32_e32 v98, -16, v0
	s_movk_i32 s5, 0x1d0
	s_mov_b32 s0, 0
.LBB41_255:                             ; =>This Inner Loop Header: Depth=1
	scratch_load_b64 v[99:100], v97, off
	v_dual_mov_b32 v101, s5 :: v_dual_add_nc_u32 v98, -1, v98
	v_add_nc_u32_e32 v97, 8, v97
	s_add_i32 s5, s5, 8
	ds_load_b64 v[101:102], v101
	v_cmp_eq_u32_e32 vcc_lo, 0, v98
	s_or_b32 s0, vcc_lo, s0
	s_waitcnt vmcnt(0) lgkmcnt(0)
	v_fma_f64 v[85:86], v[99:100], v[101:102], v[85:86]
	s_and_not1_b32 exec_lo, exec_lo, s0
	s_cbranch_execnz .LBB41_255
; %bb.256:
	s_or_b32 exec_lo, exec_lo, s0
.LBB41_257:
	s_delay_alu instid0(SALU_CYCLE_1)
	s_or_b32 exec_lo, exec_lo, s4
	v_mov_b32_e32 v97, 0
	ds_load_b64 v[97:98], v97 offset:120
	s_waitcnt lgkmcnt(0)
	v_mul_f64 v[85:86], v[85:86], v[97:98]
	scratch_store_b64 off, v[85:86], off offset:120
.LBB41_258:
	s_or_b32 exec_lo, exec_lo, s3
	scratch_load_b64 v[85:86], off, off offset:112
	v_cmp_lt_u32_e64 s0, 14, v0
	s_waitcnt vmcnt(0)
	ds_store_b64 v88, v[85:86]
	s_waitcnt lgkmcnt(0)
	s_waitcnt_vscnt null, 0x0
	s_barrier
	buffer_gl0_inv
	s_and_saveexec_b32 s3, s0
	s_cbranch_execz .LBB41_268
; %bb.259:
	s_and_not1_b32 vcc_lo, exec_lo, s2
	s_cbranch_vccnz .LBB41_261
; %bb.260:
	scratch_load_b64 v[85:86], v89, off
	ds_load_b64 v[97:98], v88
	s_waitcnt vmcnt(0) lgkmcnt(0)
	v_mul_f64 v[85:86], v[85:86], v[97:98]
	s_cbranch_execz .LBB41_262
	s_branch .LBB41_263
.LBB41_261:
                                        ; implicit-def: $vgpr85_vgpr86
.LBB41_262:
	ds_load_b64 v[85:86], v88
.LBB41_263:
	s_and_saveexec_b32 s4, s1
	s_cbranch_execz .LBB41_267
; %bb.264:
	v_dual_mov_b32 v97, 0 :: v_dual_add_nc_u32 v98, -15, v0
	s_movk_i32 s5, 0x1c8
	s_mov_b32 s1, 0
	s_delay_alu instid0(VALU_DEP_1)
	v_add_nc_u32_e32 v97, 0x78, v97
.LBB41_265:                             ; =>This Inner Loop Header: Depth=1
	scratch_load_b64 v[99:100], v97, off
	v_dual_mov_b32 v101, s5 :: v_dual_add_nc_u32 v98, -1, v98
	v_add_nc_u32_e32 v97, 8, v97
	s_add_i32 s5, s5, 8
	ds_load_b64 v[101:102], v101
	v_cmp_eq_u32_e32 vcc_lo, 0, v98
	s_or_b32 s1, vcc_lo, s1
	s_waitcnt vmcnt(0) lgkmcnt(0)
	v_fma_f64 v[85:86], v[99:100], v[101:102], v[85:86]
	s_and_not1_b32 exec_lo, exec_lo, s1
	s_cbranch_execnz .LBB41_265
; %bb.266:
	s_or_b32 exec_lo, exec_lo, s1
.LBB41_267:
	s_delay_alu instid0(SALU_CYCLE_1)
	s_or_b32 exec_lo, exec_lo, s4
	v_mov_b32_e32 v97, 0
	ds_load_b64 v[97:98], v97 offset:112
	s_waitcnt lgkmcnt(0)
	v_mul_f64 v[85:86], v[85:86], v[97:98]
	scratch_store_b64 off, v[85:86], off offset:112
.LBB41_268:
	s_or_b32 exec_lo, exec_lo, s3
	scratch_load_b64 v[85:86], off, off offset:104
	v_cmp_lt_u32_e64 s1, 13, v0
	s_waitcnt vmcnt(0)
	ds_store_b64 v88, v[85:86]
	s_waitcnt lgkmcnt(0)
	s_waitcnt_vscnt null, 0x0
	s_barrier
	buffer_gl0_inv
	s_and_saveexec_b32 s3, s1
	s_cbranch_execz .LBB41_278
; %bb.269:
	s_and_not1_b32 vcc_lo, exec_lo, s2
	s_cbranch_vccnz .LBB41_271
; %bb.270:
	scratch_load_b64 v[85:86], v89, off
	ds_load_b64 v[97:98], v88
	s_waitcnt vmcnt(0) lgkmcnt(0)
	v_mul_f64 v[85:86], v[85:86], v[97:98]
	s_cbranch_execz .LBB41_272
	s_branch .LBB41_273
.LBB41_271:
                                        ; implicit-def: $vgpr85_vgpr86
.LBB41_272:
	ds_load_b64 v[85:86], v88
.LBB41_273:
	s_and_saveexec_b32 s4, s0
	s_cbranch_execz .LBB41_277
; %bb.274:
	v_add_nc_u32_e32 v97, -14, v0
	s_movk_i32 s5, 0x1c0
	s_mov_b32 s0, 0
.LBB41_275:                             ; =>This Inner Loop Header: Depth=1
	scratch_load_b64 v[98:99], v96, off
	v_dual_mov_b32 v100, s5 :: v_dual_add_nc_u32 v97, -1, v97
	v_add_nc_u32_e32 v96, 8, v96
	s_add_i32 s5, s5, 8
	ds_load_b64 v[100:101], v100
	v_cmp_eq_u32_e32 vcc_lo, 0, v97
	s_or_b32 s0, vcc_lo, s0
	s_waitcnt vmcnt(0) lgkmcnt(0)
	v_fma_f64 v[85:86], v[98:99], v[100:101], v[85:86]
	s_and_not1_b32 exec_lo, exec_lo, s0
	s_cbranch_execnz .LBB41_275
; %bb.276:
	s_or_b32 exec_lo, exec_lo, s0
.LBB41_277:
	s_delay_alu instid0(SALU_CYCLE_1)
	s_or_b32 exec_lo, exec_lo, s4
	v_mov_b32_e32 v96, 0
	ds_load_b64 v[96:97], v96 offset:104
	s_waitcnt lgkmcnt(0)
	v_mul_f64 v[85:86], v[85:86], v[96:97]
	scratch_store_b64 off, v[85:86], off offset:104
.LBB41_278:
	s_or_b32 exec_lo, exec_lo, s3
	scratch_load_b64 v[85:86], off, off offset:96
	v_cmp_lt_u32_e64 s0, 12, v0
	s_waitcnt vmcnt(0)
	ds_store_b64 v88, v[85:86]
	s_waitcnt lgkmcnt(0)
	s_waitcnt_vscnt null, 0x0
	s_barrier
	buffer_gl0_inv
	s_and_saveexec_b32 s3, s0
	s_cbranch_execz .LBB41_288
; %bb.279:
	s_and_not1_b32 vcc_lo, exec_lo, s2
	s_cbranch_vccnz .LBB41_281
; %bb.280:
	scratch_load_b64 v[85:86], v89, off
	ds_load_b64 v[96:97], v88
	s_waitcnt vmcnt(0) lgkmcnt(0)
	v_mul_f64 v[85:86], v[85:86], v[96:97]
	s_cbranch_execz .LBB41_282
	s_branch .LBB41_283
.LBB41_281:
                                        ; implicit-def: $vgpr85_vgpr86
.LBB41_282:
	ds_load_b64 v[85:86], v88
.LBB41_283:
	s_and_saveexec_b32 s4, s1
	s_cbranch_execz .LBB41_287
; %bb.284:
	v_dual_mov_b32 v96, 0 :: v_dual_add_nc_u32 v97, -13, v0
	s_movk_i32 s5, 0x1b8
	s_mov_b32 s1, 0
	s_delay_alu instid0(VALU_DEP_1)
	v_add_nc_u32_e32 v96, 0x68, v96
.LBB41_285:                             ; =>This Inner Loop Header: Depth=1
	scratch_load_b64 v[98:99], v96, off
	v_dual_mov_b32 v100, s5 :: v_dual_add_nc_u32 v97, -1, v97
	v_add_nc_u32_e32 v96, 8, v96
	s_add_i32 s5, s5, 8
	ds_load_b64 v[100:101], v100
	v_cmp_eq_u32_e32 vcc_lo, 0, v97
	s_or_b32 s1, vcc_lo, s1
	s_waitcnt vmcnt(0) lgkmcnt(0)
	v_fma_f64 v[85:86], v[98:99], v[100:101], v[85:86]
	s_and_not1_b32 exec_lo, exec_lo, s1
	s_cbranch_execnz .LBB41_285
; %bb.286:
	s_or_b32 exec_lo, exec_lo, s1
.LBB41_287:
	s_delay_alu instid0(SALU_CYCLE_1)
	s_or_b32 exec_lo, exec_lo, s4
	v_mov_b32_e32 v96, 0
	ds_load_b64 v[96:97], v96 offset:96
	s_waitcnt lgkmcnt(0)
	v_mul_f64 v[85:86], v[85:86], v[96:97]
	scratch_store_b64 off, v[85:86], off offset:96
.LBB41_288:
	s_or_b32 exec_lo, exec_lo, s3
	scratch_load_b64 v[85:86], off, off offset:88
	v_cmp_lt_u32_e64 s1, 11, v0
	s_waitcnt vmcnt(0)
	ds_store_b64 v88, v[85:86]
	s_waitcnt lgkmcnt(0)
	s_waitcnt_vscnt null, 0x0
	s_barrier
	buffer_gl0_inv
	s_and_saveexec_b32 s3, s1
	s_cbranch_execz .LBB41_298
; %bb.289:
	s_and_not1_b32 vcc_lo, exec_lo, s2
	s_cbranch_vccnz .LBB41_291
; %bb.290:
	scratch_load_b64 v[85:86], v89, off
	ds_load_b64 v[96:97], v88
	s_waitcnt vmcnt(0) lgkmcnt(0)
	v_mul_f64 v[85:86], v[85:86], v[96:97]
	s_cbranch_execz .LBB41_292
	s_branch .LBB41_293
.LBB41_291:
                                        ; implicit-def: $vgpr85_vgpr86
.LBB41_292:
	ds_load_b64 v[85:86], v88
.LBB41_293:
	s_and_saveexec_b32 s4, s0
	s_cbranch_execz .LBB41_297
; %bb.294:
	v_add_nc_u32_e32 v96, -12, v0
	s_movk_i32 s5, 0x1b0
	s_mov_b32 s0, 0
.LBB41_295:                             ; =>This Inner Loop Header: Depth=1
	scratch_load_b64 v[97:98], v95, off
	v_dual_mov_b32 v99, s5 :: v_dual_add_nc_u32 v96, -1, v96
	v_add_nc_u32_e32 v95, 8, v95
	s_add_i32 s5, s5, 8
	ds_load_b64 v[99:100], v99
	v_cmp_eq_u32_e32 vcc_lo, 0, v96
	s_or_b32 s0, vcc_lo, s0
	s_waitcnt vmcnt(0) lgkmcnt(0)
	v_fma_f64 v[85:86], v[97:98], v[99:100], v[85:86]
	s_and_not1_b32 exec_lo, exec_lo, s0
	s_cbranch_execnz .LBB41_295
; %bb.296:
	s_or_b32 exec_lo, exec_lo, s0
.LBB41_297:
	s_delay_alu instid0(SALU_CYCLE_1)
	s_or_b32 exec_lo, exec_lo, s4
	v_mov_b32_e32 v95, 0
	ds_load_b64 v[95:96], v95 offset:88
	s_waitcnt lgkmcnt(0)
	v_mul_f64 v[85:86], v[85:86], v[95:96]
	scratch_store_b64 off, v[85:86], off offset:88
.LBB41_298:
	s_or_b32 exec_lo, exec_lo, s3
	scratch_load_b64 v[85:86], off, off offset:80
	v_cmp_lt_u32_e64 s0, 10, v0
	s_waitcnt vmcnt(0)
	ds_store_b64 v88, v[85:86]
	s_waitcnt lgkmcnt(0)
	s_waitcnt_vscnt null, 0x0
	s_barrier
	buffer_gl0_inv
	s_and_saveexec_b32 s3, s0
	s_cbranch_execz .LBB41_308
; %bb.299:
	s_and_not1_b32 vcc_lo, exec_lo, s2
	s_cbranch_vccnz .LBB41_301
; %bb.300:
	scratch_load_b64 v[85:86], v89, off
	ds_load_b64 v[95:96], v88
	s_waitcnt vmcnt(0) lgkmcnt(0)
	v_mul_f64 v[85:86], v[85:86], v[95:96]
	s_cbranch_execz .LBB41_302
	s_branch .LBB41_303
.LBB41_301:
                                        ; implicit-def: $vgpr85_vgpr86
.LBB41_302:
	ds_load_b64 v[85:86], v88
.LBB41_303:
	s_and_saveexec_b32 s4, s1
	s_cbranch_execz .LBB41_307
; %bb.304:
	v_dual_mov_b32 v95, 0 :: v_dual_add_nc_u32 v96, -11, v0
	s_movk_i32 s5, 0x1a8
	s_mov_b32 s1, 0
	s_delay_alu instid0(VALU_DEP_1)
	v_add_nc_u32_e32 v95, 0x58, v95
.LBB41_305:                             ; =>This Inner Loop Header: Depth=1
	scratch_load_b64 v[97:98], v95, off
	v_dual_mov_b32 v99, s5 :: v_dual_add_nc_u32 v96, -1, v96
	v_add_nc_u32_e32 v95, 8, v95
	s_add_i32 s5, s5, 8
	ds_load_b64 v[99:100], v99
	v_cmp_eq_u32_e32 vcc_lo, 0, v96
	s_or_b32 s1, vcc_lo, s1
	s_waitcnt vmcnt(0) lgkmcnt(0)
	v_fma_f64 v[85:86], v[97:98], v[99:100], v[85:86]
	s_and_not1_b32 exec_lo, exec_lo, s1
	s_cbranch_execnz .LBB41_305
; %bb.306:
	s_or_b32 exec_lo, exec_lo, s1
.LBB41_307:
	s_delay_alu instid0(SALU_CYCLE_1)
	s_or_b32 exec_lo, exec_lo, s4
	v_mov_b32_e32 v95, 0
	ds_load_b64 v[95:96], v95 offset:80
	s_waitcnt lgkmcnt(0)
	v_mul_f64 v[85:86], v[85:86], v[95:96]
	scratch_store_b64 off, v[85:86], off offset:80
.LBB41_308:
	s_or_b32 exec_lo, exec_lo, s3
	scratch_load_b64 v[85:86], off, off offset:72
	v_cmp_lt_u32_e64 s1, 9, v0
	s_waitcnt vmcnt(0)
	ds_store_b64 v88, v[85:86]
	s_waitcnt lgkmcnt(0)
	s_waitcnt_vscnt null, 0x0
	s_barrier
	buffer_gl0_inv
	s_and_saveexec_b32 s3, s1
	s_cbranch_execz .LBB41_318
; %bb.309:
	s_and_not1_b32 vcc_lo, exec_lo, s2
	s_cbranch_vccnz .LBB41_311
; %bb.310:
	scratch_load_b64 v[85:86], v89, off
	ds_load_b64 v[95:96], v88
	s_waitcnt vmcnt(0) lgkmcnt(0)
	v_mul_f64 v[85:86], v[85:86], v[95:96]
	s_cbranch_execz .LBB41_312
	s_branch .LBB41_313
.LBB41_311:
                                        ; implicit-def: $vgpr85_vgpr86
.LBB41_312:
	ds_load_b64 v[85:86], v88
.LBB41_313:
	s_and_saveexec_b32 s4, s0
	s_cbranch_execz .LBB41_317
; %bb.314:
	v_add_nc_u32_e32 v95, -10, v0
	s_movk_i32 s5, 0x1a0
	s_mov_b32 s0, 0
.LBB41_315:                             ; =>This Inner Loop Header: Depth=1
	scratch_load_b64 v[96:97], v94, off
	v_dual_mov_b32 v98, s5 :: v_dual_add_nc_u32 v95, -1, v95
	v_add_nc_u32_e32 v94, 8, v94
	s_add_i32 s5, s5, 8
	ds_load_b64 v[98:99], v98
	v_cmp_eq_u32_e32 vcc_lo, 0, v95
	s_or_b32 s0, vcc_lo, s0
	s_waitcnt vmcnt(0) lgkmcnt(0)
	v_fma_f64 v[85:86], v[96:97], v[98:99], v[85:86]
	s_and_not1_b32 exec_lo, exec_lo, s0
	s_cbranch_execnz .LBB41_315
; %bb.316:
	s_or_b32 exec_lo, exec_lo, s0
.LBB41_317:
	s_delay_alu instid0(SALU_CYCLE_1)
	s_or_b32 exec_lo, exec_lo, s4
	v_mov_b32_e32 v94, 0
	ds_load_b64 v[94:95], v94 offset:72
	s_waitcnt lgkmcnt(0)
	v_mul_f64 v[85:86], v[85:86], v[94:95]
	scratch_store_b64 off, v[85:86], off offset:72
.LBB41_318:
	s_or_b32 exec_lo, exec_lo, s3
	scratch_load_b64 v[85:86], off, off offset:64
	v_cmp_lt_u32_e64 s0, 8, v0
	s_waitcnt vmcnt(0)
	ds_store_b64 v88, v[85:86]
	s_waitcnt lgkmcnt(0)
	s_waitcnt_vscnt null, 0x0
	s_barrier
	buffer_gl0_inv
	s_and_saveexec_b32 s3, s0
	s_cbranch_execz .LBB41_328
; %bb.319:
	s_and_not1_b32 vcc_lo, exec_lo, s2
	s_cbranch_vccnz .LBB41_321
; %bb.320:
	scratch_load_b64 v[85:86], v89, off
	ds_load_b64 v[94:95], v88
	s_waitcnt vmcnt(0) lgkmcnt(0)
	v_mul_f64 v[85:86], v[85:86], v[94:95]
	s_cbranch_execz .LBB41_322
	s_branch .LBB41_323
.LBB41_321:
                                        ; implicit-def: $vgpr85_vgpr86
.LBB41_322:
	ds_load_b64 v[85:86], v88
.LBB41_323:
	s_and_saveexec_b32 s4, s1
	s_cbranch_execz .LBB41_327
; %bb.324:
	v_dual_mov_b32 v94, 0 :: v_dual_add_nc_u32 v95, -9, v0
	s_movk_i32 s5, 0x198
	s_mov_b32 s1, 0
	s_delay_alu instid0(VALU_DEP_1)
	v_add_nc_u32_e32 v94, 0x48, v94
.LBB41_325:                             ; =>This Inner Loop Header: Depth=1
	scratch_load_b64 v[96:97], v94, off
	v_dual_mov_b32 v98, s5 :: v_dual_add_nc_u32 v95, -1, v95
	v_add_nc_u32_e32 v94, 8, v94
	s_add_i32 s5, s5, 8
	ds_load_b64 v[98:99], v98
	v_cmp_eq_u32_e32 vcc_lo, 0, v95
	s_or_b32 s1, vcc_lo, s1
	s_waitcnt vmcnt(0) lgkmcnt(0)
	v_fma_f64 v[85:86], v[96:97], v[98:99], v[85:86]
	s_and_not1_b32 exec_lo, exec_lo, s1
	s_cbranch_execnz .LBB41_325
; %bb.326:
	s_or_b32 exec_lo, exec_lo, s1
.LBB41_327:
	s_delay_alu instid0(SALU_CYCLE_1)
	s_or_b32 exec_lo, exec_lo, s4
	v_mov_b32_e32 v94, 0
	ds_load_b64 v[94:95], v94 offset:64
	s_waitcnt lgkmcnt(0)
	v_mul_f64 v[85:86], v[85:86], v[94:95]
	scratch_store_b64 off, v[85:86], off offset:64
.LBB41_328:
	s_or_b32 exec_lo, exec_lo, s3
	scratch_load_b64 v[85:86], off, off offset:56
	v_cmp_lt_u32_e64 s1, 7, v0
	s_waitcnt vmcnt(0)
	ds_store_b64 v88, v[85:86]
	s_waitcnt lgkmcnt(0)
	s_waitcnt_vscnt null, 0x0
	s_barrier
	buffer_gl0_inv
	s_and_saveexec_b32 s3, s1
	s_cbranch_execz .LBB41_338
; %bb.329:
	s_and_not1_b32 vcc_lo, exec_lo, s2
	s_cbranch_vccnz .LBB41_331
; %bb.330:
	scratch_load_b64 v[85:86], v89, off
	ds_load_b64 v[94:95], v88
	s_waitcnt vmcnt(0) lgkmcnt(0)
	v_mul_f64 v[85:86], v[85:86], v[94:95]
	s_cbranch_execz .LBB41_332
	s_branch .LBB41_333
.LBB41_331:
                                        ; implicit-def: $vgpr85_vgpr86
.LBB41_332:
	ds_load_b64 v[85:86], v88
.LBB41_333:
	s_and_saveexec_b32 s4, s0
	s_cbranch_execz .LBB41_337
; %bb.334:
	v_add_nc_u32_e32 v94, -8, v0
	s_movk_i32 s5, 0x190
	s_mov_b32 s0, 0
.LBB41_335:                             ; =>This Inner Loop Header: Depth=1
	scratch_load_b64 v[95:96], v93, off
	v_dual_mov_b32 v97, s5 :: v_dual_add_nc_u32 v94, -1, v94
	v_add_nc_u32_e32 v93, 8, v93
	s_add_i32 s5, s5, 8
	ds_load_b64 v[97:98], v97
	v_cmp_eq_u32_e32 vcc_lo, 0, v94
	s_or_b32 s0, vcc_lo, s0
	s_waitcnt vmcnt(0) lgkmcnt(0)
	v_fma_f64 v[85:86], v[95:96], v[97:98], v[85:86]
	s_and_not1_b32 exec_lo, exec_lo, s0
	s_cbranch_execnz .LBB41_335
; %bb.336:
	s_or_b32 exec_lo, exec_lo, s0
.LBB41_337:
	s_delay_alu instid0(SALU_CYCLE_1)
	s_or_b32 exec_lo, exec_lo, s4
	v_mov_b32_e32 v93, 0
	ds_load_b64 v[93:94], v93 offset:56
	s_waitcnt lgkmcnt(0)
	v_mul_f64 v[85:86], v[85:86], v[93:94]
	scratch_store_b64 off, v[85:86], off offset:56
.LBB41_338:
	s_or_b32 exec_lo, exec_lo, s3
	scratch_load_b64 v[85:86], off, off offset:48
	v_cmp_lt_u32_e64 s0, 6, v0
	s_waitcnt vmcnt(0)
	ds_store_b64 v88, v[85:86]
	s_waitcnt lgkmcnt(0)
	s_waitcnt_vscnt null, 0x0
	s_barrier
	buffer_gl0_inv
	s_and_saveexec_b32 s3, s0
	s_cbranch_execz .LBB41_348
; %bb.339:
	s_and_not1_b32 vcc_lo, exec_lo, s2
	s_cbranch_vccnz .LBB41_341
; %bb.340:
	scratch_load_b64 v[85:86], v89, off
	ds_load_b64 v[93:94], v88
	s_waitcnt vmcnt(0) lgkmcnt(0)
	v_mul_f64 v[85:86], v[85:86], v[93:94]
	s_cbranch_execz .LBB41_342
	s_branch .LBB41_343
.LBB41_341:
                                        ; implicit-def: $vgpr85_vgpr86
.LBB41_342:
	ds_load_b64 v[85:86], v88
.LBB41_343:
	s_and_saveexec_b32 s4, s1
	s_cbranch_execz .LBB41_347
; %bb.344:
	v_add_nc_u32_e64 v93, 0, 56
	v_add_nc_u32_e32 v94, -7, v0
	s_movk_i32 s5, 0x188
	s_mov_b32 s1, 0
.LBB41_345:                             ; =>This Inner Loop Header: Depth=1
	scratch_load_b64 v[95:96], v93, off
	v_dual_mov_b32 v97, s5 :: v_dual_add_nc_u32 v94, -1, v94
	v_add_nc_u32_e32 v93, 8, v93
	s_add_i32 s5, s5, 8
	ds_load_b64 v[97:98], v97
	v_cmp_eq_u32_e32 vcc_lo, 0, v94
	s_or_b32 s1, vcc_lo, s1
	s_waitcnt vmcnt(0) lgkmcnt(0)
	v_fma_f64 v[85:86], v[95:96], v[97:98], v[85:86]
	s_and_not1_b32 exec_lo, exec_lo, s1
	s_cbranch_execnz .LBB41_345
; %bb.346:
	s_or_b32 exec_lo, exec_lo, s1
.LBB41_347:
	s_delay_alu instid0(SALU_CYCLE_1)
	s_or_b32 exec_lo, exec_lo, s4
	v_mov_b32_e32 v93, 0
	ds_load_b64 v[93:94], v93 offset:48
	s_waitcnt lgkmcnt(0)
	v_mul_f64 v[85:86], v[85:86], v[93:94]
	scratch_store_b64 off, v[85:86], off offset:48
.LBB41_348:
	s_or_b32 exec_lo, exec_lo, s3
	scratch_load_b64 v[85:86], off, off offset:40
	v_cmp_lt_u32_e64 s1, 5, v0
	s_waitcnt vmcnt(0)
	ds_store_b64 v88, v[85:86]
	s_waitcnt lgkmcnt(0)
	s_waitcnt_vscnt null, 0x0
	s_barrier
	buffer_gl0_inv
	s_and_saveexec_b32 s3, s1
	s_cbranch_execz .LBB41_358
; %bb.349:
	s_and_not1_b32 vcc_lo, exec_lo, s2
	s_cbranch_vccnz .LBB41_351
; %bb.350:
	scratch_load_b64 v[85:86], v89, off
	ds_load_b64 v[93:94], v88
	s_waitcnt vmcnt(0) lgkmcnt(0)
	v_mul_f64 v[85:86], v[85:86], v[93:94]
	s_cbranch_execz .LBB41_352
	s_branch .LBB41_353
.LBB41_351:
                                        ; implicit-def: $vgpr85_vgpr86
.LBB41_352:
	ds_load_b64 v[85:86], v88
.LBB41_353:
	s_and_saveexec_b32 s4, s0
	s_cbranch_execz .LBB41_357
; %bb.354:
	v_add_nc_u32_e32 v93, -6, v0
	s_movk_i32 s5, 0x180
	s_mov_b32 s0, 0
.LBB41_355:                             ; =>This Inner Loop Header: Depth=1
	scratch_load_b64 v[94:95], v92, off
	v_dual_mov_b32 v96, s5 :: v_dual_add_nc_u32 v93, -1, v93
	v_add_nc_u32_e32 v92, 8, v92
	s_add_i32 s5, s5, 8
	ds_load_b64 v[96:97], v96
	v_cmp_eq_u32_e32 vcc_lo, 0, v93
	s_or_b32 s0, vcc_lo, s0
	s_waitcnt vmcnt(0) lgkmcnt(0)
	v_fma_f64 v[85:86], v[94:95], v[96:97], v[85:86]
	s_and_not1_b32 exec_lo, exec_lo, s0
	s_cbranch_execnz .LBB41_355
; %bb.356:
	s_or_b32 exec_lo, exec_lo, s0
.LBB41_357:
	s_delay_alu instid0(SALU_CYCLE_1)
	s_or_b32 exec_lo, exec_lo, s4
	v_mov_b32_e32 v92, 0
	ds_load_b64 v[92:93], v92 offset:40
	s_waitcnt lgkmcnt(0)
	v_mul_f64 v[85:86], v[85:86], v[92:93]
	scratch_store_b64 off, v[85:86], off offset:40
.LBB41_358:
	s_or_b32 exec_lo, exec_lo, s3
	scratch_load_b64 v[85:86], off, off offset:32
	v_cmp_lt_u32_e64 s0, 4, v0
	s_waitcnt vmcnt(0)
	ds_store_b64 v88, v[85:86]
	s_waitcnt lgkmcnt(0)
	s_waitcnt_vscnt null, 0x0
	s_barrier
	buffer_gl0_inv
	s_and_saveexec_b32 s3, s0
	s_cbranch_execz .LBB41_368
; %bb.359:
	s_and_not1_b32 vcc_lo, exec_lo, s2
	s_cbranch_vccnz .LBB41_361
; %bb.360:
	scratch_load_b64 v[85:86], v89, off
	ds_load_b64 v[92:93], v88
	s_waitcnt vmcnt(0) lgkmcnt(0)
	v_mul_f64 v[85:86], v[85:86], v[92:93]
	s_cbranch_execz .LBB41_362
	s_branch .LBB41_363
.LBB41_361:
                                        ; implicit-def: $vgpr85_vgpr86
.LBB41_362:
	ds_load_b64 v[85:86], v88
.LBB41_363:
	s_and_saveexec_b32 s4, s1
	s_cbranch_execz .LBB41_367
; %bb.364:
	v_add_nc_u32_e64 v92, 0, 40
	v_add_nc_u32_e32 v93, -5, v0
	s_movk_i32 s5, 0x178
	s_mov_b32 s1, 0
.LBB41_365:                             ; =>This Inner Loop Header: Depth=1
	scratch_load_b64 v[94:95], v92, off
	v_dual_mov_b32 v96, s5 :: v_dual_add_nc_u32 v93, -1, v93
	v_add_nc_u32_e32 v92, 8, v92
	s_add_i32 s5, s5, 8
	ds_load_b64 v[96:97], v96
	v_cmp_eq_u32_e32 vcc_lo, 0, v93
	s_or_b32 s1, vcc_lo, s1
	s_waitcnt vmcnt(0) lgkmcnt(0)
	v_fma_f64 v[85:86], v[94:95], v[96:97], v[85:86]
	s_and_not1_b32 exec_lo, exec_lo, s1
	s_cbranch_execnz .LBB41_365
; %bb.366:
	s_or_b32 exec_lo, exec_lo, s1
.LBB41_367:
	s_delay_alu instid0(SALU_CYCLE_1)
	s_or_b32 exec_lo, exec_lo, s4
	v_mov_b32_e32 v92, 0
	ds_load_b64 v[92:93], v92 offset:32
	s_waitcnt lgkmcnt(0)
	v_mul_f64 v[85:86], v[85:86], v[92:93]
	scratch_store_b64 off, v[85:86], off offset:32
.LBB41_368:
	s_or_b32 exec_lo, exec_lo, s3
	scratch_load_b64 v[85:86], off, off offset:24
	v_cmp_lt_u32_e64 s1, 3, v0
	s_waitcnt vmcnt(0)
	ds_store_b64 v88, v[85:86]
	s_waitcnt lgkmcnt(0)
	s_waitcnt_vscnt null, 0x0
	s_barrier
	buffer_gl0_inv
	s_and_saveexec_b32 s3, s1
	s_cbranch_execz .LBB41_378
; %bb.369:
	s_and_not1_b32 vcc_lo, exec_lo, s2
	s_cbranch_vccnz .LBB41_371
; %bb.370:
	scratch_load_b64 v[85:86], v89, off
	ds_load_b64 v[92:93], v88
	s_waitcnt vmcnt(0) lgkmcnt(0)
	v_mul_f64 v[85:86], v[85:86], v[92:93]
	s_cbranch_execz .LBB41_372
	s_branch .LBB41_373
.LBB41_371:
                                        ; implicit-def: $vgpr85_vgpr86
.LBB41_372:
	ds_load_b64 v[85:86], v88
.LBB41_373:
	s_and_saveexec_b32 s4, s0
	s_cbranch_execz .LBB41_377
; %bb.374:
	v_add_nc_u32_e32 v92, -4, v0
	s_movk_i32 s5, 0x170
	s_mov_b32 s0, 0
.LBB41_375:                             ; =>This Inner Loop Header: Depth=1
	scratch_load_b64 v[93:94], v91, off
	v_dual_mov_b32 v95, s5 :: v_dual_add_nc_u32 v92, -1, v92
	v_add_nc_u32_e32 v91, 8, v91
	s_add_i32 s5, s5, 8
	ds_load_b64 v[95:96], v95
	v_cmp_eq_u32_e32 vcc_lo, 0, v92
	s_or_b32 s0, vcc_lo, s0
	s_waitcnt vmcnt(0) lgkmcnt(0)
	v_fma_f64 v[85:86], v[93:94], v[95:96], v[85:86]
	s_and_not1_b32 exec_lo, exec_lo, s0
	s_cbranch_execnz .LBB41_375
; %bb.376:
	s_or_b32 exec_lo, exec_lo, s0
.LBB41_377:
	s_delay_alu instid0(SALU_CYCLE_1)
	s_or_b32 exec_lo, exec_lo, s4
	v_mov_b32_e32 v91, 0
	ds_load_b64 v[91:92], v91 offset:24
	s_waitcnt lgkmcnt(0)
	v_mul_f64 v[85:86], v[85:86], v[91:92]
	scratch_store_b64 off, v[85:86], off offset:24
.LBB41_378:
	s_or_b32 exec_lo, exec_lo, s3
	scratch_load_b64 v[85:86], off, off offset:16
	v_cmp_lt_u32_e64 s0, 2, v0
	s_waitcnt vmcnt(0)
	ds_store_b64 v88, v[85:86]
	s_waitcnt lgkmcnt(0)
	s_waitcnt_vscnt null, 0x0
	s_barrier
	buffer_gl0_inv
	s_and_saveexec_b32 s3, s0
	s_cbranch_execz .LBB41_388
; %bb.379:
	s_and_not1_b32 vcc_lo, exec_lo, s2
	s_cbranch_vccnz .LBB41_381
; %bb.380:
	scratch_load_b64 v[85:86], v89, off
	ds_load_b64 v[91:92], v88
	s_waitcnt vmcnt(0) lgkmcnt(0)
	v_mul_f64 v[85:86], v[85:86], v[91:92]
	s_cbranch_execz .LBB41_382
	s_branch .LBB41_383
.LBB41_381:
                                        ; implicit-def: $vgpr85_vgpr86
.LBB41_382:
	ds_load_b64 v[85:86], v88
.LBB41_383:
	s_and_saveexec_b32 s4, s1
	s_cbranch_execz .LBB41_387
; %bb.384:
	v_add_nc_u32_e64 v91, 0, 24
	v_add_nc_u32_e32 v92, -3, v0
	s_movk_i32 s5, 0x168
	s_mov_b32 s1, 0
.LBB41_385:                             ; =>This Inner Loop Header: Depth=1
	scratch_load_b64 v[93:94], v91, off
	v_dual_mov_b32 v95, s5 :: v_dual_add_nc_u32 v92, -1, v92
	v_add_nc_u32_e32 v91, 8, v91
	s_add_i32 s5, s5, 8
	ds_load_b64 v[95:96], v95
	v_cmp_eq_u32_e32 vcc_lo, 0, v92
	s_or_b32 s1, vcc_lo, s1
	s_waitcnt vmcnt(0) lgkmcnt(0)
	v_fma_f64 v[85:86], v[93:94], v[95:96], v[85:86]
	s_and_not1_b32 exec_lo, exec_lo, s1
	s_cbranch_execnz .LBB41_385
; %bb.386:
	s_or_b32 exec_lo, exec_lo, s1
.LBB41_387:
	s_delay_alu instid0(SALU_CYCLE_1)
	s_or_b32 exec_lo, exec_lo, s4
	v_mov_b32_e32 v91, 0
	ds_load_b64 v[91:92], v91 offset:16
	s_waitcnt lgkmcnt(0)
	v_mul_f64 v[85:86], v[85:86], v[91:92]
	scratch_store_b64 off, v[85:86], off offset:16
.LBB41_388:
	s_or_b32 exec_lo, exec_lo, s3
	scratch_load_b64 v[85:86], off, off offset:8
	v_cmp_lt_u32_e64 s1, 1, v0
	s_waitcnt vmcnt(0)
	ds_store_b64 v88, v[85:86]
	s_waitcnt lgkmcnt(0)
	s_waitcnt_vscnt null, 0x0
	s_barrier
	buffer_gl0_inv
	s_and_saveexec_b32 s3, s1
	s_cbranch_execz .LBB41_398
; %bb.389:
	s_and_not1_b32 vcc_lo, exec_lo, s2
	s_cbranch_vccnz .LBB41_391
; %bb.390:
	scratch_load_b64 v[85:86], v89, off
	ds_load_b64 v[91:92], v88
	s_waitcnt vmcnt(0) lgkmcnt(0)
	v_mul_f64 v[85:86], v[85:86], v[91:92]
	s_cbranch_execz .LBB41_392
	s_branch .LBB41_393
.LBB41_391:
                                        ; implicit-def: $vgpr85_vgpr86
.LBB41_392:
	ds_load_b64 v[85:86], v88
.LBB41_393:
	s_and_saveexec_b32 s4, s0
	s_cbranch_execz .LBB41_397
; %bb.394:
	v_add_nc_u32_e32 v91, -2, v0
	s_movk_i32 s5, 0x160
	s_mov_b32 s0, 0
.LBB41_395:                             ; =>This Inner Loop Header: Depth=1
	scratch_load_b64 v[92:93], v90, off
	v_dual_mov_b32 v94, s5 :: v_dual_add_nc_u32 v91, -1, v91
	v_add_nc_u32_e32 v90, 8, v90
	s_add_i32 s5, s5, 8
	ds_load_b64 v[94:95], v94
	v_cmp_eq_u32_e32 vcc_lo, 0, v91
	s_or_b32 s0, vcc_lo, s0
	s_waitcnt vmcnt(0) lgkmcnt(0)
	v_fma_f64 v[85:86], v[92:93], v[94:95], v[85:86]
	s_and_not1_b32 exec_lo, exec_lo, s0
	s_cbranch_execnz .LBB41_395
; %bb.396:
	s_or_b32 exec_lo, exec_lo, s0
.LBB41_397:
	s_delay_alu instid0(SALU_CYCLE_1)
	s_or_b32 exec_lo, exec_lo, s4
	v_mov_b32_e32 v90, 0
	ds_load_b64 v[90:91], v90 offset:8
	s_waitcnt lgkmcnt(0)
	v_mul_f64 v[85:86], v[85:86], v[90:91]
	scratch_store_b64 off, v[85:86], off offset:8
.LBB41_398:
	s_or_b32 exec_lo, exec_lo, s3
	scratch_load_b64 v[85:86], off, off
	s_mov_b32 s0, 0
	s_mov_b32 s3, exec_lo
	s_waitcnt vmcnt(0)
	ds_store_b64 v88, v[85:86]
	s_waitcnt lgkmcnt(0)
	s_waitcnt_vscnt null, 0x0
	s_barrier
	buffer_gl0_inv
	v_cmpx_ne_u32_e32 0, v0
	s_cbranch_execz .LBB41_408
; %bb.399:
	s_and_not1_b32 vcc_lo, exec_lo, s2
	s_cbranch_vccnz .LBB41_401
; %bb.400:
	scratch_load_b64 v[85:86], v89, off
	ds_load_b64 v[90:91], v88
	s_waitcnt vmcnt(0) lgkmcnt(0)
	v_mul_f64 v[85:86], v[85:86], v[90:91]
	s_cbranch_execz .LBB41_402
	s_branch .LBB41_403
.LBB41_401:
                                        ; implicit-def: $vgpr85_vgpr86
.LBB41_402:
	ds_load_b64 v[85:86], v88
.LBB41_403:
	s_and_saveexec_b32 s4, s1
	s_cbranch_execz .LBB41_407
; %bb.404:
	v_or_b32_e64 v90, 0, 8
	v_add_nc_u32_e32 v91, -1, v0
	s_movk_i32 s5, 0x158
	s_mov_b32 s1, 0
.LBB41_405:                             ; =>This Inner Loop Header: Depth=1
	scratch_load_b64 v[92:93], v90, off
	v_dual_mov_b32 v94, s5 :: v_dual_add_nc_u32 v91, -1, v91
	v_add_nc_u32_e32 v90, 8, v90
	s_add_i32 s5, s5, 8
	ds_load_b64 v[94:95], v94
	v_cmp_eq_u32_e32 vcc_lo, 0, v91
	s_or_b32 s1, vcc_lo, s1
	s_waitcnt vmcnt(0) lgkmcnt(0)
	v_fma_f64 v[85:86], v[92:93], v[94:95], v[85:86]
	s_and_not1_b32 exec_lo, exec_lo, s1
	s_cbranch_execnz .LBB41_405
; %bb.406:
	s_or_b32 exec_lo, exec_lo, s1
.LBB41_407:
	s_delay_alu instid0(SALU_CYCLE_1)
	s_or_b32 exec_lo, exec_lo, s4
	v_mov_b32_e32 v90, 0
	ds_load_b64 v[90:91], v90
	s_waitcnt lgkmcnt(0)
	v_mul_f64 v[85:86], v[85:86], v[90:91]
	scratch_store_b64 off, v[85:86], off
.LBB41_408:
	s_or_b32 exec_lo, exec_lo, s3
.LBB41_409:
	s_delay_alu instid0(SALU_CYCLE_1)
	s_and_b32 vcc_lo, exec_lo, s0
	s_cbranch_vccz .LBB41_815
; %bb.410:
	scratch_load_b64 v[85:86], off, off offset:8
	v_cmp_eq_u32_e64 s0, 0, v0
	s_waitcnt vmcnt(0)
	ds_store_b64 v88, v[85:86]
	s_waitcnt lgkmcnt(0)
	s_waitcnt_vscnt null, 0x0
	s_barrier
	buffer_gl0_inv
	s_and_saveexec_b32 s1, s0
	s_cbranch_execz .LBB41_416
; %bb.411:
	s_and_b32 vcc_lo, exec_lo, s2
	s_cbranch_vccz .LBB41_413
; %bb.412:
	scratch_load_b64 v[85:86], v89, off
	ds_load_b64 v[90:91], v88
	s_waitcnt vmcnt(0) lgkmcnt(0)
	v_mul_f64 v[85:86], v[85:86], v[90:91]
	s_cbranch_execz .LBB41_414
	s_branch .LBB41_415
.LBB41_413:
                                        ; implicit-def: $vgpr85_vgpr86
.LBB41_414:
	ds_load_b64 v[85:86], v88
.LBB41_415:
	v_mov_b32_e32 v90, 0
	ds_load_b64 v[90:91], v90 offset:8
	s_waitcnt lgkmcnt(0)
	v_mul_f64 v[85:86], v[85:86], v[90:91]
	scratch_store_b64 off, v[85:86], off offset:8
.LBB41_416:
	s_or_b32 exec_lo, exec_lo, s1
	scratch_load_b64 v[85:86], off, off offset:16
	v_cndmask_b32_e64 v90, 0, 1, s2
	s_mov_b32 s1, exec_lo
	s_waitcnt vmcnt(0)
	ds_store_b64 v88, v[85:86]
	s_waitcnt lgkmcnt(0)
	s_waitcnt_vscnt null, 0x0
	s_barrier
	buffer_gl0_inv
	v_cmpx_gt_u32_e32 2, v0
	s_cbranch_execz .LBB41_424
; %bb.417:
	s_and_not1_b32 vcc_lo, exec_lo, s2
	s_cbranch_vccnz .LBB41_419
; %bb.418:
	scratch_load_b64 v[85:86], v89, off
	ds_load_b64 v[91:92], v88
	s_waitcnt vmcnt(0) lgkmcnt(0)
	v_mul_f64 v[85:86], v[85:86], v[91:92]
	s_cbranch_execz .LBB41_420
	s_branch .LBB41_421
.LBB41_419:
                                        ; implicit-def: $vgpr85_vgpr86
.LBB41_420:
	ds_load_b64 v[85:86], v88
.LBB41_421:
	s_and_saveexec_b32 s2, s0
	s_cbranch_execz .LBB41_423
; %bb.422:
	scratch_load_b64 v[91:92], v89, off offset:8
	ds_load_b64 v[93:94], v88 offset:8
	s_waitcnt vmcnt(0) lgkmcnt(0)
	v_fma_f64 v[85:86], v[91:92], v[93:94], v[85:86]
.LBB41_423:
	s_or_b32 exec_lo, exec_lo, s2
	v_mov_b32_e32 v91, 0
	ds_load_b64 v[91:92], v91 offset:16
	s_waitcnt lgkmcnt(0)
	v_mul_f64 v[85:86], v[85:86], v[91:92]
	scratch_store_b64 off, v[85:86], off offset:16
.LBB41_424:
	s_or_b32 exec_lo, exec_lo, s1
	scratch_load_b64 v[85:86], off, off offset:24
	s_mov_b32 s1, exec_lo
	s_waitcnt vmcnt(0)
	ds_store_b64 v88, v[85:86]
	s_waitcnt lgkmcnt(0)
	s_waitcnt_vscnt null, 0x0
	s_barrier
	buffer_gl0_inv
	v_cmpx_gt_u32_e32 3, v0
	s_cbranch_execz .LBB41_434
; %bb.425:
	v_cmp_ne_u32_e32 vcc_lo, 1, v90
	s_cbranch_vccnz .LBB41_427
; %bb.426:
	scratch_load_b64 v[85:86], v89, off
	ds_load_b64 v[91:92], v88
	s_waitcnt vmcnt(0) lgkmcnt(0)
	v_mul_f64 v[85:86], v[85:86], v[91:92]
	s_cbranch_execz .LBB41_428
	s_branch .LBB41_429
.LBB41_427:
                                        ; implicit-def: $vgpr85_vgpr86
.LBB41_428:
	ds_load_b64 v[85:86], v88
.LBB41_429:
	s_mov_b32 s2, exec_lo
	v_cmpx_ne_u32_e32 2, v0
	s_cbranch_execz .LBB41_433
; %bb.430:
	scratch_load_b64 v[91:92], v89, off offset:8
	ds_load_b64 v[93:94], v88 offset:8
	s_waitcnt vmcnt(0) lgkmcnt(0)
	v_fma_f64 v[85:86], v[91:92], v[93:94], v[85:86]
	s_and_saveexec_b32 s3, s0
	s_cbranch_execz .LBB41_432
; %bb.431:
	scratch_load_b64 v[91:92], off, off offset:16
	v_mov_b32_e32 v93, 0
	ds_load_b64 v[93:94], v93 offset:352
	s_waitcnt vmcnt(0) lgkmcnt(0)
	v_fma_f64 v[85:86], v[91:92], v[93:94], v[85:86]
.LBB41_432:
	s_or_b32 exec_lo, exec_lo, s3
.LBB41_433:
	s_delay_alu instid0(SALU_CYCLE_1)
	s_or_b32 exec_lo, exec_lo, s2
	v_mov_b32_e32 v91, 0
	ds_load_b64 v[91:92], v91 offset:24
	s_waitcnt lgkmcnt(0)
	v_mul_f64 v[85:86], v[85:86], v[91:92]
	scratch_store_b64 off, v[85:86], off offset:24
.LBB41_434:
	s_or_b32 exec_lo, exec_lo, s1
	scratch_load_b64 v[85:86], off, off offset:32
	s_mov_b32 s0, exec_lo
	s_waitcnt vmcnt(0)
	ds_store_b64 v88, v[85:86]
	s_waitcnt lgkmcnt(0)
	s_waitcnt_vscnt null, 0x0
	s_barrier
	buffer_gl0_inv
	v_cmpx_gt_u32_e32 4, v0
	s_cbranch_execz .LBB41_444
; %bb.435:
	v_cmp_ne_u32_e32 vcc_lo, 1, v90
	s_cbranch_vccnz .LBB41_437
; %bb.436:
	scratch_load_b64 v[85:86], v89, off
	ds_load_b64 v[91:92], v88
	s_waitcnt vmcnt(0) lgkmcnt(0)
	v_mul_f64 v[85:86], v[85:86], v[91:92]
	s_cbranch_execz .LBB41_438
	s_branch .LBB41_439
.LBB41_437:
                                        ; implicit-def: $vgpr85_vgpr86
.LBB41_438:
	ds_load_b64 v[85:86], v88
.LBB41_439:
	s_mov_b32 s1, exec_lo
	v_cmpx_ne_u32_e32 3, v0
	s_cbranch_execz .LBB41_443
; %bb.440:
	v_add_nc_u32_e32 v91, 0x158, v87
	v_add3_u32 v92, 0, v87, 8
	v_mov_b32_e32 v93, v0
	s_mov_b32 s2, 0
.LBB41_441:                             ; =>This Inner Loop Header: Depth=1
	scratch_load_b64 v[94:95], v92, off
	ds_load_b64 v[96:97], v91
	v_add_nc_u32_e32 v93, 1, v93
	v_add_nc_u32_e32 v91, 8, v91
	v_add_nc_u32_e32 v92, 8, v92
	s_delay_alu instid0(VALU_DEP_3)
	v_cmp_lt_u32_e32 vcc_lo, 2, v93
	s_or_b32 s2, vcc_lo, s2
	s_waitcnt vmcnt(0) lgkmcnt(0)
	v_fma_f64 v[85:86], v[94:95], v[96:97], v[85:86]
	s_and_not1_b32 exec_lo, exec_lo, s2
	s_cbranch_execnz .LBB41_441
; %bb.442:
	s_or_b32 exec_lo, exec_lo, s2
.LBB41_443:
	s_delay_alu instid0(SALU_CYCLE_1)
	s_or_b32 exec_lo, exec_lo, s1
	v_mov_b32_e32 v91, 0
	ds_load_b64 v[91:92], v91 offset:32
	s_waitcnt lgkmcnt(0)
	v_mul_f64 v[85:86], v[85:86], v[91:92]
	scratch_store_b64 off, v[85:86], off offset:32
.LBB41_444:
	s_or_b32 exec_lo, exec_lo, s0
	scratch_load_b64 v[85:86], off, off offset:40
	s_mov_b32 s0, exec_lo
	s_waitcnt vmcnt(0)
	ds_store_b64 v88, v[85:86]
	s_waitcnt lgkmcnt(0)
	s_waitcnt_vscnt null, 0x0
	s_barrier
	buffer_gl0_inv
	v_cmpx_gt_u32_e32 5, v0
	s_cbranch_execz .LBB41_454
; %bb.445:
	v_cmp_ne_u32_e32 vcc_lo, 1, v90
	s_cbranch_vccnz .LBB41_447
; %bb.446:
	scratch_load_b64 v[85:86], v89, off
	ds_load_b64 v[91:92], v88
	s_waitcnt vmcnt(0) lgkmcnt(0)
	v_mul_f64 v[85:86], v[85:86], v[91:92]
	s_cbranch_execz .LBB41_448
	s_branch .LBB41_449
.LBB41_447:
                                        ; implicit-def: $vgpr85_vgpr86
.LBB41_448:
	ds_load_b64 v[85:86], v88
.LBB41_449:
	s_mov_b32 s1, exec_lo
	v_cmpx_ne_u32_e32 4, v0
	s_cbranch_execz .LBB41_453
; %bb.450:
	v_add_nc_u32_e32 v91, 0x158, v87
	v_add3_u32 v92, 0, v87, 8
	v_mov_b32_e32 v93, v0
	s_mov_b32 s2, 0
.LBB41_451:                             ; =>This Inner Loop Header: Depth=1
	scratch_load_b64 v[94:95], v92, off
	ds_load_b64 v[96:97], v91
	v_add_nc_u32_e32 v93, 1, v93
	v_add_nc_u32_e32 v91, 8, v91
	v_add_nc_u32_e32 v92, 8, v92
	s_delay_alu instid0(VALU_DEP_3)
	v_cmp_lt_u32_e32 vcc_lo, 3, v93
	s_or_b32 s2, vcc_lo, s2
	s_waitcnt vmcnt(0) lgkmcnt(0)
	v_fma_f64 v[85:86], v[94:95], v[96:97], v[85:86]
	s_and_not1_b32 exec_lo, exec_lo, s2
	s_cbranch_execnz .LBB41_451
; %bb.452:
	s_or_b32 exec_lo, exec_lo, s2
.LBB41_453:
	s_delay_alu instid0(SALU_CYCLE_1)
	s_or_b32 exec_lo, exec_lo, s1
	v_mov_b32_e32 v91, 0
	ds_load_b64 v[91:92], v91 offset:40
	s_waitcnt lgkmcnt(0)
	v_mul_f64 v[85:86], v[85:86], v[91:92]
	scratch_store_b64 off, v[85:86], off offset:40
.LBB41_454:
	;; [unrolled: 58-line block ×36, first 2 shown]
	s_or_b32 exec_lo, exec_lo, s0
	scratch_load_b64 v[85:86], off, off offset:320
	v_cmp_gt_u32_e64 s0, 40, v0
	s_waitcnt vmcnt(0)
	ds_store_b64 v88, v[85:86]
	s_waitcnt lgkmcnt(0)
	s_waitcnt_vscnt null, 0x0
	s_barrier
	buffer_gl0_inv
	s_and_saveexec_b32 s1, s0
	s_cbranch_execz .LBB41_804
; %bb.795:
	v_cmp_ne_u32_e32 vcc_lo, 1, v90
	s_cbranch_vccnz .LBB41_797
; %bb.796:
	scratch_load_b64 v[85:86], v89, off
	ds_load_b64 v[91:92], v88
	s_waitcnt vmcnt(0) lgkmcnt(0)
	v_mul_f64 v[85:86], v[85:86], v[91:92]
	s_cbranch_execz .LBB41_798
	s_branch .LBB41_799
.LBB41_797:
                                        ; implicit-def: $vgpr85_vgpr86
.LBB41_798:
	ds_load_b64 v[85:86], v88
.LBB41_799:
	s_mov_b32 s2, exec_lo
	v_cmpx_ne_u32_e32 39, v0
	s_cbranch_execz .LBB41_803
; %bb.800:
	v_add_nc_u32_e32 v91, 0x158, v87
	v_add3_u32 v92, 0, v87, 8
	v_mov_b32_e32 v93, v0
	s_mov_b32 s3, 0
.LBB41_801:                             ; =>This Inner Loop Header: Depth=1
	scratch_load_b64 v[94:95], v92, off
	ds_load_b64 v[96:97], v91
	v_add_nc_u32_e32 v93, 1, v93
	v_add_nc_u32_e32 v91, 8, v91
	;; [unrolled: 1-line block ×3, first 2 shown]
	s_delay_alu instid0(VALU_DEP_3)
	v_cmp_lt_u32_e32 vcc_lo, 38, v93
	s_or_b32 s3, vcc_lo, s3
	s_waitcnt vmcnt(0) lgkmcnt(0)
	v_fma_f64 v[85:86], v[94:95], v[96:97], v[85:86]
	s_and_not1_b32 exec_lo, exec_lo, s3
	s_cbranch_execnz .LBB41_801
; %bb.802:
	s_or_b32 exec_lo, exec_lo, s3
.LBB41_803:
	s_delay_alu instid0(SALU_CYCLE_1)
	s_or_b32 exec_lo, exec_lo, s2
	v_mov_b32_e32 v91, 0
	ds_load_b64 v[91:92], v91 offset:320
	s_waitcnt lgkmcnt(0)
	v_mul_f64 v[85:86], v[85:86], v[91:92]
	scratch_store_b64 off, v[85:86], off offset:320
.LBB41_804:
	s_or_b32 exec_lo, exec_lo, s1
	scratch_load_b64 v[85:86], off, off offset:328
	s_mov_b32 s1, exec_lo
	s_waitcnt vmcnt(0)
	ds_store_b64 v88, v[85:86]
	s_waitcnt lgkmcnt(0)
	s_waitcnt_vscnt null, 0x0
	s_barrier
	buffer_gl0_inv
	v_cmpx_ne_u32_e32 41, v0
	s_cbranch_execz .LBB41_814
; %bb.805:
	v_cmp_ne_u32_e32 vcc_lo, 1, v90
	s_cbranch_vccnz .LBB41_807
; %bb.806:
	scratch_load_b64 v[85:86], v89, off
	ds_load_b64 v[89:90], v88
	s_waitcnt vmcnt(0) lgkmcnt(0)
	v_mul_f64 v[85:86], v[85:86], v[89:90]
	s_cbranch_execz .LBB41_808
	s_branch .LBB41_809
.LBB41_807:
                                        ; implicit-def: $vgpr85_vgpr86
.LBB41_808:
	ds_load_b64 v[85:86], v88
.LBB41_809:
	s_and_saveexec_b32 s2, s0
	s_cbranch_execz .LBB41_813
; %bb.810:
	v_add_nc_u32_e32 v88, 0x158, v87
	v_add3_u32 v87, 0, v87, 8
	s_mov_b32 s0, 0
.LBB41_811:                             ; =>This Inner Loop Header: Depth=1
	scratch_load_b64 v[89:90], v87, off
	ds_load_b64 v[91:92], v88
	v_add_nc_u32_e32 v0, 1, v0
	v_add_nc_u32_e32 v88, 8, v88
	;; [unrolled: 1-line block ×3, first 2 shown]
	s_delay_alu instid0(VALU_DEP_3)
	v_cmp_lt_u32_e32 vcc_lo, 39, v0
	s_or_b32 s0, vcc_lo, s0
	s_waitcnt vmcnt(0) lgkmcnt(0)
	v_fma_f64 v[85:86], v[89:90], v[91:92], v[85:86]
	s_and_not1_b32 exec_lo, exec_lo, s0
	s_cbranch_execnz .LBB41_811
; %bb.812:
	s_or_b32 exec_lo, exec_lo, s0
.LBB41_813:
	s_delay_alu instid0(SALU_CYCLE_1)
	s_or_b32 exec_lo, exec_lo, s2
	v_mov_b32_e32 v0, 0
	ds_load_b64 v[87:88], v0 offset:328
	s_waitcnt lgkmcnt(0)
	v_mul_f64 v[85:86], v[85:86], v[87:88]
	scratch_store_b64 off, v[85:86], off offset:328
.LBB41_814:
	s_or_b32 exec_lo, exec_lo, s1
.LBB41_815:
	s_clause 0x7
	scratch_load_b128 v[85:88], off, off
	scratch_load_b128 v[89:92], off, off offset:16
	scratch_load_b128 v[93:96], off, off offset:32
	;; [unrolled: 1-line block ×7, first 2 shown]
	s_waitcnt vmcnt(7)
	s_clause 0x1
	global_store_b64 v[9:10], v[85:86], off
	global_store_b64 v[11:12], v[87:88], off
	s_clause 0x1
	scratch_load_b128 v[9:12], off, off offset:128
	scratch_load_b128 v[85:88], off, off offset:144
	s_waitcnt vmcnt(8)
	s_clause 0x1
	global_store_b64 v[13:14], v[89:90], off
	global_store_b64 v[15:16], v[91:92], off
	s_clause 0x1
	scratch_load_b128 v[13:16], off, off offset:160
	scratch_load_b128 v[89:92], off, off offset:176
	;; [unrolled: 7-line block ×6, first 2 shown]
	s_waitcnt vmcnt(13)
	s_clause 0x1
	global_store_b64 v[31:32], v[109:110], off
	global_store_b64 v[33:34], v[111:112], off
	scratch_load_b128 v[29:32], off, off offset:320
	s_waitcnt vmcnt(13)
	s_clause 0x1
	global_store_b64 v[1:2], v[113:114], off
	global_store_b64 v[3:4], v[115:116], off
	s_waitcnt vmcnt(12)
	s_clause 0x1
	global_store_b64 v[5:6], v[9:10], off
	global_store_b64 v[7:8], v[11:12], off
	;; [unrolled: 4-line block ×14, first 2 shown]
.LBB41_816:
	s_endpgm
	.section	.rodata,"a",@progbits
	.p2align	6, 0x0
	.amdhsa_kernel _ZN9rocsolver6v33100L18trti2_kernel_smallILi42EdPdEEv13rocblas_fill_17rocblas_diagonal_T1_iil
		.amdhsa_group_segment_fixed_size 672
		.amdhsa_private_segment_fixed_size 352
		.amdhsa_kernarg_size 32
		.amdhsa_user_sgpr_count 15
		.amdhsa_user_sgpr_dispatch_ptr 0
		.amdhsa_user_sgpr_queue_ptr 0
		.amdhsa_user_sgpr_kernarg_segment_ptr 1
		.amdhsa_user_sgpr_dispatch_id 0
		.amdhsa_user_sgpr_private_segment_size 0
		.amdhsa_wavefront_size32 1
		.amdhsa_uses_dynamic_stack 0
		.amdhsa_enable_private_segment 1
		.amdhsa_system_sgpr_workgroup_id_x 1
		.amdhsa_system_sgpr_workgroup_id_y 0
		.amdhsa_system_sgpr_workgroup_id_z 0
		.amdhsa_system_sgpr_workgroup_info 0
		.amdhsa_system_vgpr_workitem_id 0
		.amdhsa_next_free_vgpr 138
		.amdhsa_next_free_sgpr 18
		.amdhsa_reserve_vcc 1
		.amdhsa_float_round_mode_32 0
		.amdhsa_float_round_mode_16_64 0
		.amdhsa_float_denorm_mode_32 3
		.amdhsa_float_denorm_mode_16_64 3
		.amdhsa_dx10_clamp 1
		.amdhsa_ieee_mode 1
		.amdhsa_fp16_overflow 0
		.amdhsa_workgroup_processor_mode 1
		.amdhsa_memory_ordered 1
		.amdhsa_forward_progress 0
		.amdhsa_shared_vgpr_count 0
		.amdhsa_exception_fp_ieee_invalid_op 0
		.amdhsa_exception_fp_denorm_src 0
		.amdhsa_exception_fp_ieee_div_zero 0
		.amdhsa_exception_fp_ieee_overflow 0
		.amdhsa_exception_fp_ieee_underflow 0
		.amdhsa_exception_fp_ieee_inexact 0
		.amdhsa_exception_int_div_zero 0
	.end_amdhsa_kernel
	.section	.text._ZN9rocsolver6v33100L18trti2_kernel_smallILi42EdPdEEv13rocblas_fill_17rocblas_diagonal_T1_iil,"axG",@progbits,_ZN9rocsolver6v33100L18trti2_kernel_smallILi42EdPdEEv13rocblas_fill_17rocblas_diagonal_T1_iil,comdat
.Lfunc_end41:
	.size	_ZN9rocsolver6v33100L18trti2_kernel_smallILi42EdPdEEv13rocblas_fill_17rocblas_diagonal_T1_iil, .Lfunc_end41-_ZN9rocsolver6v33100L18trti2_kernel_smallILi42EdPdEEv13rocblas_fill_17rocblas_diagonal_T1_iil
                                        ; -- End function
	.section	.AMDGPU.csdata,"",@progbits
; Kernel info:
; codeLenInByte = 22928
; NumSgprs: 20
; NumVgprs: 138
; ScratchSize: 352
; MemoryBound: 0
; FloatMode: 240
; IeeeMode: 1
; LDSByteSize: 672 bytes/workgroup (compile time only)
; SGPRBlocks: 2
; VGPRBlocks: 17
; NumSGPRsForWavesPerEU: 20
; NumVGPRsForWavesPerEU: 138
; Occupancy: 10
; WaveLimiterHint : 0
; COMPUTE_PGM_RSRC2:SCRATCH_EN: 1
; COMPUTE_PGM_RSRC2:USER_SGPR: 15
; COMPUTE_PGM_RSRC2:TRAP_HANDLER: 0
; COMPUTE_PGM_RSRC2:TGID_X_EN: 1
; COMPUTE_PGM_RSRC2:TGID_Y_EN: 0
; COMPUTE_PGM_RSRC2:TGID_Z_EN: 0
; COMPUTE_PGM_RSRC2:TIDIG_COMP_CNT: 0
	.section	.text._ZN9rocsolver6v33100L18trti2_kernel_smallILi43EdPdEEv13rocblas_fill_17rocblas_diagonal_T1_iil,"axG",@progbits,_ZN9rocsolver6v33100L18trti2_kernel_smallILi43EdPdEEv13rocblas_fill_17rocblas_diagonal_T1_iil,comdat
	.globl	_ZN9rocsolver6v33100L18trti2_kernel_smallILi43EdPdEEv13rocblas_fill_17rocblas_diagonal_T1_iil ; -- Begin function _ZN9rocsolver6v33100L18trti2_kernel_smallILi43EdPdEEv13rocblas_fill_17rocblas_diagonal_T1_iil
	.p2align	8
	.type	_ZN9rocsolver6v33100L18trti2_kernel_smallILi43EdPdEEv13rocblas_fill_17rocblas_diagonal_T1_iil,@function
_ZN9rocsolver6v33100L18trti2_kernel_smallILi43EdPdEEv13rocblas_fill_17rocblas_diagonal_T1_iil: ; @_ZN9rocsolver6v33100L18trti2_kernel_smallILi43EdPdEEv13rocblas_fill_17rocblas_diagonal_T1_iil
; %bb.0:
	s_mov_b32 s2, exec_lo
	v_cmpx_gt_u32_e32 43, v0
	s_cbranch_execz .LBB42_836
; %bb.1:
	s_load_b256 s[0:7], s[0:1], 0x0
	s_ashr_i32 s8, s15, 31
	v_lshlrev_b32_e32 v89, 3, v0
	s_waitcnt lgkmcnt(0)
	s_mul_i32 s7, s15, s7
	s_mul_hi_u32 s9, s15, s6
	s_mul_i32 s8, s8, s6
	s_add_i32 s7, s9, s7
	s_mul_i32 s6, s15, s6
	s_add_i32 s7, s7, s8
	s_ashr_i32 s9, s4, 31
	s_lshl_b64 s[6:7], s[6:7], 3
	s_mov_b32 s8, s4
	s_add_u32 s4, s2, s6
	s_addc_u32 s7, s3, s7
	s_lshl_b64 s[2:3], s[8:9], 3
	v_add3_u32 v5, s5, s5, v0
	s_add_u32 s2, s4, s2
	s_addc_u32 s3, s7, s3
	v_add_co_u32 v15, s4, s2, v89
	s_mov_b32 s6, s5
	s_ashr_i32 s7, s5, 31
	v_add_nc_u32_e32 v7, s5, v5
	v_add_co_ci_u32_e64 v16, null, s3, 0, s4
	s_lshl_b64 s[6:7], s[6:7], 3
	v_ashrrev_i32_e32 v6, 31, v5
	v_add_co_u32 v13, vcc_lo, v15, s6
	v_add_nc_u32_e32 v9, s5, v7
	v_add_co_ci_u32_e32 v14, vcc_lo, s7, v16, vcc_lo
	v_ashrrev_i32_e32 v8, 31, v7
	v_lshlrev_b64 v[5:6], 3, v[5:6]
	s_clause 0x1
	global_load_b64 v[1:2], v89, s[2:3]
	global_load_b64 v[3:4], v[13:14], off
	v_add_nc_u32_e32 v25, s5, v9
	v_ashrrev_i32_e32 v10, 31, v9
	v_lshlrev_b64 v[7:8], 3, v[7:8]
	s_cmpk_lg_i32 s1, 0x84
	v_add_co_u32 v23, vcc_lo, s2, v5
	v_ashrrev_i32_e32 v26, 31, v25
	v_add_co_ci_u32_e32 v24, vcc_lo, s3, v6, vcc_lo
	v_lshlrev_b64 v[5:6], 3, v[9:10]
	v_add_co_u32 v21, vcc_lo, s2, v7
	v_add_co_ci_u32_e32 v22, vcc_lo, s3, v8, vcc_lo
	v_lshlrev_b64 v[7:8], 3, v[25:26]
	s_delay_alu instid0(VALU_DEP_4) | instskip(SKIP_2) | instid1(VALU_DEP_4)
	v_add_co_u32 v19, vcc_lo, s2, v5
	v_add_co_ci_u32_e32 v20, vcc_lo, s3, v6, vcc_lo
	v_add_nc_u32_e32 v25, s5, v25
	v_add_co_u32 v17, vcc_lo, s2, v7
	v_add_co_ci_u32_e32 v18, vcc_lo, s3, v8, vcc_lo
	s_clause 0x3
	global_load_b64 v[9:10], v[23:24], off
	global_load_b64 v[11:12], v[21:22], off
	;; [unrolled: 1-line block ×4, first 2 shown]
	v_add_nc_u32_e32 v31, s5, v25
	v_ashrrev_i32_e32 v26, 31, v25
	s_delay_alu instid0(VALU_DEP_2) | instskip(SKIP_1) | instid1(VALU_DEP_3)
	v_add_nc_u32_e32 v27, s5, v31
	v_ashrrev_i32_e32 v32, 31, v31
	v_lshlrev_b64 v[25:26], 3, v[25:26]
	s_delay_alu instid0(VALU_DEP_3) | instskip(NEXT) | instid1(VALU_DEP_3)
	v_add_nc_u32_e32 v30, s5, v27
	v_lshlrev_b64 v[39:40], 3, v[31:32]
	v_ashrrev_i32_e32 v28, 31, v27
	s_delay_alu instid0(VALU_DEP_4) | instskip(NEXT) | instid1(VALU_DEP_4)
	v_add_co_u32 v25, vcc_lo, s2, v25
	v_add_nc_u32_e32 v33, s5, v30
	v_ashrrev_i32_e32 v31, 31, v30
	v_add_co_ci_u32_e32 v26, vcc_lo, s3, v26, vcc_lo
	v_lshlrev_b64 v[41:42], 3, v[27:28]
	s_delay_alu instid0(VALU_DEP_4) | instskip(SKIP_2) | instid1(VALU_DEP_3)
	v_add_nc_u32_e32 v35, s5, v33
	v_add_co_u32 v27, vcc_lo, s2, v39
	v_add_co_ci_u32_e32 v28, vcc_lo, s3, v40, vcc_lo
	v_add_nc_u32_e32 v29, s5, v35
	v_lshlrev_b64 v[39:40], 3, v[30:31]
	v_ashrrev_i32_e32 v34, 31, v33
	v_add_co_u32 v31, vcc_lo, s2, v41
	s_delay_alu instid0(VALU_DEP_4) | instskip(SKIP_3) | instid1(VALU_DEP_4)
	v_add_nc_u32_e32 v38, s5, v29
	v_add_co_ci_u32_e32 v32, vcc_lo, s3, v42, vcc_lo
	v_ashrrev_i32_e32 v36, 31, v35
	v_lshlrev_b64 v[41:42], 3, v[33:34]
	v_add_nc_u32_e32 v37, s5, v38
	v_add_co_u32 v33, vcc_lo, s2, v39
	v_add_co_ci_u32_e32 v34, vcc_lo, s3, v40, vcc_lo
	s_delay_alu instid0(VALU_DEP_3) | instskip(SKIP_3) | instid1(VALU_DEP_4)
	v_add_nc_u32_e32 v47, s5, v37
	v_lshlrev_b64 v[35:36], 3, v[35:36]
	v_ashrrev_i32_e32 v30, 31, v29
	v_add_co_u32 v45, vcc_lo, s2, v41
	v_add_nc_u32_e32 v49, s5, v47
	v_ashrrev_i32_e32 v39, 31, v38
	v_add_co_ci_u32_e32 v46, vcc_lo, s3, v42, vcc_lo
	v_lshlrev_b64 v[29:30], 3, v[29:30]
	s_delay_alu instid0(VALU_DEP_4)
	v_add_nc_u32_e32 v51, s5, v49
	v_add_co_u32 v43, vcc_lo, s2, v35
	s_clause 0x3
	global_load_b64 v[65:66], v[25:26], off
	global_load_b64 v[67:68], v[27:28], off
	;; [unrolled: 1-line block ×4, first 2 shown]
	v_add_nc_u32_e32 v53, s5, v51
	v_add_co_ci_u32_e32 v44, vcc_lo, s3, v36, vcc_lo
	v_lshlrev_b64 v[35:36], 3, v[38:39]
	v_ashrrev_i32_e32 v48, 31, v47
	s_delay_alu instid0(VALU_DEP_4) | instskip(SKIP_3) | instid1(VALU_DEP_4)
	v_add_nc_u32_e32 v55, s5, v53
	v_ashrrev_i32_e32 v50, 31, v49
	v_ashrrev_i32_e32 v52, 31, v51
	;; [unrolled: 1-line block ×3, first 2 shown]
	v_add_nc_u32_e32 v57, s5, v55
	v_ashrrev_i32_e32 v56, 31, v55
	s_delay_alu instid0(VALU_DEP_2) | instskip(SKIP_1) | instid1(VALU_DEP_2)
	v_add_nc_u32_e32 v59, s5, v57
	v_ashrrev_i32_e32 v58, 31, v57
	v_add_nc_u32_e32 v61, s5, v59
	v_ashrrev_i32_e32 v60, 31, v59
	s_delay_alu instid0(VALU_DEP_2) | instskip(SKIP_1) | instid1(VALU_DEP_2)
	v_add_nc_u32_e32 v63, s5, v61
	v_ashrrev_i32_e32 v62, 31, v61
	;; [unrolled: 5-line block ×11, first 2 shown]
	v_add_nc_u32_e32 v40, s5, v128
	v_ashrrev_i32_e32 v129, 31, v128
	s_delay_alu instid0(VALU_DEP_2) | instskip(NEXT) | instid1(VALU_DEP_1)
	v_ashrrev_i32_e32 v41, 31, v40
	v_lshlrev_b64 v[38:39], 3, v[40:41]
	v_add_co_u32 v41, vcc_lo, s2, v29
	v_add_co_ci_u32_e32 v42, vcc_lo, s3, v30, vcc_lo
	s_delay_alu instid0(VALU_DEP_3)
	v_add_co_u32 v29, vcc_lo, s2, v38
	v_ashrrev_i32_e32 v38, 31, v37
	v_add_co_ci_u32_e32 v30, vcc_lo, s3, v39, vcc_lo
	v_add_co_u32 v35, vcc_lo, s2, v35
	v_add_co_ci_u32_e32 v36, vcc_lo, s3, v36, vcc_lo
	global_load_b64 v[130:131], v[29:30], off
	v_lshlrev_b64 v[39:40], 3, v[51:52]
	v_lshlrev_b64 v[51:52], 3, v[94:95]
	s_waitcnt vmcnt(9)
	scratch_store_b128 off, v[1:4], off
	v_lshlrev_b64 v[1:2], 3, v[37:38]
	s_clause 0x3
	global_load_b64 v[73:74], v[45:46], off
	global_load_b64 v[75:76], v[43:44], off
	global_load_b64 v[77:78], v[41:42], off
	global_load_b64 v[79:80], v[35:36], off
	v_lshlrev_b64 v[3:4], 3, v[47:48]
	v_lshlrev_b64 v[37:38], 3, v[49:50]
	v_lshlrev_b64 v[47:48], 3, v[61:62]
	v_lshlrev_b64 v[49:50], 3, v[63:64]
	v_add_co_u32 v1, vcc_lo, s2, v1
	v_add_co_ci_u32_e32 v2, vcc_lo, s3, v2, vcc_lo
	v_add_co_u32 v3, vcc_lo, s2, v3
	v_add_co_ci_u32_e32 v4, vcc_lo, s3, v4, vcc_lo
	;; [unrolled: 2-line block ×4, first 2 shown]
	s_waitcnt vmcnt(11)
	scratch_store_b128 off, v[9:12], off offset:16
	s_clause 0x1
	global_load_b64 v[81:82], v[1:2], off
	global_load_b64 v[83:84], v[3:4], off
	s_waitcnt vmcnt(11)
	scratch_store_b128 off, v[5:8], off offset:32
	s_clause 0x1
	global_load_b64 v[85:86], v[37:38], off
	global_load_b64 v[87:88], v[39:40], off
	v_lshlrev_b64 v[5:6], 3, v[53:54]
	v_lshlrev_b64 v[7:8], 3, v[55:56]
	;; [unrolled: 1-line block ×5, first 2 shown]
	s_waitcnt vmcnt(11)
	scratch_store_b128 off, v[65:68], off offset:48
	s_waitcnt vmcnt(9)
	scratch_store_b128 off, v[69:72], off offset:64
	v_add_co_u32 v5, vcc_lo, s2, v5
	v_add_co_ci_u32_e32 v6, vcc_lo, s3, v6, vcc_lo
	v_add_co_u32 v7, vcc_lo, s2, v7
	v_add_co_ci_u32_e32 v8, vcc_lo, s3, v8, vcc_lo
	v_add_co_u32 v9, vcc_lo, s2, v9
	v_add_co_ci_u32_e32 v10, vcc_lo, s3, v10, vcc_lo
	v_add_co_u32 v11, vcc_lo, s2, v11
	v_add_co_ci_u32_e32 v12, vcc_lo, s3, v12, vcc_lo
	s_clause 0x3
	global_load_b64 v[69:70], v[5:6], off
	global_load_b64 v[71:72], v[7:8], off
	;; [unrolled: 1-line block ×4, first 2 shown]
	v_add_co_u32 v47, vcc_lo, s2, v47
	v_add_co_ci_u32_e32 v48, vcc_lo, s3, v48, vcc_lo
	v_add_co_u32 v49, vcc_lo, s2, v49
	v_add_co_ci_u32_e32 v50, vcc_lo, s3, v50, vcc_lo
	v_add_co_u32 v51, vcc_lo, s2, v51
	v_add_co_ci_u32_e32 v52, vcc_lo, s3, v52, vcc_lo
	v_add_co_u32 v53, vcc_lo, s2, v53
	v_add_co_ci_u32_e32 v54, vcc_lo, s3, v54, vcc_lo
	v_lshlrev_b64 v[55:56], 3, v[98:99]
	v_lshlrev_b64 v[57:58], 3, v[100:101]
	v_lshlrev_b64 v[59:60], 3, v[102:103]
	v_lshlrev_b64 v[61:62], 3, v[104:105]
	v_lshlrev_b64 v[63:64], 3, v[106:107]
	v_lshlrev_b64 v[65:66], 3, v[108:109]
	v_add_co_u32 v55, vcc_lo, s2, v55
	v_add_co_ci_u32_e32 v56, vcc_lo, s3, v56, vcc_lo
	v_add_co_u32 v57, vcc_lo, s2, v57
	v_add_co_ci_u32_e32 v58, vcc_lo, s3, v58, vcc_lo
	;; [unrolled: 2-line block ×4, first 2 shown]
	v_add_co_u32 v63, vcc_lo, s2, v63
	v_lshlrev_b64 v[67:68], 3, v[110:111]
	v_add_co_ci_u32_e32 v64, vcc_lo, s3, v64, vcc_lo
	v_add_co_u32 v65, vcc_lo, s2, v65
	v_add_co_ci_u32_e32 v66, vcc_lo, s3, v66, vcc_lo
	s_delay_alu instid0(VALU_DEP_4)
	v_add_co_u32 v67, vcc_lo, s2, v67
	v_add_co_ci_u32_e32 v68, vcc_lo, s3, v68, vcc_lo
	s_waitcnt vmcnt(10)
	scratch_store_b128 off, v[73:76], off offset:80
	s_waitcnt vmcnt(8)
	scratch_store_b128 off, v[77:80], off offset:96
	s_clause 0x3
	global_load_b64 v[77:78], v[47:48], off
	global_load_b64 v[79:80], v[49:50], off
	;; [unrolled: 1-line block ×4, first 2 shown]
	v_lshlrev_b64 v[73:74], 3, v[112:113]
	v_lshlrev_b64 v[75:76], 3, v[114:115]
	s_waitcnt vmcnt(10)
	scratch_store_b128 off, v[81:84], off offset:112
	s_clause 0x1
	global_load_b64 v[98:99], v[55:56], off
	global_load_b64 v[100:101], v[57:58], off
	s_waitcnt vmcnt(10)
	scratch_store_b128 off, v[85:88], off offset:128
	s_clause 0x1
	global_load_b64 v[102:103], v[59:60], off
	global_load_b64 v[104:105], v[61:62], off
	v_lshlrev_b64 v[81:82], 3, v[120:121]
	v_lshlrev_b64 v[83:84], 3, v[122:123]
	;; [unrolled: 1-line block ×3, first 2 shown]
	v_mov_b32_e32 v87, 0
	v_mov_b32_e32 v88, 0xbff00000
	s_waitcnt vmcnt(10)
	scratch_store_b128 off, v[69:72], off offset:144
	s_waitcnt vmcnt(8)
	scratch_store_b128 off, v[90:93], off offset:160
	v_add_co_u32 v69, vcc_lo, s2, v73
	v_add_co_ci_u32_e32 v70, vcc_lo, s3, v74, vcc_lo
	v_lshlrev_b64 v[73:74], 3, v[116:117]
	v_add_co_u32 v71, vcc_lo, s2, v75
	v_add_co_ci_u32_e32 v72, vcc_lo, s3, v76, vcc_lo
	v_lshlrev_b64 v[75:76], 3, v[118:119]
	s_delay_alu instid0(VALU_DEP_4)
	v_add_co_u32 v73, vcc_lo, s2, v73
	v_add_co_ci_u32_e32 v74, vcc_lo, s3, v74, vcc_lo
	s_clause 0x2
	global_load_b64 v[90:91], v[63:64], off
	global_load_b64 v[92:93], v[65:66], off
	;; [unrolled: 1-line block ×3, first 2 shown]
	v_add_co_u32 v75, vcc_lo, s2, v75
	v_add_co_ci_u32_e32 v76, vcc_lo, s3, v76, vcc_lo
	s_waitcnt vmcnt(9)
	scratch_store_b128 off, v[77:80], off offset:176
	s_waitcnt vmcnt(7)
	scratch_store_b128 off, v[94:97], off offset:192
	v_add_co_u32 v77, vcc_lo, s2, v81
	v_add_co_ci_u32_e32 v78, vcc_lo, s3, v82, vcc_lo
	v_lshlrev_b64 v[81:82], 3, v[124:125]
	v_add_co_u32 v79, vcc_lo, s2, v83
	v_add_co_ci_u32_e32 v80, vcc_lo, s3, v84, vcc_lo
	v_lshlrev_b64 v[83:84], 3, v[126:127]
	s_delay_alu instid0(VALU_DEP_4)
	v_add_co_u32 v81, vcc_lo, s2, v81
	v_add_co_ci_u32_e32 v82, vcc_lo, s3, v82, vcc_lo
	s_clause 0x3
	global_load_b64 v[108:109], v[69:70], off
	global_load_b64 v[94:95], v[71:72], off
	;; [unrolled: 1-line block ×4, first 2 shown]
	v_add_co_u32 v83, vcc_lo, s2, v83
	v_add_co_ci_u32_e32 v84, vcc_lo, s3, v84, vcc_lo
	v_add_co_u32 v85, vcc_lo, s2, v85
	v_add_co_ci_u32_e32 v86, vcc_lo, s3, v86, vcc_lo
	s_waitcnt vmcnt(9)
	scratch_store_b128 off, v[98:101], off offset:208
	s_clause 0x2
	global_load_b64 v[112:113], v[77:78], off
	global_load_b64 v[98:99], v[79:80], off
	;; [unrolled: 1-line block ×3, first 2 shown]
	s_waitcnt vmcnt(10)
	scratch_store_b128 off, v[102:105], off offset:224
	s_clause 0x1
	global_load_b64 v[104:105], v[85:86], off
	global_load_b64 v[102:103], v[83:84], off
	s_cselect_b32 s3, -1, 0
	s_cmpk_eq_i32 s1, 0x84
	s_waitcnt vmcnt(10)
	scratch_store_b128 off, v[90:93], off offset:240
	s_waitcnt vmcnt(8)
	scratch_store_b128 off, v[106:109], off offset:256
	;; [unrolled: 2-line block ×5, first 2 shown]
	s_waitcnt vmcnt(0)
	s_clause 0x1
	scratch_store_b128 off, v[102:105], off offset:320
	scratch_store_b64 off, v[130:131], off offset:336
	s_cbranch_scc1 .LBB42_3
; %bb.2:
	scratch_load_b64 v[87:88], v89, off
	s_waitcnt vmcnt(0)
	v_div_scale_f64 v[90:91], null, v[87:88], v[87:88], 1.0
	v_div_scale_f64 v[96:97], vcc_lo, 1.0, v[87:88], 1.0
	s_delay_alu instid0(VALU_DEP_2) | instskip(SKIP_2) | instid1(VALU_DEP_1)
	v_rcp_f64_e32 v[92:93], v[90:91]
	s_waitcnt_depctr 0xfff
	v_fma_f64 v[94:95], -v[90:91], v[92:93], 1.0
	v_fma_f64 v[92:93], v[92:93], v[94:95], v[92:93]
	s_delay_alu instid0(VALU_DEP_1) | instskip(NEXT) | instid1(VALU_DEP_1)
	v_fma_f64 v[94:95], -v[90:91], v[92:93], 1.0
	v_fma_f64 v[92:93], v[92:93], v[94:95], v[92:93]
	s_delay_alu instid0(VALU_DEP_1) | instskip(NEXT) | instid1(VALU_DEP_1)
	v_mul_f64 v[94:95], v[96:97], v[92:93]
	v_fma_f64 v[90:91], -v[90:91], v[94:95], v[96:97]
	s_delay_alu instid0(VALU_DEP_1) | instskip(NEXT) | instid1(VALU_DEP_1)
	v_div_fmas_f64 v[90:91], v[90:91], v[92:93], v[94:95]
	v_div_fixup_f64 v[87:88], v[90:91], v[87:88], 1.0
	scratch_store_b64 v89, v[87:88], off
	v_xor_b32_e32 v88, 0x80000000, v88
.LBB42_3:
	v_add_nc_u32_e32 v90, 0x160, v89
	v_add_nc_u32_e32 v91, 0, v89
	s_cmpk_eq_i32 s0, 0x79
	s_mov_b32 s0, -1
	ds_store_b64 v89, v[87:88]
	s_cbranch_scc1 .LBB42_419
; %bb.4:
	scratch_load_b64 v[87:88], off, off offset:328
	v_cmp_eq_u32_e64 s0, 42, v0
	s_movk_i32 s1, 0x50
	s_movk_i32 s2, 0x60
	;; [unrolled: 1-line block ×16, first 2 shown]
	s_waitcnt vmcnt(0)
	ds_store_b64 v90, v[87:88]
	s_waitcnt lgkmcnt(0)
	s_waitcnt_vscnt null, 0x0
	s_barrier
	buffer_gl0_inv
	s_and_saveexec_b32 s18, s0
	s_cbranch_execz .LBB42_10
; %bb.5:
	s_and_b32 vcc_lo, exec_lo, s3
	s_cbranch_vccz .LBB42_7
; %bb.6:
	scratch_load_b64 v[87:88], v91, off
	ds_load_b64 v[92:93], v90
	s_waitcnt vmcnt(0) lgkmcnt(0)
	v_mul_f64 v[87:88], v[87:88], v[92:93]
	s_cbranch_execz .LBB42_8
	s_branch .LBB42_9
.LBB42_7:
                                        ; implicit-def: $vgpr87_vgpr88
.LBB42_8:
	ds_load_b64 v[87:88], v90
.LBB42_9:
	v_mov_b32_e32 v92, 0
	ds_load_b64 v[92:93], v92 offset:328
	s_waitcnt lgkmcnt(0)
	v_mul_f64 v[87:88], v[87:88], v[92:93]
	scratch_store_b64 off, v[87:88], off offset:328
.LBB42_10:
	s_or_b32 exec_lo, exec_lo, s18
	scratch_load_b64 v[87:88], off, off offset:320
	v_add_nc_u32_e64 v92, 0, 16
	v_add_nc_u32_e64 v93, 0, 32
	;; [unrolled: 1-line block ×20, first 2 shown]
	v_cmp_lt_u32_e64 s2, 40, v0
	s_waitcnt vmcnt(0)
	ds_store_b64 v90, v[87:88]
	s_waitcnt lgkmcnt(0)
	s_waitcnt_vscnt null, 0x0
	s_barrier
	buffer_gl0_inv
	s_and_saveexec_b32 s1, s2
	s_cbranch_execz .LBB42_18
; %bb.11:
	s_and_not1_b32 vcc_lo, exec_lo, s3
	s_cbranch_vccnz .LBB42_13
; %bb.12:
	scratch_load_b64 v[87:88], v91, off
	ds_load_b64 v[112:113], v90
	s_waitcnt vmcnt(0) lgkmcnt(0)
	v_mul_f64 v[87:88], v[87:88], v[112:113]
	s_cbranch_execz .LBB42_14
	s_branch .LBB42_15
.LBB42_13:
                                        ; implicit-def: $vgpr87_vgpr88
.LBB42_14:
	ds_load_b64 v[87:88], v90
.LBB42_15:
	s_and_saveexec_b32 s4, s0
	s_cbranch_execz .LBB42_17
; %bb.16:
	scratch_load_b64 v[112:113], off, off offset:328
	v_mov_b32_e32 v114, 0
	ds_load_b64 v[114:115], v114 offset:680
	s_waitcnt vmcnt(0) lgkmcnt(0)
	v_fma_f64 v[87:88], v[112:113], v[114:115], v[87:88]
.LBB42_17:
	s_or_b32 exec_lo, exec_lo, s4
	v_mov_b32_e32 v112, 0
	ds_load_b64 v[112:113], v112 offset:320
	s_waitcnt lgkmcnt(0)
	v_mul_f64 v[87:88], v[87:88], v[112:113]
	scratch_store_b64 off, v[87:88], off offset:320
.LBB42_18:
	s_or_b32 exec_lo, exec_lo, s1
	scratch_load_b64 v[87:88], off, off offset:312
	v_cmp_lt_u32_e64 s1, 39, v0
	s_waitcnt vmcnt(0)
	ds_store_b64 v90, v[87:88]
	s_waitcnt lgkmcnt(0)
	s_waitcnt_vscnt null, 0x0
	s_barrier
	buffer_gl0_inv
	s_and_saveexec_b32 s0, s1
	s_cbranch_execz .LBB42_28
; %bb.19:
	s_and_not1_b32 vcc_lo, exec_lo, s3
	s_cbranch_vccnz .LBB42_21
; %bb.20:
	scratch_load_b64 v[87:88], v91, off
	ds_load_b64 v[112:113], v90
	s_waitcnt vmcnt(0) lgkmcnt(0)
	v_mul_f64 v[87:88], v[87:88], v[112:113]
	s_cbranch_execz .LBB42_22
	s_branch .LBB42_23
.LBB42_21:
                                        ; implicit-def: $vgpr87_vgpr88
.LBB42_22:
	ds_load_b64 v[87:88], v90
.LBB42_23:
	s_and_saveexec_b32 s4, s2
	s_cbranch_execz .LBB42_27
; %bb.24:
	v_subrev_nc_u32_e32 v112, 40, v0
	s_movk_i32 s5, 0x2a0
	s_mov_b32 s2, 0
.LBB42_25:                              ; =>This Inner Loop Header: Depth=1
	scratch_load_b64 v[113:114], v111, off
	v_dual_mov_b32 v115, s5 :: v_dual_add_nc_u32 v112, -1, v112
	v_add_nc_u32_e32 v111, 8, v111
	s_add_i32 s5, s5, 8
	ds_load_b64 v[115:116], v115
	v_cmp_eq_u32_e32 vcc_lo, 0, v112
	s_or_b32 s2, vcc_lo, s2
	s_waitcnt vmcnt(0) lgkmcnt(0)
	v_fma_f64 v[87:88], v[113:114], v[115:116], v[87:88]
	s_and_not1_b32 exec_lo, exec_lo, s2
	s_cbranch_execnz .LBB42_25
; %bb.26:
	s_or_b32 exec_lo, exec_lo, s2
.LBB42_27:
	s_delay_alu instid0(SALU_CYCLE_1)
	s_or_b32 exec_lo, exec_lo, s4
	v_mov_b32_e32 v111, 0
	ds_load_b64 v[111:112], v111 offset:312
	s_waitcnt lgkmcnt(0)
	v_mul_f64 v[87:88], v[87:88], v[111:112]
	scratch_store_b64 off, v[87:88], off offset:312
.LBB42_28:
	s_or_b32 exec_lo, exec_lo, s0
	scratch_load_b64 v[87:88], off, off offset:304
	v_cmp_lt_u32_e64 s0, 38, v0
	s_waitcnt vmcnt(0)
	ds_store_b64 v90, v[87:88]
	s_waitcnt lgkmcnt(0)
	s_waitcnt_vscnt null, 0x0
	s_barrier
	buffer_gl0_inv
	s_and_saveexec_b32 s2, s0
	s_cbranch_execz .LBB42_38
; %bb.29:
	s_and_not1_b32 vcc_lo, exec_lo, s3
	s_cbranch_vccnz .LBB42_31
; %bb.30:
	scratch_load_b64 v[87:88], v91, off
	ds_load_b64 v[111:112], v90
	s_waitcnt vmcnt(0) lgkmcnt(0)
	v_mul_f64 v[87:88], v[87:88], v[111:112]
	s_cbranch_execz .LBB42_32
	s_branch .LBB42_33
.LBB42_31:
                                        ; implicit-def: $vgpr87_vgpr88
.LBB42_32:
	ds_load_b64 v[87:88], v90
.LBB42_33:
	s_and_saveexec_b32 s4, s1
	s_cbranch_execz .LBB42_37
; %bb.34:
	v_mov_b32_e32 v111, 0
	v_subrev_nc_u32_e32 v112, 39, v0
	s_movk_i32 s5, 0x298
	s_mov_b32 s1, 0
	s_delay_alu instid0(VALU_DEP_2)
	v_add_nc_u32_e32 v111, 0x138, v111
.LBB42_35:                              ; =>This Inner Loop Header: Depth=1
	scratch_load_b64 v[113:114], v111, off
	v_dual_mov_b32 v115, s5 :: v_dual_add_nc_u32 v112, -1, v112
	v_add_nc_u32_e32 v111, 8, v111
	s_add_i32 s5, s5, 8
	ds_load_b64 v[115:116], v115
	v_cmp_eq_u32_e32 vcc_lo, 0, v112
	s_or_b32 s1, vcc_lo, s1
	s_waitcnt vmcnt(0) lgkmcnt(0)
	v_fma_f64 v[87:88], v[113:114], v[115:116], v[87:88]
	s_and_not1_b32 exec_lo, exec_lo, s1
	s_cbranch_execnz .LBB42_35
; %bb.36:
	s_or_b32 exec_lo, exec_lo, s1
.LBB42_37:
	s_delay_alu instid0(SALU_CYCLE_1)
	s_or_b32 exec_lo, exec_lo, s4
	v_mov_b32_e32 v111, 0
	ds_load_b64 v[111:112], v111 offset:304
	s_waitcnt lgkmcnt(0)
	v_mul_f64 v[87:88], v[87:88], v[111:112]
	scratch_store_b64 off, v[87:88], off offset:304
.LBB42_38:
	s_or_b32 exec_lo, exec_lo, s2
	scratch_load_b64 v[87:88], off, off offset:296
	v_cmp_lt_u32_e64 s1, 37, v0
	s_waitcnt vmcnt(0)
	ds_store_b64 v90, v[87:88]
	s_waitcnt lgkmcnt(0)
	s_waitcnt_vscnt null, 0x0
	s_barrier
	buffer_gl0_inv
	s_and_saveexec_b32 s2, s1
	s_cbranch_execz .LBB42_48
; %bb.39:
	s_and_not1_b32 vcc_lo, exec_lo, s3
	s_cbranch_vccnz .LBB42_41
; %bb.40:
	scratch_load_b64 v[87:88], v91, off
	ds_load_b64 v[111:112], v90
	s_waitcnt vmcnt(0) lgkmcnt(0)
	v_mul_f64 v[87:88], v[87:88], v[111:112]
	s_cbranch_execz .LBB42_42
	s_branch .LBB42_43
.LBB42_41:
                                        ; implicit-def: $vgpr87_vgpr88
.LBB42_42:
	ds_load_b64 v[87:88], v90
.LBB42_43:
	s_and_saveexec_b32 s4, s0
	s_cbranch_execz .LBB42_47
; %bb.44:
	v_subrev_nc_u32_e32 v111, 38, v0
	s_movk_i32 s5, 0x290
	s_mov_b32 s0, 0
.LBB42_45:                              ; =>This Inner Loop Header: Depth=1
	scratch_load_b64 v[112:113], v110, off
	v_dual_mov_b32 v114, s5 :: v_dual_add_nc_u32 v111, -1, v111
	v_add_nc_u32_e32 v110, 8, v110
	s_add_i32 s5, s5, 8
	ds_load_b64 v[114:115], v114
	v_cmp_eq_u32_e32 vcc_lo, 0, v111
	s_or_b32 s0, vcc_lo, s0
	s_waitcnt vmcnt(0) lgkmcnt(0)
	v_fma_f64 v[87:88], v[112:113], v[114:115], v[87:88]
	s_and_not1_b32 exec_lo, exec_lo, s0
	s_cbranch_execnz .LBB42_45
; %bb.46:
	s_or_b32 exec_lo, exec_lo, s0
.LBB42_47:
	s_delay_alu instid0(SALU_CYCLE_1)
	s_or_b32 exec_lo, exec_lo, s4
	v_mov_b32_e32 v110, 0
	ds_load_b64 v[110:111], v110 offset:296
	s_waitcnt lgkmcnt(0)
	v_mul_f64 v[87:88], v[87:88], v[110:111]
	scratch_store_b64 off, v[87:88], off offset:296
.LBB42_48:
	s_or_b32 exec_lo, exec_lo, s2
	scratch_load_b64 v[87:88], off, off offset:288
	v_cmp_lt_u32_e64 s0, 36, v0
	s_waitcnt vmcnt(0)
	ds_store_b64 v90, v[87:88]
	s_waitcnt lgkmcnt(0)
	s_waitcnt_vscnt null, 0x0
	s_barrier
	buffer_gl0_inv
	s_and_saveexec_b32 s2, s0
	s_cbranch_execz .LBB42_58
; %bb.49:
	s_and_not1_b32 vcc_lo, exec_lo, s3
	s_cbranch_vccnz .LBB42_51
; %bb.50:
	scratch_load_b64 v[87:88], v91, off
	ds_load_b64 v[110:111], v90
	s_waitcnt vmcnt(0) lgkmcnt(0)
	v_mul_f64 v[87:88], v[87:88], v[110:111]
	s_cbranch_execz .LBB42_52
	s_branch .LBB42_53
.LBB42_51:
                                        ; implicit-def: $vgpr87_vgpr88
.LBB42_52:
	ds_load_b64 v[87:88], v90
.LBB42_53:
	s_and_saveexec_b32 s4, s1
	s_cbranch_execz .LBB42_57
; %bb.54:
	v_mov_b32_e32 v110, 0
	v_subrev_nc_u32_e32 v111, 37, v0
	s_movk_i32 s5, 0x288
	s_mov_b32 s1, 0
	s_delay_alu instid0(VALU_DEP_2)
	v_add_nc_u32_e32 v110, 0x128, v110
.LBB42_55:                              ; =>This Inner Loop Header: Depth=1
	scratch_load_b64 v[112:113], v110, off
	v_dual_mov_b32 v114, s5 :: v_dual_add_nc_u32 v111, -1, v111
	v_add_nc_u32_e32 v110, 8, v110
	s_add_i32 s5, s5, 8
	ds_load_b64 v[114:115], v114
	v_cmp_eq_u32_e32 vcc_lo, 0, v111
	s_or_b32 s1, vcc_lo, s1
	s_waitcnt vmcnt(0) lgkmcnt(0)
	v_fma_f64 v[87:88], v[112:113], v[114:115], v[87:88]
	s_and_not1_b32 exec_lo, exec_lo, s1
	s_cbranch_execnz .LBB42_55
; %bb.56:
	s_or_b32 exec_lo, exec_lo, s1
.LBB42_57:
	s_delay_alu instid0(SALU_CYCLE_1)
	s_or_b32 exec_lo, exec_lo, s4
	v_mov_b32_e32 v110, 0
	ds_load_b64 v[110:111], v110 offset:288
	s_waitcnt lgkmcnt(0)
	v_mul_f64 v[87:88], v[87:88], v[110:111]
	scratch_store_b64 off, v[87:88], off offset:288
.LBB42_58:
	s_or_b32 exec_lo, exec_lo, s2
	scratch_load_b64 v[87:88], off, off offset:280
	v_cmp_lt_u32_e64 s1, 35, v0
	s_waitcnt vmcnt(0)
	ds_store_b64 v90, v[87:88]
	s_waitcnt lgkmcnt(0)
	s_waitcnt_vscnt null, 0x0
	s_barrier
	buffer_gl0_inv
	s_and_saveexec_b32 s2, s1
	s_cbranch_execz .LBB42_68
; %bb.59:
	s_and_not1_b32 vcc_lo, exec_lo, s3
	s_cbranch_vccnz .LBB42_61
; %bb.60:
	scratch_load_b64 v[87:88], v91, off
	ds_load_b64 v[110:111], v90
	s_waitcnt vmcnt(0) lgkmcnt(0)
	v_mul_f64 v[87:88], v[87:88], v[110:111]
	s_cbranch_execz .LBB42_62
	s_branch .LBB42_63
.LBB42_61:
                                        ; implicit-def: $vgpr87_vgpr88
.LBB42_62:
	ds_load_b64 v[87:88], v90
.LBB42_63:
	s_and_saveexec_b32 s4, s0
	s_cbranch_execz .LBB42_67
; %bb.64:
	v_subrev_nc_u32_e32 v110, 36, v0
	s_movk_i32 s5, 0x280
	s_mov_b32 s0, 0
.LBB42_65:                              ; =>This Inner Loop Header: Depth=1
	scratch_load_b64 v[111:112], v109, off
	v_dual_mov_b32 v113, s5 :: v_dual_add_nc_u32 v110, -1, v110
	v_add_nc_u32_e32 v109, 8, v109
	s_add_i32 s5, s5, 8
	ds_load_b64 v[113:114], v113
	v_cmp_eq_u32_e32 vcc_lo, 0, v110
	s_or_b32 s0, vcc_lo, s0
	s_waitcnt vmcnt(0) lgkmcnt(0)
	v_fma_f64 v[87:88], v[111:112], v[113:114], v[87:88]
	s_and_not1_b32 exec_lo, exec_lo, s0
	s_cbranch_execnz .LBB42_65
; %bb.66:
	s_or_b32 exec_lo, exec_lo, s0
.LBB42_67:
	s_delay_alu instid0(SALU_CYCLE_1)
	s_or_b32 exec_lo, exec_lo, s4
	v_mov_b32_e32 v109, 0
	ds_load_b64 v[109:110], v109 offset:280
	s_waitcnt lgkmcnt(0)
	v_mul_f64 v[87:88], v[87:88], v[109:110]
	scratch_store_b64 off, v[87:88], off offset:280
.LBB42_68:
	s_or_b32 exec_lo, exec_lo, s2
	scratch_load_b64 v[87:88], off, off offset:272
	v_cmp_lt_u32_e64 s0, 34, v0
	s_waitcnt vmcnt(0)
	ds_store_b64 v90, v[87:88]
	s_waitcnt lgkmcnt(0)
	s_waitcnt_vscnt null, 0x0
	s_barrier
	buffer_gl0_inv
	s_and_saveexec_b32 s2, s0
	s_cbranch_execz .LBB42_78
; %bb.69:
	s_and_not1_b32 vcc_lo, exec_lo, s3
	s_cbranch_vccnz .LBB42_71
; %bb.70:
	scratch_load_b64 v[87:88], v91, off
	ds_load_b64 v[109:110], v90
	s_waitcnt vmcnt(0) lgkmcnt(0)
	v_mul_f64 v[87:88], v[87:88], v[109:110]
	s_cbranch_execz .LBB42_72
	s_branch .LBB42_73
.LBB42_71:
                                        ; implicit-def: $vgpr87_vgpr88
.LBB42_72:
	ds_load_b64 v[87:88], v90
.LBB42_73:
	s_and_saveexec_b32 s4, s1
	s_cbranch_execz .LBB42_77
; %bb.74:
	v_mov_b32_e32 v109, 0
	v_subrev_nc_u32_e32 v110, 35, v0
	s_movk_i32 s5, 0x278
	s_mov_b32 s1, 0
	s_delay_alu instid0(VALU_DEP_2)
	v_add_nc_u32_e32 v109, 0x118, v109
.LBB42_75:                              ; =>This Inner Loop Header: Depth=1
	scratch_load_b64 v[111:112], v109, off
	v_dual_mov_b32 v113, s5 :: v_dual_add_nc_u32 v110, -1, v110
	v_add_nc_u32_e32 v109, 8, v109
	s_add_i32 s5, s5, 8
	ds_load_b64 v[113:114], v113
	v_cmp_eq_u32_e32 vcc_lo, 0, v110
	s_or_b32 s1, vcc_lo, s1
	s_waitcnt vmcnt(0) lgkmcnt(0)
	v_fma_f64 v[87:88], v[111:112], v[113:114], v[87:88]
	s_and_not1_b32 exec_lo, exec_lo, s1
	s_cbranch_execnz .LBB42_75
; %bb.76:
	s_or_b32 exec_lo, exec_lo, s1
.LBB42_77:
	s_delay_alu instid0(SALU_CYCLE_1)
	s_or_b32 exec_lo, exec_lo, s4
	v_mov_b32_e32 v109, 0
	ds_load_b64 v[109:110], v109 offset:272
	s_waitcnt lgkmcnt(0)
	v_mul_f64 v[87:88], v[87:88], v[109:110]
	scratch_store_b64 off, v[87:88], off offset:272
.LBB42_78:
	s_or_b32 exec_lo, exec_lo, s2
	scratch_load_b64 v[87:88], off, off offset:264
	v_cmp_lt_u32_e64 s1, 33, v0
	s_waitcnt vmcnt(0)
	ds_store_b64 v90, v[87:88]
	s_waitcnt lgkmcnt(0)
	s_waitcnt_vscnt null, 0x0
	s_barrier
	buffer_gl0_inv
	s_and_saveexec_b32 s2, s1
	s_cbranch_execz .LBB42_88
; %bb.79:
	s_and_not1_b32 vcc_lo, exec_lo, s3
	s_cbranch_vccnz .LBB42_81
; %bb.80:
	scratch_load_b64 v[87:88], v91, off
	ds_load_b64 v[109:110], v90
	s_waitcnt vmcnt(0) lgkmcnt(0)
	v_mul_f64 v[87:88], v[87:88], v[109:110]
	s_cbranch_execz .LBB42_82
	s_branch .LBB42_83
.LBB42_81:
                                        ; implicit-def: $vgpr87_vgpr88
.LBB42_82:
	ds_load_b64 v[87:88], v90
.LBB42_83:
	s_and_saveexec_b32 s4, s0
	s_cbranch_execz .LBB42_87
; %bb.84:
	v_subrev_nc_u32_e32 v109, 34, v0
	s_movk_i32 s5, 0x270
	s_mov_b32 s0, 0
.LBB42_85:                              ; =>This Inner Loop Header: Depth=1
	scratch_load_b64 v[110:111], v108, off
	v_dual_mov_b32 v112, s5 :: v_dual_add_nc_u32 v109, -1, v109
	v_add_nc_u32_e32 v108, 8, v108
	s_add_i32 s5, s5, 8
	ds_load_b64 v[112:113], v112
	v_cmp_eq_u32_e32 vcc_lo, 0, v109
	s_or_b32 s0, vcc_lo, s0
	s_waitcnt vmcnt(0) lgkmcnt(0)
	v_fma_f64 v[87:88], v[110:111], v[112:113], v[87:88]
	s_and_not1_b32 exec_lo, exec_lo, s0
	s_cbranch_execnz .LBB42_85
; %bb.86:
	s_or_b32 exec_lo, exec_lo, s0
.LBB42_87:
	s_delay_alu instid0(SALU_CYCLE_1)
	s_or_b32 exec_lo, exec_lo, s4
	v_mov_b32_e32 v108, 0
	ds_load_b64 v[108:109], v108 offset:264
	s_waitcnt lgkmcnt(0)
	v_mul_f64 v[87:88], v[87:88], v[108:109]
	scratch_store_b64 off, v[87:88], off offset:264
.LBB42_88:
	s_or_b32 exec_lo, exec_lo, s2
	scratch_load_b64 v[87:88], off, off offset:256
	v_cmp_lt_u32_e64 s0, 32, v0
	s_waitcnt vmcnt(0)
	ds_store_b64 v90, v[87:88]
	s_waitcnt lgkmcnt(0)
	s_waitcnt_vscnt null, 0x0
	s_barrier
	buffer_gl0_inv
	s_and_saveexec_b32 s2, s0
	s_cbranch_execz .LBB42_98
; %bb.89:
	s_and_not1_b32 vcc_lo, exec_lo, s3
	s_cbranch_vccnz .LBB42_91
; %bb.90:
	scratch_load_b64 v[87:88], v91, off
	ds_load_b64 v[108:109], v90
	s_waitcnt vmcnt(0) lgkmcnt(0)
	v_mul_f64 v[87:88], v[87:88], v[108:109]
	s_cbranch_execz .LBB42_92
	s_branch .LBB42_93
.LBB42_91:
                                        ; implicit-def: $vgpr87_vgpr88
.LBB42_92:
	ds_load_b64 v[87:88], v90
.LBB42_93:
	s_and_saveexec_b32 s4, s1
	s_cbranch_execz .LBB42_97
; %bb.94:
	v_mov_b32_e32 v108, 0
	v_subrev_nc_u32_e32 v109, 33, v0
	s_movk_i32 s5, 0x268
	s_mov_b32 s1, 0
	s_delay_alu instid0(VALU_DEP_2)
	v_add_nc_u32_e32 v108, 0x108, v108
.LBB42_95:                              ; =>This Inner Loop Header: Depth=1
	scratch_load_b64 v[110:111], v108, off
	v_dual_mov_b32 v112, s5 :: v_dual_add_nc_u32 v109, -1, v109
	v_add_nc_u32_e32 v108, 8, v108
	s_add_i32 s5, s5, 8
	ds_load_b64 v[112:113], v112
	v_cmp_eq_u32_e32 vcc_lo, 0, v109
	s_or_b32 s1, vcc_lo, s1
	s_waitcnt vmcnt(0) lgkmcnt(0)
	v_fma_f64 v[87:88], v[110:111], v[112:113], v[87:88]
	s_and_not1_b32 exec_lo, exec_lo, s1
	s_cbranch_execnz .LBB42_95
; %bb.96:
	s_or_b32 exec_lo, exec_lo, s1
.LBB42_97:
	s_delay_alu instid0(SALU_CYCLE_1)
	s_or_b32 exec_lo, exec_lo, s4
	v_mov_b32_e32 v108, 0
	ds_load_b64 v[108:109], v108 offset:256
	s_waitcnt lgkmcnt(0)
	v_mul_f64 v[87:88], v[87:88], v[108:109]
	scratch_store_b64 off, v[87:88], off offset:256
.LBB42_98:
	s_or_b32 exec_lo, exec_lo, s2
	scratch_load_b64 v[87:88], off, off offset:248
	v_cmp_lt_u32_e64 s1, 31, v0
	s_waitcnt vmcnt(0)
	ds_store_b64 v90, v[87:88]
	s_waitcnt lgkmcnt(0)
	s_waitcnt_vscnt null, 0x0
	s_barrier
	buffer_gl0_inv
	s_and_saveexec_b32 s2, s1
	s_cbranch_execz .LBB42_108
; %bb.99:
	s_and_not1_b32 vcc_lo, exec_lo, s3
	s_cbranch_vccnz .LBB42_101
; %bb.100:
	scratch_load_b64 v[87:88], v91, off
	ds_load_b64 v[108:109], v90
	s_waitcnt vmcnt(0) lgkmcnt(0)
	v_mul_f64 v[87:88], v[87:88], v[108:109]
	s_cbranch_execz .LBB42_102
	s_branch .LBB42_103
.LBB42_101:
                                        ; implicit-def: $vgpr87_vgpr88
.LBB42_102:
	ds_load_b64 v[87:88], v90
.LBB42_103:
	s_and_saveexec_b32 s4, s0
	s_cbranch_execz .LBB42_107
; %bb.104:
	v_subrev_nc_u32_e32 v108, 32, v0
	s_movk_i32 s5, 0x260
	s_mov_b32 s0, 0
.LBB42_105:                             ; =>This Inner Loop Header: Depth=1
	scratch_load_b64 v[109:110], v107, off
	v_dual_mov_b32 v111, s5 :: v_dual_add_nc_u32 v108, -1, v108
	v_add_nc_u32_e32 v107, 8, v107
	s_add_i32 s5, s5, 8
	ds_load_b64 v[111:112], v111
	v_cmp_eq_u32_e32 vcc_lo, 0, v108
	s_or_b32 s0, vcc_lo, s0
	s_waitcnt vmcnt(0) lgkmcnt(0)
	v_fma_f64 v[87:88], v[109:110], v[111:112], v[87:88]
	s_and_not1_b32 exec_lo, exec_lo, s0
	s_cbranch_execnz .LBB42_105
; %bb.106:
	s_or_b32 exec_lo, exec_lo, s0
.LBB42_107:
	s_delay_alu instid0(SALU_CYCLE_1)
	s_or_b32 exec_lo, exec_lo, s4
	v_mov_b32_e32 v107, 0
	ds_load_b64 v[107:108], v107 offset:248
	s_waitcnt lgkmcnt(0)
	v_mul_f64 v[87:88], v[87:88], v[107:108]
	scratch_store_b64 off, v[87:88], off offset:248
.LBB42_108:
	s_or_b32 exec_lo, exec_lo, s2
	scratch_load_b64 v[87:88], off, off offset:240
	v_cmp_lt_u32_e64 s0, 30, v0
	s_waitcnt vmcnt(0)
	ds_store_b64 v90, v[87:88]
	s_waitcnt lgkmcnt(0)
	s_waitcnt_vscnt null, 0x0
	s_barrier
	buffer_gl0_inv
	s_and_saveexec_b32 s2, s0
	s_cbranch_execz .LBB42_118
; %bb.109:
	s_and_not1_b32 vcc_lo, exec_lo, s3
	s_cbranch_vccnz .LBB42_111
; %bb.110:
	scratch_load_b64 v[87:88], v91, off
	ds_load_b64 v[107:108], v90
	s_waitcnt vmcnt(0) lgkmcnt(0)
	v_mul_f64 v[87:88], v[87:88], v[107:108]
	s_cbranch_execz .LBB42_112
	s_branch .LBB42_113
.LBB42_111:
                                        ; implicit-def: $vgpr87_vgpr88
.LBB42_112:
	ds_load_b64 v[87:88], v90
.LBB42_113:
	s_and_saveexec_b32 s4, s1
	s_cbranch_execz .LBB42_117
; %bb.114:
	v_mov_b32_e32 v107, 0
	v_subrev_nc_u32_e32 v108, 31, v0
	s_movk_i32 s5, 0x258
	s_mov_b32 s1, 0
	s_delay_alu instid0(VALU_DEP_2)
	v_add_nc_u32_e32 v107, 0xf8, v107
.LBB42_115:                             ; =>This Inner Loop Header: Depth=1
	scratch_load_b64 v[109:110], v107, off
	v_dual_mov_b32 v111, s5 :: v_dual_add_nc_u32 v108, -1, v108
	v_add_nc_u32_e32 v107, 8, v107
	s_add_i32 s5, s5, 8
	ds_load_b64 v[111:112], v111
	v_cmp_eq_u32_e32 vcc_lo, 0, v108
	s_or_b32 s1, vcc_lo, s1
	s_waitcnt vmcnt(0) lgkmcnt(0)
	v_fma_f64 v[87:88], v[109:110], v[111:112], v[87:88]
	s_and_not1_b32 exec_lo, exec_lo, s1
	s_cbranch_execnz .LBB42_115
; %bb.116:
	s_or_b32 exec_lo, exec_lo, s1
.LBB42_117:
	s_delay_alu instid0(SALU_CYCLE_1)
	s_or_b32 exec_lo, exec_lo, s4
	v_mov_b32_e32 v107, 0
	ds_load_b64 v[107:108], v107 offset:240
	s_waitcnt lgkmcnt(0)
	v_mul_f64 v[87:88], v[87:88], v[107:108]
	scratch_store_b64 off, v[87:88], off offset:240
.LBB42_118:
	s_or_b32 exec_lo, exec_lo, s2
	scratch_load_b64 v[87:88], off, off offset:232
	v_cmp_lt_u32_e64 s1, 29, v0
	s_waitcnt vmcnt(0)
	ds_store_b64 v90, v[87:88]
	s_waitcnt lgkmcnt(0)
	s_waitcnt_vscnt null, 0x0
	s_barrier
	buffer_gl0_inv
	s_and_saveexec_b32 s2, s1
	s_cbranch_execz .LBB42_128
; %bb.119:
	s_and_not1_b32 vcc_lo, exec_lo, s3
	s_cbranch_vccnz .LBB42_121
; %bb.120:
	scratch_load_b64 v[87:88], v91, off
	ds_load_b64 v[107:108], v90
	s_waitcnt vmcnt(0) lgkmcnt(0)
	v_mul_f64 v[87:88], v[87:88], v[107:108]
	s_cbranch_execz .LBB42_122
	s_branch .LBB42_123
.LBB42_121:
                                        ; implicit-def: $vgpr87_vgpr88
.LBB42_122:
	ds_load_b64 v[87:88], v90
.LBB42_123:
	s_and_saveexec_b32 s4, s0
	s_cbranch_execz .LBB42_127
; %bb.124:
	v_subrev_nc_u32_e32 v107, 30, v0
	s_movk_i32 s5, 0x250
	s_mov_b32 s0, 0
.LBB42_125:                             ; =>This Inner Loop Header: Depth=1
	scratch_load_b64 v[108:109], v106, off
	v_dual_mov_b32 v110, s5 :: v_dual_add_nc_u32 v107, -1, v107
	v_add_nc_u32_e32 v106, 8, v106
	s_add_i32 s5, s5, 8
	ds_load_b64 v[110:111], v110
	v_cmp_eq_u32_e32 vcc_lo, 0, v107
	s_or_b32 s0, vcc_lo, s0
	s_waitcnt vmcnt(0) lgkmcnt(0)
	v_fma_f64 v[87:88], v[108:109], v[110:111], v[87:88]
	s_and_not1_b32 exec_lo, exec_lo, s0
	s_cbranch_execnz .LBB42_125
; %bb.126:
	s_or_b32 exec_lo, exec_lo, s0
.LBB42_127:
	s_delay_alu instid0(SALU_CYCLE_1)
	s_or_b32 exec_lo, exec_lo, s4
	v_mov_b32_e32 v106, 0
	ds_load_b64 v[106:107], v106 offset:232
	s_waitcnt lgkmcnt(0)
	v_mul_f64 v[87:88], v[87:88], v[106:107]
	scratch_store_b64 off, v[87:88], off offset:232
.LBB42_128:
	s_or_b32 exec_lo, exec_lo, s2
	scratch_load_b64 v[87:88], off, off offset:224
	v_cmp_lt_u32_e64 s0, 28, v0
	s_waitcnt vmcnt(0)
	ds_store_b64 v90, v[87:88]
	s_waitcnt lgkmcnt(0)
	s_waitcnt_vscnt null, 0x0
	s_barrier
	buffer_gl0_inv
	s_and_saveexec_b32 s2, s0
	s_cbranch_execz .LBB42_138
; %bb.129:
	s_and_not1_b32 vcc_lo, exec_lo, s3
	s_cbranch_vccnz .LBB42_131
; %bb.130:
	scratch_load_b64 v[87:88], v91, off
	ds_load_b64 v[106:107], v90
	s_waitcnt vmcnt(0) lgkmcnt(0)
	v_mul_f64 v[87:88], v[87:88], v[106:107]
	s_cbranch_execz .LBB42_132
	s_branch .LBB42_133
.LBB42_131:
                                        ; implicit-def: $vgpr87_vgpr88
.LBB42_132:
	ds_load_b64 v[87:88], v90
.LBB42_133:
	s_and_saveexec_b32 s4, s1
	s_cbranch_execz .LBB42_137
; %bb.134:
	v_mov_b32_e32 v106, 0
	v_subrev_nc_u32_e32 v107, 29, v0
	s_movk_i32 s5, 0x248
	s_mov_b32 s1, 0
	s_delay_alu instid0(VALU_DEP_2)
	v_add_nc_u32_e32 v106, 0xe8, v106
.LBB42_135:                             ; =>This Inner Loop Header: Depth=1
	scratch_load_b64 v[108:109], v106, off
	v_dual_mov_b32 v110, s5 :: v_dual_add_nc_u32 v107, -1, v107
	v_add_nc_u32_e32 v106, 8, v106
	s_add_i32 s5, s5, 8
	ds_load_b64 v[110:111], v110
	v_cmp_eq_u32_e32 vcc_lo, 0, v107
	s_or_b32 s1, vcc_lo, s1
	s_waitcnt vmcnt(0) lgkmcnt(0)
	v_fma_f64 v[87:88], v[108:109], v[110:111], v[87:88]
	s_and_not1_b32 exec_lo, exec_lo, s1
	s_cbranch_execnz .LBB42_135
; %bb.136:
	s_or_b32 exec_lo, exec_lo, s1
.LBB42_137:
	s_delay_alu instid0(SALU_CYCLE_1)
	s_or_b32 exec_lo, exec_lo, s4
	v_mov_b32_e32 v106, 0
	ds_load_b64 v[106:107], v106 offset:224
	s_waitcnt lgkmcnt(0)
	v_mul_f64 v[87:88], v[87:88], v[106:107]
	scratch_store_b64 off, v[87:88], off offset:224
.LBB42_138:
	s_or_b32 exec_lo, exec_lo, s2
	scratch_load_b64 v[87:88], off, off offset:216
	v_cmp_lt_u32_e64 s1, 27, v0
	s_waitcnt vmcnt(0)
	ds_store_b64 v90, v[87:88]
	s_waitcnt lgkmcnt(0)
	s_waitcnt_vscnt null, 0x0
	s_barrier
	buffer_gl0_inv
	s_and_saveexec_b32 s2, s1
	s_cbranch_execz .LBB42_148
; %bb.139:
	s_and_not1_b32 vcc_lo, exec_lo, s3
	s_cbranch_vccnz .LBB42_141
; %bb.140:
	scratch_load_b64 v[87:88], v91, off
	ds_load_b64 v[106:107], v90
	s_waitcnt vmcnt(0) lgkmcnt(0)
	v_mul_f64 v[87:88], v[87:88], v[106:107]
	s_cbranch_execz .LBB42_142
	s_branch .LBB42_143
.LBB42_141:
                                        ; implicit-def: $vgpr87_vgpr88
.LBB42_142:
	ds_load_b64 v[87:88], v90
.LBB42_143:
	s_and_saveexec_b32 s4, s0
	s_cbranch_execz .LBB42_147
; %bb.144:
	v_subrev_nc_u32_e32 v106, 28, v0
	s_movk_i32 s5, 0x240
	s_mov_b32 s0, 0
.LBB42_145:                             ; =>This Inner Loop Header: Depth=1
	scratch_load_b64 v[107:108], v105, off
	v_dual_mov_b32 v109, s5 :: v_dual_add_nc_u32 v106, -1, v106
	v_add_nc_u32_e32 v105, 8, v105
	s_add_i32 s5, s5, 8
	ds_load_b64 v[109:110], v109
	v_cmp_eq_u32_e32 vcc_lo, 0, v106
	s_or_b32 s0, vcc_lo, s0
	s_waitcnt vmcnt(0) lgkmcnt(0)
	v_fma_f64 v[87:88], v[107:108], v[109:110], v[87:88]
	s_and_not1_b32 exec_lo, exec_lo, s0
	s_cbranch_execnz .LBB42_145
; %bb.146:
	s_or_b32 exec_lo, exec_lo, s0
.LBB42_147:
	s_delay_alu instid0(SALU_CYCLE_1)
	s_or_b32 exec_lo, exec_lo, s4
	v_mov_b32_e32 v105, 0
	ds_load_b64 v[105:106], v105 offset:216
	s_waitcnt lgkmcnt(0)
	v_mul_f64 v[87:88], v[87:88], v[105:106]
	scratch_store_b64 off, v[87:88], off offset:216
.LBB42_148:
	s_or_b32 exec_lo, exec_lo, s2
	scratch_load_b64 v[87:88], off, off offset:208
	v_cmp_lt_u32_e64 s0, 26, v0
	s_waitcnt vmcnt(0)
	ds_store_b64 v90, v[87:88]
	s_waitcnt lgkmcnt(0)
	s_waitcnt_vscnt null, 0x0
	s_barrier
	buffer_gl0_inv
	s_and_saveexec_b32 s2, s0
	s_cbranch_execz .LBB42_158
; %bb.149:
	s_and_not1_b32 vcc_lo, exec_lo, s3
	s_cbranch_vccnz .LBB42_151
; %bb.150:
	scratch_load_b64 v[87:88], v91, off
	ds_load_b64 v[105:106], v90
	s_waitcnt vmcnt(0) lgkmcnt(0)
	v_mul_f64 v[87:88], v[87:88], v[105:106]
	s_cbranch_execz .LBB42_152
	s_branch .LBB42_153
.LBB42_151:
                                        ; implicit-def: $vgpr87_vgpr88
.LBB42_152:
	ds_load_b64 v[87:88], v90
.LBB42_153:
	s_and_saveexec_b32 s4, s1
	s_cbranch_execz .LBB42_157
; %bb.154:
	v_mov_b32_e32 v105, 0
	v_subrev_nc_u32_e32 v106, 27, v0
	s_movk_i32 s5, 0x238
	s_mov_b32 s1, 0
	s_delay_alu instid0(VALU_DEP_2)
	v_add_nc_u32_e32 v105, 0xd8, v105
.LBB42_155:                             ; =>This Inner Loop Header: Depth=1
	scratch_load_b64 v[107:108], v105, off
	v_dual_mov_b32 v109, s5 :: v_dual_add_nc_u32 v106, -1, v106
	v_add_nc_u32_e32 v105, 8, v105
	s_add_i32 s5, s5, 8
	ds_load_b64 v[109:110], v109
	v_cmp_eq_u32_e32 vcc_lo, 0, v106
	s_or_b32 s1, vcc_lo, s1
	s_waitcnt vmcnt(0) lgkmcnt(0)
	v_fma_f64 v[87:88], v[107:108], v[109:110], v[87:88]
	s_and_not1_b32 exec_lo, exec_lo, s1
	s_cbranch_execnz .LBB42_155
; %bb.156:
	s_or_b32 exec_lo, exec_lo, s1
.LBB42_157:
	s_delay_alu instid0(SALU_CYCLE_1)
	s_or_b32 exec_lo, exec_lo, s4
	v_mov_b32_e32 v105, 0
	ds_load_b64 v[105:106], v105 offset:208
	s_waitcnt lgkmcnt(0)
	v_mul_f64 v[87:88], v[87:88], v[105:106]
	scratch_store_b64 off, v[87:88], off offset:208
.LBB42_158:
	s_or_b32 exec_lo, exec_lo, s2
	scratch_load_b64 v[87:88], off, off offset:200
	v_cmp_lt_u32_e64 s1, 25, v0
	s_waitcnt vmcnt(0)
	ds_store_b64 v90, v[87:88]
	s_waitcnt lgkmcnt(0)
	s_waitcnt_vscnt null, 0x0
	s_barrier
	buffer_gl0_inv
	s_and_saveexec_b32 s2, s1
	s_cbranch_execz .LBB42_168
; %bb.159:
	s_and_not1_b32 vcc_lo, exec_lo, s3
	s_cbranch_vccnz .LBB42_161
; %bb.160:
	scratch_load_b64 v[87:88], v91, off
	ds_load_b64 v[105:106], v90
	s_waitcnt vmcnt(0) lgkmcnt(0)
	v_mul_f64 v[87:88], v[87:88], v[105:106]
	s_cbranch_execz .LBB42_162
	s_branch .LBB42_163
.LBB42_161:
                                        ; implicit-def: $vgpr87_vgpr88
.LBB42_162:
	ds_load_b64 v[87:88], v90
.LBB42_163:
	s_and_saveexec_b32 s4, s0
	s_cbranch_execz .LBB42_167
; %bb.164:
	v_subrev_nc_u32_e32 v105, 26, v0
	s_movk_i32 s5, 0x230
	s_mov_b32 s0, 0
.LBB42_165:                             ; =>This Inner Loop Header: Depth=1
	scratch_load_b64 v[106:107], v104, off
	v_dual_mov_b32 v108, s5 :: v_dual_add_nc_u32 v105, -1, v105
	v_add_nc_u32_e32 v104, 8, v104
	s_add_i32 s5, s5, 8
	ds_load_b64 v[108:109], v108
	v_cmp_eq_u32_e32 vcc_lo, 0, v105
	s_or_b32 s0, vcc_lo, s0
	s_waitcnt vmcnt(0) lgkmcnt(0)
	v_fma_f64 v[87:88], v[106:107], v[108:109], v[87:88]
	s_and_not1_b32 exec_lo, exec_lo, s0
	s_cbranch_execnz .LBB42_165
; %bb.166:
	s_or_b32 exec_lo, exec_lo, s0
.LBB42_167:
	s_delay_alu instid0(SALU_CYCLE_1)
	s_or_b32 exec_lo, exec_lo, s4
	v_mov_b32_e32 v104, 0
	ds_load_b64 v[104:105], v104 offset:200
	s_waitcnt lgkmcnt(0)
	v_mul_f64 v[87:88], v[87:88], v[104:105]
	scratch_store_b64 off, v[87:88], off offset:200
.LBB42_168:
	s_or_b32 exec_lo, exec_lo, s2
	scratch_load_b64 v[87:88], off, off offset:192
	v_cmp_lt_u32_e64 s0, 24, v0
	s_waitcnt vmcnt(0)
	ds_store_b64 v90, v[87:88]
	s_waitcnt lgkmcnt(0)
	s_waitcnt_vscnt null, 0x0
	s_barrier
	buffer_gl0_inv
	s_and_saveexec_b32 s2, s0
	s_cbranch_execz .LBB42_178
; %bb.169:
	s_and_not1_b32 vcc_lo, exec_lo, s3
	s_cbranch_vccnz .LBB42_171
; %bb.170:
	scratch_load_b64 v[87:88], v91, off
	ds_load_b64 v[104:105], v90
	s_waitcnt vmcnt(0) lgkmcnt(0)
	v_mul_f64 v[87:88], v[87:88], v[104:105]
	s_cbranch_execz .LBB42_172
	s_branch .LBB42_173
.LBB42_171:
                                        ; implicit-def: $vgpr87_vgpr88
.LBB42_172:
	ds_load_b64 v[87:88], v90
.LBB42_173:
	s_and_saveexec_b32 s4, s1
	s_cbranch_execz .LBB42_177
; %bb.174:
	v_mov_b32_e32 v104, 0
	v_subrev_nc_u32_e32 v105, 25, v0
	s_movk_i32 s5, 0x228
	s_mov_b32 s1, 0
	s_delay_alu instid0(VALU_DEP_2)
	v_add_nc_u32_e32 v104, 0xc8, v104
.LBB42_175:                             ; =>This Inner Loop Header: Depth=1
	scratch_load_b64 v[106:107], v104, off
	v_dual_mov_b32 v108, s5 :: v_dual_add_nc_u32 v105, -1, v105
	v_add_nc_u32_e32 v104, 8, v104
	s_add_i32 s5, s5, 8
	ds_load_b64 v[108:109], v108
	v_cmp_eq_u32_e32 vcc_lo, 0, v105
	s_or_b32 s1, vcc_lo, s1
	s_waitcnt vmcnt(0) lgkmcnt(0)
	v_fma_f64 v[87:88], v[106:107], v[108:109], v[87:88]
	s_and_not1_b32 exec_lo, exec_lo, s1
	s_cbranch_execnz .LBB42_175
; %bb.176:
	s_or_b32 exec_lo, exec_lo, s1
.LBB42_177:
	s_delay_alu instid0(SALU_CYCLE_1)
	s_or_b32 exec_lo, exec_lo, s4
	v_mov_b32_e32 v104, 0
	ds_load_b64 v[104:105], v104 offset:192
	s_waitcnt lgkmcnt(0)
	v_mul_f64 v[87:88], v[87:88], v[104:105]
	scratch_store_b64 off, v[87:88], off offset:192
.LBB42_178:
	s_or_b32 exec_lo, exec_lo, s2
	scratch_load_b64 v[87:88], off, off offset:184
	v_cmp_lt_u32_e64 s1, 23, v0
	s_waitcnt vmcnt(0)
	ds_store_b64 v90, v[87:88]
	s_waitcnt lgkmcnt(0)
	s_waitcnt_vscnt null, 0x0
	s_barrier
	buffer_gl0_inv
	s_and_saveexec_b32 s2, s1
	s_cbranch_execz .LBB42_188
; %bb.179:
	s_and_not1_b32 vcc_lo, exec_lo, s3
	s_cbranch_vccnz .LBB42_181
; %bb.180:
	scratch_load_b64 v[87:88], v91, off
	ds_load_b64 v[104:105], v90
	s_waitcnt vmcnt(0) lgkmcnt(0)
	v_mul_f64 v[87:88], v[87:88], v[104:105]
	s_cbranch_execz .LBB42_182
	s_branch .LBB42_183
.LBB42_181:
                                        ; implicit-def: $vgpr87_vgpr88
.LBB42_182:
	ds_load_b64 v[87:88], v90
.LBB42_183:
	s_and_saveexec_b32 s4, s0
	s_cbranch_execz .LBB42_187
; %bb.184:
	v_subrev_nc_u32_e32 v104, 24, v0
	s_movk_i32 s5, 0x220
	s_mov_b32 s0, 0
.LBB42_185:                             ; =>This Inner Loop Header: Depth=1
	scratch_load_b64 v[105:106], v103, off
	v_dual_mov_b32 v107, s5 :: v_dual_add_nc_u32 v104, -1, v104
	v_add_nc_u32_e32 v103, 8, v103
	s_add_i32 s5, s5, 8
	ds_load_b64 v[107:108], v107
	v_cmp_eq_u32_e32 vcc_lo, 0, v104
	s_or_b32 s0, vcc_lo, s0
	s_waitcnt vmcnt(0) lgkmcnt(0)
	v_fma_f64 v[87:88], v[105:106], v[107:108], v[87:88]
	s_and_not1_b32 exec_lo, exec_lo, s0
	s_cbranch_execnz .LBB42_185
; %bb.186:
	s_or_b32 exec_lo, exec_lo, s0
.LBB42_187:
	s_delay_alu instid0(SALU_CYCLE_1)
	s_or_b32 exec_lo, exec_lo, s4
	v_mov_b32_e32 v103, 0
	ds_load_b64 v[103:104], v103 offset:184
	s_waitcnt lgkmcnt(0)
	v_mul_f64 v[87:88], v[87:88], v[103:104]
	scratch_store_b64 off, v[87:88], off offset:184
.LBB42_188:
	s_or_b32 exec_lo, exec_lo, s2
	scratch_load_b64 v[87:88], off, off offset:176
	v_cmp_lt_u32_e64 s0, 22, v0
	s_waitcnt vmcnt(0)
	ds_store_b64 v90, v[87:88]
	s_waitcnt lgkmcnt(0)
	s_waitcnt_vscnt null, 0x0
	s_barrier
	buffer_gl0_inv
	s_and_saveexec_b32 s2, s0
	s_cbranch_execz .LBB42_198
; %bb.189:
	s_and_not1_b32 vcc_lo, exec_lo, s3
	s_cbranch_vccnz .LBB42_191
; %bb.190:
	scratch_load_b64 v[87:88], v91, off
	ds_load_b64 v[103:104], v90
	s_waitcnt vmcnt(0) lgkmcnt(0)
	v_mul_f64 v[87:88], v[87:88], v[103:104]
	s_cbranch_execz .LBB42_192
	s_branch .LBB42_193
.LBB42_191:
                                        ; implicit-def: $vgpr87_vgpr88
.LBB42_192:
	ds_load_b64 v[87:88], v90
.LBB42_193:
	s_and_saveexec_b32 s4, s1
	s_cbranch_execz .LBB42_197
; %bb.194:
	v_mov_b32_e32 v103, 0
	v_subrev_nc_u32_e32 v104, 23, v0
	s_movk_i32 s5, 0x218
	s_mov_b32 s1, 0
	s_delay_alu instid0(VALU_DEP_2)
	v_add_nc_u32_e32 v103, 0xb8, v103
.LBB42_195:                             ; =>This Inner Loop Header: Depth=1
	scratch_load_b64 v[105:106], v103, off
	v_dual_mov_b32 v107, s5 :: v_dual_add_nc_u32 v104, -1, v104
	v_add_nc_u32_e32 v103, 8, v103
	s_add_i32 s5, s5, 8
	ds_load_b64 v[107:108], v107
	v_cmp_eq_u32_e32 vcc_lo, 0, v104
	s_or_b32 s1, vcc_lo, s1
	s_waitcnt vmcnt(0) lgkmcnt(0)
	v_fma_f64 v[87:88], v[105:106], v[107:108], v[87:88]
	s_and_not1_b32 exec_lo, exec_lo, s1
	s_cbranch_execnz .LBB42_195
; %bb.196:
	s_or_b32 exec_lo, exec_lo, s1
.LBB42_197:
	s_delay_alu instid0(SALU_CYCLE_1)
	s_or_b32 exec_lo, exec_lo, s4
	v_mov_b32_e32 v103, 0
	ds_load_b64 v[103:104], v103 offset:176
	s_waitcnt lgkmcnt(0)
	v_mul_f64 v[87:88], v[87:88], v[103:104]
	scratch_store_b64 off, v[87:88], off offset:176
.LBB42_198:
	s_or_b32 exec_lo, exec_lo, s2
	scratch_load_b64 v[87:88], off, off offset:168
	v_cmp_lt_u32_e64 s1, 21, v0
	s_waitcnt vmcnt(0)
	ds_store_b64 v90, v[87:88]
	s_waitcnt lgkmcnt(0)
	s_waitcnt_vscnt null, 0x0
	s_barrier
	buffer_gl0_inv
	s_and_saveexec_b32 s2, s1
	s_cbranch_execz .LBB42_208
; %bb.199:
	s_and_not1_b32 vcc_lo, exec_lo, s3
	s_cbranch_vccnz .LBB42_201
; %bb.200:
	scratch_load_b64 v[87:88], v91, off
	ds_load_b64 v[103:104], v90
	s_waitcnt vmcnt(0) lgkmcnt(0)
	v_mul_f64 v[87:88], v[87:88], v[103:104]
	s_cbranch_execz .LBB42_202
	s_branch .LBB42_203
.LBB42_201:
                                        ; implicit-def: $vgpr87_vgpr88
.LBB42_202:
	ds_load_b64 v[87:88], v90
.LBB42_203:
	s_and_saveexec_b32 s4, s0
	s_cbranch_execz .LBB42_207
; %bb.204:
	v_subrev_nc_u32_e32 v103, 22, v0
	s_movk_i32 s5, 0x210
	s_mov_b32 s0, 0
.LBB42_205:                             ; =>This Inner Loop Header: Depth=1
	scratch_load_b64 v[104:105], v102, off
	v_dual_mov_b32 v106, s5 :: v_dual_add_nc_u32 v103, -1, v103
	v_add_nc_u32_e32 v102, 8, v102
	s_add_i32 s5, s5, 8
	ds_load_b64 v[106:107], v106
	v_cmp_eq_u32_e32 vcc_lo, 0, v103
	s_or_b32 s0, vcc_lo, s0
	s_waitcnt vmcnt(0) lgkmcnt(0)
	v_fma_f64 v[87:88], v[104:105], v[106:107], v[87:88]
	s_and_not1_b32 exec_lo, exec_lo, s0
	s_cbranch_execnz .LBB42_205
; %bb.206:
	s_or_b32 exec_lo, exec_lo, s0
.LBB42_207:
	s_delay_alu instid0(SALU_CYCLE_1)
	s_or_b32 exec_lo, exec_lo, s4
	v_mov_b32_e32 v102, 0
	ds_load_b64 v[102:103], v102 offset:168
	s_waitcnt lgkmcnt(0)
	v_mul_f64 v[87:88], v[87:88], v[102:103]
	scratch_store_b64 off, v[87:88], off offset:168
.LBB42_208:
	s_or_b32 exec_lo, exec_lo, s2
	scratch_load_b64 v[87:88], off, off offset:160
	v_cmp_lt_u32_e64 s0, 20, v0
	s_waitcnt vmcnt(0)
	ds_store_b64 v90, v[87:88]
	s_waitcnt lgkmcnt(0)
	s_waitcnt_vscnt null, 0x0
	s_barrier
	buffer_gl0_inv
	s_and_saveexec_b32 s2, s0
	s_cbranch_execz .LBB42_218
; %bb.209:
	s_and_not1_b32 vcc_lo, exec_lo, s3
	s_cbranch_vccnz .LBB42_211
; %bb.210:
	scratch_load_b64 v[87:88], v91, off
	ds_load_b64 v[102:103], v90
	s_waitcnt vmcnt(0) lgkmcnt(0)
	v_mul_f64 v[87:88], v[87:88], v[102:103]
	s_cbranch_execz .LBB42_212
	s_branch .LBB42_213
.LBB42_211:
                                        ; implicit-def: $vgpr87_vgpr88
.LBB42_212:
	ds_load_b64 v[87:88], v90
.LBB42_213:
	s_and_saveexec_b32 s4, s1
	s_cbranch_execz .LBB42_217
; %bb.214:
	v_mov_b32_e32 v102, 0
	v_subrev_nc_u32_e32 v103, 21, v0
	s_movk_i32 s5, 0x208
	s_mov_b32 s1, 0
	s_delay_alu instid0(VALU_DEP_2)
	v_add_nc_u32_e32 v102, 0xa8, v102
.LBB42_215:                             ; =>This Inner Loop Header: Depth=1
	scratch_load_b64 v[104:105], v102, off
	v_dual_mov_b32 v106, s5 :: v_dual_add_nc_u32 v103, -1, v103
	v_add_nc_u32_e32 v102, 8, v102
	s_add_i32 s5, s5, 8
	ds_load_b64 v[106:107], v106
	v_cmp_eq_u32_e32 vcc_lo, 0, v103
	s_or_b32 s1, vcc_lo, s1
	s_waitcnt vmcnt(0) lgkmcnt(0)
	v_fma_f64 v[87:88], v[104:105], v[106:107], v[87:88]
	s_and_not1_b32 exec_lo, exec_lo, s1
	s_cbranch_execnz .LBB42_215
; %bb.216:
	s_or_b32 exec_lo, exec_lo, s1
.LBB42_217:
	s_delay_alu instid0(SALU_CYCLE_1)
	s_or_b32 exec_lo, exec_lo, s4
	v_mov_b32_e32 v102, 0
	ds_load_b64 v[102:103], v102 offset:160
	s_waitcnt lgkmcnt(0)
	v_mul_f64 v[87:88], v[87:88], v[102:103]
	scratch_store_b64 off, v[87:88], off offset:160
.LBB42_218:
	s_or_b32 exec_lo, exec_lo, s2
	scratch_load_b64 v[87:88], off, off offset:152
	v_cmp_lt_u32_e64 s1, 19, v0
	s_waitcnt vmcnt(0)
	ds_store_b64 v90, v[87:88]
	s_waitcnt lgkmcnt(0)
	s_waitcnt_vscnt null, 0x0
	s_barrier
	buffer_gl0_inv
	s_and_saveexec_b32 s2, s1
	s_cbranch_execz .LBB42_228
; %bb.219:
	s_and_not1_b32 vcc_lo, exec_lo, s3
	s_cbranch_vccnz .LBB42_221
; %bb.220:
	scratch_load_b64 v[87:88], v91, off
	ds_load_b64 v[102:103], v90
	s_waitcnt vmcnt(0) lgkmcnt(0)
	v_mul_f64 v[87:88], v[87:88], v[102:103]
	s_cbranch_execz .LBB42_222
	s_branch .LBB42_223
.LBB42_221:
                                        ; implicit-def: $vgpr87_vgpr88
.LBB42_222:
	ds_load_b64 v[87:88], v90
.LBB42_223:
	s_and_saveexec_b32 s4, s0
	s_cbranch_execz .LBB42_227
; %bb.224:
	v_subrev_nc_u32_e32 v102, 20, v0
	s_movk_i32 s5, 0x200
	s_mov_b32 s0, 0
.LBB42_225:                             ; =>This Inner Loop Header: Depth=1
	scratch_load_b64 v[103:104], v101, off
	v_dual_mov_b32 v105, s5 :: v_dual_add_nc_u32 v102, -1, v102
	v_add_nc_u32_e32 v101, 8, v101
	s_add_i32 s5, s5, 8
	ds_load_b64 v[105:106], v105
	v_cmp_eq_u32_e32 vcc_lo, 0, v102
	s_or_b32 s0, vcc_lo, s0
	s_waitcnt vmcnt(0) lgkmcnt(0)
	v_fma_f64 v[87:88], v[103:104], v[105:106], v[87:88]
	s_and_not1_b32 exec_lo, exec_lo, s0
	s_cbranch_execnz .LBB42_225
; %bb.226:
	s_or_b32 exec_lo, exec_lo, s0
.LBB42_227:
	s_delay_alu instid0(SALU_CYCLE_1)
	s_or_b32 exec_lo, exec_lo, s4
	v_mov_b32_e32 v101, 0
	ds_load_b64 v[101:102], v101 offset:152
	s_waitcnt lgkmcnt(0)
	v_mul_f64 v[87:88], v[87:88], v[101:102]
	scratch_store_b64 off, v[87:88], off offset:152
.LBB42_228:
	s_or_b32 exec_lo, exec_lo, s2
	scratch_load_b64 v[87:88], off, off offset:144
	v_cmp_lt_u32_e64 s0, 18, v0
	s_waitcnt vmcnt(0)
	ds_store_b64 v90, v[87:88]
	s_waitcnt lgkmcnt(0)
	s_waitcnt_vscnt null, 0x0
	s_barrier
	buffer_gl0_inv
	s_and_saveexec_b32 s2, s0
	s_cbranch_execz .LBB42_238
; %bb.229:
	s_and_not1_b32 vcc_lo, exec_lo, s3
	s_cbranch_vccnz .LBB42_231
; %bb.230:
	scratch_load_b64 v[87:88], v91, off
	ds_load_b64 v[101:102], v90
	s_waitcnt vmcnt(0) lgkmcnt(0)
	v_mul_f64 v[87:88], v[87:88], v[101:102]
	s_cbranch_execz .LBB42_232
	s_branch .LBB42_233
.LBB42_231:
                                        ; implicit-def: $vgpr87_vgpr88
.LBB42_232:
	ds_load_b64 v[87:88], v90
.LBB42_233:
	s_and_saveexec_b32 s4, s1
	s_cbranch_execz .LBB42_237
; %bb.234:
	v_mov_b32_e32 v101, 0
	v_subrev_nc_u32_e32 v102, 19, v0
	s_movk_i32 s5, 0x1f8
	s_mov_b32 s1, 0
	s_delay_alu instid0(VALU_DEP_2)
	v_add_nc_u32_e32 v101, 0x98, v101
.LBB42_235:                             ; =>This Inner Loop Header: Depth=1
	scratch_load_b64 v[103:104], v101, off
	v_dual_mov_b32 v105, s5 :: v_dual_add_nc_u32 v102, -1, v102
	v_add_nc_u32_e32 v101, 8, v101
	s_add_i32 s5, s5, 8
	ds_load_b64 v[105:106], v105
	v_cmp_eq_u32_e32 vcc_lo, 0, v102
	s_or_b32 s1, vcc_lo, s1
	s_waitcnt vmcnt(0) lgkmcnt(0)
	v_fma_f64 v[87:88], v[103:104], v[105:106], v[87:88]
	s_and_not1_b32 exec_lo, exec_lo, s1
	s_cbranch_execnz .LBB42_235
; %bb.236:
	s_or_b32 exec_lo, exec_lo, s1
.LBB42_237:
	s_delay_alu instid0(SALU_CYCLE_1)
	s_or_b32 exec_lo, exec_lo, s4
	v_mov_b32_e32 v101, 0
	ds_load_b64 v[101:102], v101 offset:144
	s_waitcnt lgkmcnt(0)
	v_mul_f64 v[87:88], v[87:88], v[101:102]
	scratch_store_b64 off, v[87:88], off offset:144
.LBB42_238:
	s_or_b32 exec_lo, exec_lo, s2
	scratch_load_b64 v[87:88], off, off offset:136
	v_cmp_lt_u32_e64 s1, 17, v0
	s_waitcnt vmcnt(0)
	ds_store_b64 v90, v[87:88]
	s_waitcnt lgkmcnt(0)
	s_waitcnt_vscnt null, 0x0
	s_barrier
	buffer_gl0_inv
	s_and_saveexec_b32 s2, s1
	s_cbranch_execz .LBB42_248
; %bb.239:
	s_and_not1_b32 vcc_lo, exec_lo, s3
	s_cbranch_vccnz .LBB42_241
; %bb.240:
	scratch_load_b64 v[87:88], v91, off
	ds_load_b64 v[101:102], v90
	s_waitcnt vmcnt(0) lgkmcnt(0)
	v_mul_f64 v[87:88], v[87:88], v[101:102]
	s_cbranch_execz .LBB42_242
	s_branch .LBB42_243
.LBB42_241:
                                        ; implicit-def: $vgpr87_vgpr88
.LBB42_242:
	ds_load_b64 v[87:88], v90
.LBB42_243:
	s_and_saveexec_b32 s4, s0
	s_cbranch_execz .LBB42_247
; %bb.244:
	v_subrev_nc_u32_e32 v101, 18, v0
	s_movk_i32 s5, 0x1f0
	s_mov_b32 s0, 0
.LBB42_245:                             ; =>This Inner Loop Header: Depth=1
	scratch_load_b64 v[102:103], v100, off
	v_dual_mov_b32 v104, s5 :: v_dual_add_nc_u32 v101, -1, v101
	v_add_nc_u32_e32 v100, 8, v100
	s_add_i32 s5, s5, 8
	ds_load_b64 v[104:105], v104
	v_cmp_eq_u32_e32 vcc_lo, 0, v101
	s_or_b32 s0, vcc_lo, s0
	s_waitcnt vmcnt(0) lgkmcnt(0)
	v_fma_f64 v[87:88], v[102:103], v[104:105], v[87:88]
	s_and_not1_b32 exec_lo, exec_lo, s0
	s_cbranch_execnz .LBB42_245
; %bb.246:
	s_or_b32 exec_lo, exec_lo, s0
.LBB42_247:
	s_delay_alu instid0(SALU_CYCLE_1)
	s_or_b32 exec_lo, exec_lo, s4
	v_mov_b32_e32 v100, 0
	ds_load_b64 v[100:101], v100 offset:136
	s_waitcnt lgkmcnt(0)
	v_mul_f64 v[87:88], v[87:88], v[100:101]
	scratch_store_b64 off, v[87:88], off offset:136
.LBB42_248:
	s_or_b32 exec_lo, exec_lo, s2
	scratch_load_b64 v[87:88], off, off offset:128
	v_cmp_lt_u32_e64 s0, 16, v0
	s_waitcnt vmcnt(0)
	ds_store_b64 v90, v[87:88]
	s_waitcnt lgkmcnt(0)
	s_waitcnt_vscnt null, 0x0
	s_barrier
	buffer_gl0_inv
	s_and_saveexec_b32 s2, s0
	s_cbranch_execz .LBB42_258
; %bb.249:
	s_and_not1_b32 vcc_lo, exec_lo, s3
	s_cbranch_vccnz .LBB42_251
; %bb.250:
	scratch_load_b64 v[87:88], v91, off
	ds_load_b64 v[100:101], v90
	s_waitcnt vmcnt(0) lgkmcnt(0)
	v_mul_f64 v[87:88], v[87:88], v[100:101]
	s_cbranch_execz .LBB42_252
	s_branch .LBB42_253
.LBB42_251:
                                        ; implicit-def: $vgpr87_vgpr88
.LBB42_252:
	ds_load_b64 v[87:88], v90
.LBB42_253:
	s_and_saveexec_b32 s4, s1
	s_cbranch_execz .LBB42_257
; %bb.254:
	v_mov_b32_e32 v100, 0
	v_subrev_nc_u32_e32 v101, 17, v0
	s_movk_i32 s5, 0x1e8
	s_mov_b32 s1, 0
	s_delay_alu instid0(VALU_DEP_2)
	v_add_nc_u32_e32 v100, 0x88, v100
.LBB42_255:                             ; =>This Inner Loop Header: Depth=1
	scratch_load_b64 v[102:103], v100, off
	v_dual_mov_b32 v104, s5 :: v_dual_add_nc_u32 v101, -1, v101
	v_add_nc_u32_e32 v100, 8, v100
	s_add_i32 s5, s5, 8
	ds_load_b64 v[104:105], v104
	v_cmp_eq_u32_e32 vcc_lo, 0, v101
	s_or_b32 s1, vcc_lo, s1
	s_waitcnt vmcnt(0) lgkmcnt(0)
	v_fma_f64 v[87:88], v[102:103], v[104:105], v[87:88]
	s_and_not1_b32 exec_lo, exec_lo, s1
	s_cbranch_execnz .LBB42_255
; %bb.256:
	s_or_b32 exec_lo, exec_lo, s1
.LBB42_257:
	s_delay_alu instid0(SALU_CYCLE_1)
	s_or_b32 exec_lo, exec_lo, s4
	v_mov_b32_e32 v100, 0
	ds_load_b64 v[100:101], v100 offset:128
	s_waitcnt lgkmcnt(0)
	v_mul_f64 v[87:88], v[87:88], v[100:101]
	scratch_store_b64 off, v[87:88], off offset:128
.LBB42_258:
	s_or_b32 exec_lo, exec_lo, s2
	scratch_load_b64 v[87:88], off, off offset:120
	v_cmp_lt_u32_e64 s1, 15, v0
	s_waitcnt vmcnt(0)
	ds_store_b64 v90, v[87:88]
	s_waitcnt lgkmcnt(0)
	s_waitcnt_vscnt null, 0x0
	s_barrier
	buffer_gl0_inv
	s_and_saveexec_b32 s2, s1
	s_cbranch_execz .LBB42_268
; %bb.259:
	s_and_not1_b32 vcc_lo, exec_lo, s3
	s_cbranch_vccnz .LBB42_261
; %bb.260:
	scratch_load_b64 v[87:88], v91, off
	ds_load_b64 v[100:101], v90
	s_waitcnt vmcnt(0) lgkmcnt(0)
	v_mul_f64 v[87:88], v[87:88], v[100:101]
	s_cbranch_execz .LBB42_262
	s_branch .LBB42_263
.LBB42_261:
                                        ; implicit-def: $vgpr87_vgpr88
.LBB42_262:
	ds_load_b64 v[87:88], v90
.LBB42_263:
	s_and_saveexec_b32 s4, s0
	s_cbranch_execz .LBB42_267
; %bb.264:
	v_add_nc_u32_e32 v100, -16, v0
	s_movk_i32 s5, 0x1e0
	s_mov_b32 s0, 0
.LBB42_265:                             ; =>This Inner Loop Header: Depth=1
	scratch_load_b64 v[101:102], v99, off
	v_dual_mov_b32 v103, s5 :: v_dual_add_nc_u32 v100, -1, v100
	v_add_nc_u32_e32 v99, 8, v99
	s_add_i32 s5, s5, 8
	ds_load_b64 v[103:104], v103
	v_cmp_eq_u32_e32 vcc_lo, 0, v100
	s_or_b32 s0, vcc_lo, s0
	s_waitcnt vmcnt(0) lgkmcnt(0)
	v_fma_f64 v[87:88], v[101:102], v[103:104], v[87:88]
	s_and_not1_b32 exec_lo, exec_lo, s0
	s_cbranch_execnz .LBB42_265
; %bb.266:
	s_or_b32 exec_lo, exec_lo, s0
.LBB42_267:
	s_delay_alu instid0(SALU_CYCLE_1)
	s_or_b32 exec_lo, exec_lo, s4
	v_mov_b32_e32 v99, 0
	ds_load_b64 v[99:100], v99 offset:120
	s_waitcnt lgkmcnt(0)
	v_mul_f64 v[87:88], v[87:88], v[99:100]
	scratch_store_b64 off, v[87:88], off offset:120
.LBB42_268:
	s_or_b32 exec_lo, exec_lo, s2
	scratch_load_b64 v[87:88], off, off offset:112
	v_cmp_lt_u32_e64 s0, 14, v0
	s_waitcnt vmcnt(0)
	ds_store_b64 v90, v[87:88]
	s_waitcnt lgkmcnt(0)
	s_waitcnt_vscnt null, 0x0
	s_barrier
	buffer_gl0_inv
	s_and_saveexec_b32 s2, s0
	s_cbranch_execz .LBB42_278
; %bb.269:
	s_and_not1_b32 vcc_lo, exec_lo, s3
	s_cbranch_vccnz .LBB42_271
; %bb.270:
	scratch_load_b64 v[87:88], v91, off
	ds_load_b64 v[99:100], v90
	s_waitcnt vmcnt(0) lgkmcnt(0)
	v_mul_f64 v[87:88], v[87:88], v[99:100]
	s_cbranch_execz .LBB42_272
	s_branch .LBB42_273
.LBB42_271:
                                        ; implicit-def: $vgpr87_vgpr88
.LBB42_272:
	ds_load_b64 v[87:88], v90
.LBB42_273:
	s_and_saveexec_b32 s4, s1
	s_cbranch_execz .LBB42_277
; %bb.274:
	v_dual_mov_b32 v99, 0 :: v_dual_add_nc_u32 v100, -15, v0
	s_movk_i32 s5, 0x1d8
	s_mov_b32 s1, 0
	s_delay_alu instid0(VALU_DEP_1)
	v_add_nc_u32_e32 v99, 0x78, v99
.LBB42_275:                             ; =>This Inner Loop Header: Depth=1
	scratch_load_b64 v[101:102], v99, off
	v_dual_mov_b32 v103, s5 :: v_dual_add_nc_u32 v100, -1, v100
	v_add_nc_u32_e32 v99, 8, v99
	s_add_i32 s5, s5, 8
	ds_load_b64 v[103:104], v103
	v_cmp_eq_u32_e32 vcc_lo, 0, v100
	s_or_b32 s1, vcc_lo, s1
	s_waitcnt vmcnt(0) lgkmcnt(0)
	v_fma_f64 v[87:88], v[101:102], v[103:104], v[87:88]
	s_and_not1_b32 exec_lo, exec_lo, s1
	s_cbranch_execnz .LBB42_275
; %bb.276:
	s_or_b32 exec_lo, exec_lo, s1
.LBB42_277:
	s_delay_alu instid0(SALU_CYCLE_1)
	s_or_b32 exec_lo, exec_lo, s4
	v_mov_b32_e32 v99, 0
	ds_load_b64 v[99:100], v99 offset:112
	s_waitcnt lgkmcnt(0)
	v_mul_f64 v[87:88], v[87:88], v[99:100]
	scratch_store_b64 off, v[87:88], off offset:112
.LBB42_278:
	s_or_b32 exec_lo, exec_lo, s2
	scratch_load_b64 v[87:88], off, off offset:104
	v_cmp_lt_u32_e64 s1, 13, v0
	s_waitcnt vmcnt(0)
	ds_store_b64 v90, v[87:88]
	s_waitcnt lgkmcnt(0)
	s_waitcnt_vscnt null, 0x0
	s_barrier
	buffer_gl0_inv
	s_and_saveexec_b32 s2, s1
	s_cbranch_execz .LBB42_288
; %bb.279:
	s_and_not1_b32 vcc_lo, exec_lo, s3
	s_cbranch_vccnz .LBB42_281
; %bb.280:
	scratch_load_b64 v[87:88], v91, off
	ds_load_b64 v[99:100], v90
	s_waitcnt vmcnt(0) lgkmcnt(0)
	v_mul_f64 v[87:88], v[87:88], v[99:100]
	s_cbranch_execz .LBB42_282
	s_branch .LBB42_283
.LBB42_281:
                                        ; implicit-def: $vgpr87_vgpr88
.LBB42_282:
	ds_load_b64 v[87:88], v90
.LBB42_283:
	s_and_saveexec_b32 s4, s0
	s_cbranch_execz .LBB42_287
; %bb.284:
	v_add_nc_u32_e32 v99, -14, v0
	s_movk_i32 s5, 0x1d0
	s_mov_b32 s0, 0
.LBB42_285:                             ; =>This Inner Loop Header: Depth=1
	scratch_load_b64 v[100:101], v98, off
	v_dual_mov_b32 v102, s5 :: v_dual_add_nc_u32 v99, -1, v99
	v_add_nc_u32_e32 v98, 8, v98
	s_add_i32 s5, s5, 8
	ds_load_b64 v[102:103], v102
	v_cmp_eq_u32_e32 vcc_lo, 0, v99
	s_or_b32 s0, vcc_lo, s0
	s_waitcnt vmcnt(0) lgkmcnt(0)
	v_fma_f64 v[87:88], v[100:101], v[102:103], v[87:88]
	s_and_not1_b32 exec_lo, exec_lo, s0
	s_cbranch_execnz .LBB42_285
; %bb.286:
	s_or_b32 exec_lo, exec_lo, s0
.LBB42_287:
	s_delay_alu instid0(SALU_CYCLE_1)
	s_or_b32 exec_lo, exec_lo, s4
	v_mov_b32_e32 v98, 0
	ds_load_b64 v[98:99], v98 offset:104
	s_waitcnt lgkmcnt(0)
	v_mul_f64 v[87:88], v[87:88], v[98:99]
	scratch_store_b64 off, v[87:88], off offset:104
.LBB42_288:
	s_or_b32 exec_lo, exec_lo, s2
	scratch_load_b64 v[87:88], off, off offset:96
	v_cmp_lt_u32_e64 s0, 12, v0
	s_waitcnt vmcnt(0)
	ds_store_b64 v90, v[87:88]
	s_waitcnt lgkmcnt(0)
	s_waitcnt_vscnt null, 0x0
	s_barrier
	buffer_gl0_inv
	s_and_saveexec_b32 s2, s0
	s_cbranch_execz .LBB42_298
; %bb.289:
	s_and_not1_b32 vcc_lo, exec_lo, s3
	s_cbranch_vccnz .LBB42_291
; %bb.290:
	scratch_load_b64 v[87:88], v91, off
	ds_load_b64 v[98:99], v90
	s_waitcnt vmcnt(0) lgkmcnt(0)
	v_mul_f64 v[87:88], v[87:88], v[98:99]
	s_cbranch_execz .LBB42_292
	s_branch .LBB42_293
.LBB42_291:
                                        ; implicit-def: $vgpr87_vgpr88
.LBB42_292:
	ds_load_b64 v[87:88], v90
.LBB42_293:
	s_and_saveexec_b32 s4, s1
	s_cbranch_execz .LBB42_297
; %bb.294:
	v_dual_mov_b32 v98, 0 :: v_dual_add_nc_u32 v99, -13, v0
	s_movk_i32 s5, 0x1c8
	s_mov_b32 s1, 0
	s_delay_alu instid0(VALU_DEP_1)
	v_add_nc_u32_e32 v98, 0x68, v98
.LBB42_295:                             ; =>This Inner Loop Header: Depth=1
	scratch_load_b64 v[100:101], v98, off
	v_dual_mov_b32 v102, s5 :: v_dual_add_nc_u32 v99, -1, v99
	v_add_nc_u32_e32 v98, 8, v98
	s_add_i32 s5, s5, 8
	ds_load_b64 v[102:103], v102
	v_cmp_eq_u32_e32 vcc_lo, 0, v99
	s_or_b32 s1, vcc_lo, s1
	s_waitcnt vmcnt(0) lgkmcnt(0)
	v_fma_f64 v[87:88], v[100:101], v[102:103], v[87:88]
	s_and_not1_b32 exec_lo, exec_lo, s1
	s_cbranch_execnz .LBB42_295
; %bb.296:
	s_or_b32 exec_lo, exec_lo, s1
.LBB42_297:
	s_delay_alu instid0(SALU_CYCLE_1)
	s_or_b32 exec_lo, exec_lo, s4
	v_mov_b32_e32 v98, 0
	ds_load_b64 v[98:99], v98 offset:96
	s_waitcnt lgkmcnt(0)
	v_mul_f64 v[87:88], v[87:88], v[98:99]
	scratch_store_b64 off, v[87:88], off offset:96
.LBB42_298:
	s_or_b32 exec_lo, exec_lo, s2
	scratch_load_b64 v[87:88], off, off offset:88
	v_cmp_lt_u32_e64 s1, 11, v0
	s_waitcnt vmcnt(0)
	ds_store_b64 v90, v[87:88]
	s_waitcnt lgkmcnt(0)
	s_waitcnt_vscnt null, 0x0
	s_barrier
	buffer_gl0_inv
	s_and_saveexec_b32 s2, s1
	s_cbranch_execz .LBB42_308
; %bb.299:
	s_and_not1_b32 vcc_lo, exec_lo, s3
	s_cbranch_vccnz .LBB42_301
; %bb.300:
	scratch_load_b64 v[87:88], v91, off
	ds_load_b64 v[98:99], v90
	s_waitcnt vmcnt(0) lgkmcnt(0)
	v_mul_f64 v[87:88], v[87:88], v[98:99]
	s_cbranch_execz .LBB42_302
	s_branch .LBB42_303
.LBB42_301:
                                        ; implicit-def: $vgpr87_vgpr88
.LBB42_302:
	ds_load_b64 v[87:88], v90
.LBB42_303:
	s_and_saveexec_b32 s4, s0
	s_cbranch_execz .LBB42_307
; %bb.304:
	v_add_nc_u32_e32 v98, -12, v0
	s_movk_i32 s5, 0x1c0
	s_mov_b32 s0, 0
.LBB42_305:                             ; =>This Inner Loop Header: Depth=1
	scratch_load_b64 v[99:100], v97, off
	v_dual_mov_b32 v101, s5 :: v_dual_add_nc_u32 v98, -1, v98
	v_add_nc_u32_e32 v97, 8, v97
	s_add_i32 s5, s5, 8
	ds_load_b64 v[101:102], v101
	v_cmp_eq_u32_e32 vcc_lo, 0, v98
	s_or_b32 s0, vcc_lo, s0
	s_waitcnt vmcnt(0) lgkmcnt(0)
	v_fma_f64 v[87:88], v[99:100], v[101:102], v[87:88]
	s_and_not1_b32 exec_lo, exec_lo, s0
	s_cbranch_execnz .LBB42_305
; %bb.306:
	s_or_b32 exec_lo, exec_lo, s0
.LBB42_307:
	s_delay_alu instid0(SALU_CYCLE_1)
	s_or_b32 exec_lo, exec_lo, s4
	v_mov_b32_e32 v97, 0
	ds_load_b64 v[97:98], v97 offset:88
	s_waitcnt lgkmcnt(0)
	v_mul_f64 v[87:88], v[87:88], v[97:98]
	scratch_store_b64 off, v[87:88], off offset:88
.LBB42_308:
	s_or_b32 exec_lo, exec_lo, s2
	scratch_load_b64 v[87:88], off, off offset:80
	v_cmp_lt_u32_e64 s0, 10, v0
	s_waitcnt vmcnt(0)
	ds_store_b64 v90, v[87:88]
	s_waitcnt lgkmcnt(0)
	s_waitcnt_vscnt null, 0x0
	s_barrier
	buffer_gl0_inv
	s_and_saveexec_b32 s2, s0
	s_cbranch_execz .LBB42_318
; %bb.309:
	s_and_not1_b32 vcc_lo, exec_lo, s3
	s_cbranch_vccnz .LBB42_311
; %bb.310:
	scratch_load_b64 v[87:88], v91, off
	ds_load_b64 v[97:98], v90
	s_waitcnt vmcnt(0) lgkmcnt(0)
	v_mul_f64 v[87:88], v[87:88], v[97:98]
	s_cbranch_execz .LBB42_312
	s_branch .LBB42_313
.LBB42_311:
                                        ; implicit-def: $vgpr87_vgpr88
.LBB42_312:
	ds_load_b64 v[87:88], v90
.LBB42_313:
	s_and_saveexec_b32 s4, s1
	s_cbranch_execz .LBB42_317
; %bb.314:
	v_dual_mov_b32 v97, 0 :: v_dual_add_nc_u32 v98, -11, v0
	s_movk_i32 s5, 0x1b8
	s_mov_b32 s1, 0
	s_delay_alu instid0(VALU_DEP_1)
	v_add_nc_u32_e32 v97, 0x58, v97
.LBB42_315:                             ; =>This Inner Loop Header: Depth=1
	scratch_load_b64 v[99:100], v97, off
	v_dual_mov_b32 v101, s5 :: v_dual_add_nc_u32 v98, -1, v98
	v_add_nc_u32_e32 v97, 8, v97
	s_add_i32 s5, s5, 8
	ds_load_b64 v[101:102], v101
	v_cmp_eq_u32_e32 vcc_lo, 0, v98
	s_or_b32 s1, vcc_lo, s1
	s_waitcnt vmcnt(0) lgkmcnt(0)
	v_fma_f64 v[87:88], v[99:100], v[101:102], v[87:88]
	s_and_not1_b32 exec_lo, exec_lo, s1
	s_cbranch_execnz .LBB42_315
; %bb.316:
	s_or_b32 exec_lo, exec_lo, s1
.LBB42_317:
	s_delay_alu instid0(SALU_CYCLE_1)
	s_or_b32 exec_lo, exec_lo, s4
	v_mov_b32_e32 v97, 0
	ds_load_b64 v[97:98], v97 offset:80
	s_waitcnt lgkmcnt(0)
	v_mul_f64 v[87:88], v[87:88], v[97:98]
	scratch_store_b64 off, v[87:88], off offset:80
.LBB42_318:
	s_or_b32 exec_lo, exec_lo, s2
	scratch_load_b64 v[87:88], off, off offset:72
	v_cmp_lt_u32_e64 s1, 9, v0
	s_waitcnt vmcnt(0)
	ds_store_b64 v90, v[87:88]
	s_waitcnt lgkmcnt(0)
	s_waitcnt_vscnt null, 0x0
	s_barrier
	buffer_gl0_inv
	s_and_saveexec_b32 s2, s1
	s_cbranch_execz .LBB42_328
; %bb.319:
	s_and_not1_b32 vcc_lo, exec_lo, s3
	s_cbranch_vccnz .LBB42_321
; %bb.320:
	scratch_load_b64 v[87:88], v91, off
	ds_load_b64 v[97:98], v90
	s_waitcnt vmcnt(0) lgkmcnt(0)
	v_mul_f64 v[87:88], v[87:88], v[97:98]
	s_cbranch_execz .LBB42_322
	s_branch .LBB42_323
.LBB42_321:
                                        ; implicit-def: $vgpr87_vgpr88
.LBB42_322:
	ds_load_b64 v[87:88], v90
.LBB42_323:
	s_and_saveexec_b32 s4, s0
	s_cbranch_execz .LBB42_327
; %bb.324:
	v_add_nc_u32_e32 v97, -10, v0
	s_movk_i32 s5, 0x1b0
	s_mov_b32 s0, 0
.LBB42_325:                             ; =>This Inner Loop Header: Depth=1
	scratch_load_b64 v[98:99], v96, off
	v_dual_mov_b32 v100, s5 :: v_dual_add_nc_u32 v97, -1, v97
	v_add_nc_u32_e32 v96, 8, v96
	s_add_i32 s5, s5, 8
	ds_load_b64 v[100:101], v100
	v_cmp_eq_u32_e32 vcc_lo, 0, v97
	s_or_b32 s0, vcc_lo, s0
	s_waitcnt vmcnt(0) lgkmcnt(0)
	v_fma_f64 v[87:88], v[98:99], v[100:101], v[87:88]
	s_and_not1_b32 exec_lo, exec_lo, s0
	s_cbranch_execnz .LBB42_325
; %bb.326:
	s_or_b32 exec_lo, exec_lo, s0
.LBB42_327:
	s_delay_alu instid0(SALU_CYCLE_1)
	s_or_b32 exec_lo, exec_lo, s4
	v_mov_b32_e32 v96, 0
	ds_load_b64 v[96:97], v96 offset:72
	s_waitcnt lgkmcnt(0)
	v_mul_f64 v[87:88], v[87:88], v[96:97]
	scratch_store_b64 off, v[87:88], off offset:72
.LBB42_328:
	s_or_b32 exec_lo, exec_lo, s2
	scratch_load_b64 v[87:88], off, off offset:64
	v_cmp_lt_u32_e64 s0, 8, v0
	s_waitcnt vmcnt(0)
	ds_store_b64 v90, v[87:88]
	s_waitcnt lgkmcnt(0)
	s_waitcnt_vscnt null, 0x0
	s_barrier
	buffer_gl0_inv
	s_and_saveexec_b32 s2, s0
	s_cbranch_execz .LBB42_338
; %bb.329:
	s_and_not1_b32 vcc_lo, exec_lo, s3
	s_cbranch_vccnz .LBB42_331
; %bb.330:
	scratch_load_b64 v[87:88], v91, off
	ds_load_b64 v[96:97], v90
	s_waitcnt vmcnt(0) lgkmcnt(0)
	v_mul_f64 v[87:88], v[87:88], v[96:97]
	s_cbranch_execz .LBB42_332
	s_branch .LBB42_333
.LBB42_331:
                                        ; implicit-def: $vgpr87_vgpr88
.LBB42_332:
	ds_load_b64 v[87:88], v90
.LBB42_333:
	s_and_saveexec_b32 s4, s1
	s_cbranch_execz .LBB42_337
; %bb.334:
	v_dual_mov_b32 v96, 0 :: v_dual_add_nc_u32 v97, -9, v0
	s_movk_i32 s5, 0x1a8
	s_mov_b32 s1, 0
	s_delay_alu instid0(VALU_DEP_1)
	v_add_nc_u32_e32 v96, 0x48, v96
.LBB42_335:                             ; =>This Inner Loop Header: Depth=1
	scratch_load_b64 v[98:99], v96, off
	v_dual_mov_b32 v100, s5 :: v_dual_add_nc_u32 v97, -1, v97
	v_add_nc_u32_e32 v96, 8, v96
	s_add_i32 s5, s5, 8
	ds_load_b64 v[100:101], v100
	v_cmp_eq_u32_e32 vcc_lo, 0, v97
	s_or_b32 s1, vcc_lo, s1
	s_waitcnt vmcnt(0) lgkmcnt(0)
	v_fma_f64 v[87:88], v[98:99], v[100:101], v[87:88]
	s_and_not1_b32 exec_lo, exec_lo, s1
	s_cbranch_execnz .LBB42_335
; %bb.336:
	s_or_b32 exec_lo, exec_lo, s1
.LBB42_337:
	s_delay_alu instid0(SALU_CYCLE_1)
	s_or_b32 exec_lo, exec_lo, s4
	v_mov_b32_e32 v96, 0
	ds_load_b64 v[96:97], v96 offset:64
	s_waitcnt lgkmcnt(0)
	v_mul_f64 v[87:88], v[87:88], v[96:97]
	scratch_store_b64 off, v[87:88], off offset:64
.LBB42_338:
	s_or_b32 exec_lo, exec_lo, s2
	scratch_load_b64 v[87:88], off, off offset:56
	v_cmp_lt_u32_e64 s1, 7, v0
	s_waitcnt vmcnt(0)
	ds_store_b64 v90, v[87:88]
	s_waitcnt lgkmcnt(0)
	s_waitcnt_vscnt null, 0x0
	s_barrier
	buffer_gl0_inv
	s_and_saveexec_b32 s2, s1
	s_cbranch_execz .LBB42_348
; %bb.339:
	s_and_not1_b32 vcc_lo, exec_lo, s3
	s_cbranch_vccnz .LBB42_341
; %bb.340:
	scratch_load_b64 v[87:88], v91, off
	ds_load_b64 v[96:97], v90
	s_waitcnt vmcnt(0) lgkmcnt(0)
	v_mul_f64 v[87:88], v[87:88], v[96:97]
	s_cbranch_execz .LBB42_342
	s_branch .LBB42_343
.LBB42_341:
                                        ; implicit-def: $vgpr87_vgpr88
.LBB42_342:
	ds_load_b64 v[87:88], v90
.LBB42_343:
	s_and_saveexec_b32 s4, s0
	s_cbranch_execz .LBB42_347
; %bb.344:
	v_add_nc_u32_e32 v96, -8, v0
	s_movk_i32 s5, 0x1a0
	s_mov_b32 s0, 0
.LBB42_345:                             ; =>This Inner Loop Header: Depth=1
	scratch_load_b64 v[97:98], v95, off
	v_dual_mov_b32 v99, s5 :: v_dual_add_nc_u32 v96, -1, v96
	v_add_nc_u32_e32 v95, 8, v95
	s_add_i32 s5, s5, 8
	ds_load_b64 v[99:100], v99
	v_cmp_eq_u32_e32 vcc_lo, 0, v96
	s_or_b32 s0, vcc_lo, s0
	s_waitcnt vmcnt(0) lgkmcnt(0)
	v_fma_f64 v[87:88], v[97:98], v[99:100], v[87:88]
	s_and_not1_b32 exec_lo, exec_lo, s0
	s_cbranch_execnz .LBB42_345
; %bb.346:
	s_or_b32 exec_lo, exec_lo, s0
.LBB42_347:
	s_delay_alu instid0(SALU_CYCLE_1)
	s_or_b32 exec_lo, exec_lo, s4
	v_mov_b32_e32 v95, 0
	ds_load_b64 v[95:96], v95 offset:56
	s_waitcnt lgkmcnt(0)
	v_mul_f64 v[87:88], v[87:88], v[95:96]
	scratch_store_b64 off, v[87:88], off offset:56
.LBB42_348:
	s_or_b32 exec_lo, exec_lo, s2
	scratch_load_b64 v[87:88], off, off offset:48
	v_cmp_lt_u32_e64 s0, 6, v0
	s_waitcnt vmcnt(0)
	ds_store_b64 v90, v[87:88]
	s_waitcnt lgkmcnt(0)
	s_waitcnt_vscnt null, 0x0
	s_barrier
	buffer_gl0_inv
	s_and_saveexec_b32 s2, s0
	s_cbranch_execz .LBB42_358
; %bb.349:
	s_and_not1_b32 vcc_lo, exec_lo, s3
	s_cbranch_vccnz .LBB42_351
; %bb.350:
	scratch_load_b64 v[87:88], v91, off
	ds_load_b64 v[95:96], v90
	s_waitcnt vmcnt(0) lgkmcnt(0)
	v_mul_f64 v[87:88], v[87:88], v[95:96]
	s_cbranch_execz .LBB42_352
	s_branch .LBB42_353
.LBB42_351:
                                        ; implicit-def: $vgpr87_vgpr88
.LBB42_352:
	ds_load_b64 v[87:88], v90
.LBB42_353:
	s_and_saveexec_b32 s4, s1
	s_cbranch_execz .LBB42_357
; %bb.354:
	v_add_nc_u32_e64 v95, 0, 56
	v_add_nc_u32_e32 v96, -7, v0
	s_movk_i32 s5, 0x198
	s_mov_b32 s1, 0
.LBB42_355:                             ; =>This Inner Loop Header: Depth=1
	scratch_load_b64 v[97:98], v95, off
	v_dual_mov_b32 v99, s5 :: v_dual_add_nc_u32 v96, -1, v96
	v_add_nc_u32_e32 v95, 8, v95
	s_add_i32 s5, s5, 8
	ds_load_b64 v[99:100], v99
	v_cmp_eq_u32_e32 vcc_lo, 0, v96
	s_or_b32 s1, vcc_lo, s1
	s_waitcnt vmcnt(0) lgkmcnt(0)
	v_fma_f64 v[87:88], v[97:98], v[99:100], v[87:88]
	s_and_not1_b32 exec_lo, exec_lo, s1
	s_cbranch_execnz .LBB42_355
; %bb.356:
	s_or_b32 exec_lo, exec_lo, s1
.LBB42_357:
	s_delay_alu instid0(SALU_CYCLE_1)
	s_or_b32 exec_lo, exec_lo, s4
	v_mov_b32_e32 v95, 0
	ds_load_b64 v[95:96], v95 offset:48
	s_waitcnt lgkmcnt(0)
	v_mul_f64 v[87:88], v[87:88], v[95:96]
	scratch_store_b64 off, v[87:88], off offset:48
.LBB42_358:
	s_or_b32 exec_lo, exec_lo, s2
	scratch_load_b64 v[87:88], off, off offset:40
	v_cmp_lt_u32_e64 s1, 5, v0
	s_waitcnt vmcnt(0)
	ds_store_b64 v90, v[87:88]
	s_waitcnt lgkmcnt(0)
	s_waitcnt_vscnt null, 0x0
	s_barrier
	buffer_gl0_inv
	s_and_saveexec_b32 s2, s1
	s_cbranch_execz .LBB42_368
; %bb.359:
	s_and_not1_b32 vcc_lo, exec_lo, s3
	s_cbranch_vccnz .LBB42_361
; %bb.360:
	scratch_load_b64 v[87:88], v91, off
	ds_load_b64 v[95:96], v90
	s_waitcnt vmcnt(0) lgkmcnt(0)
	v_mul_f64 v[87:88], v[87:88], v[95:96]
	s_cbranch_execz .LBB42_362
	s_branch .LBB42_363
.LBB42_361:
                                        ; implicit-def: $vgpr87_vgpr88
.LBB42_362:
	ds_load_b64 v[87:88], v90
.LBB42_363:
	s_and_saveexec_b32 s4, s0
	s_cbranch_execz .LBB42_367
; %bb.364:
	v_add_nc_u32_e32 v95, -6, v0
	s_movk_i32 s5, 0x190
	s_mov_b32 s0, 0
.LBB42_365:                             ; =>This Inner Loop Header: Depth=1
	scratch_load_b64 v[96:97], v94, off
	v_dual_mov_b32 v98, s5 :: v_dual_add_nc_u32 v95, -1, v95
	v_add_nc_u32_e32 v94, 8, v94
	s_add_i32 s5, s5, 8
	ds_load_b64 v[98:99], v98
	v_cmp_eq_u32_e32 vcc_lo, 0, v95
	s_or_b32 s0, vcc_lo, s0
	s_waitcnt vmcnt(0) lgkmcnt(0)
	v_fma_f64 v[87:88], v[96:97], v[98:99], v[87:88]
	s_and_not1_b32 exec_lo, exec_lo, s0
	s_cbranch_execnz .LBB42_365
; %bb.366:
	s_or_b32 exec_lo, exec_lo, s0
.LBB42_367:
	s_delay_alu instid0(SALU_CYCLE_1)
	s_or_b32 exec_lo, exec_lo, s4
	v_mov_b32_e32 v94, 0
	ds_load_b64 v[94:95], v94 offset:40
	s_waitcnt lgkmcnt(0)
	v_mul_f64 v[87:88], v[87:88], v[94:95]
	scratch_store_b64 off, v[87:88], off offset:40
.LBB42_368:
	s_or_b32 exec_lo, exec_lo, s2
	scratch_load_b64 v[87:88], off, off offset:32
	v_cmp_lt_u32_e64 s0, 4, v0
	s_waitcnt vmcnt(0)
	ds_store_b64 v90, v[87:88]
	s_waitcnt lgkmcnt(0)
	s_waitcnt_vscnt null, 0x0
	s_barrier
	buffer_gl0_inv
	s_and_saveexec_b32 s2, s0
	s_cbranch_execz .LBB42_378
; %bb.369:
	s_and_not1_b32 vcc_lo, exec_lo, s3
	s_cbranch_vccnz .LBB42_371
; %bb.370:
	scratch_load_b64 v[87:88], v91, off
	ds_load_b64 v[94:95], v90
	s_waitcnt vmcnt(0) lgkmcnt(0)
	v_mul_f64 v[87:88], v[87:88], v[94:95]
	s_cbranch_execz .LBB42_372
	s_branch .LBB42_373
.LBB42_371:
                                        ; implicit-def: $vgpr87_vgpr88
.LBB42_372:
	ds_load_b64 v[87:88], v90
.LBB42_373:
	s_and_saveexec_b32 s4, s1
	s_cbranch_execz .LBB42_377
; %bb.374:
	v_add_nc_u32_e64 v94, 0, 40
	v_add_nc_u32_e32 v95, -5, v0
	s_movk_i32 s5, 0x188
	s_mov_b32 s1, 0
.LBB42_375:                             ; =>This Inner Loop Header: Depth=1
	scratch_load_b64 v[96:97], v94, off
	v_dual_mov_b32 v98, s5 :: v_dual_add_nc_u32 v95, -1, v95
	v_add_nc_u32_e32 v94, 8, v94
	s_add_i32 s5, s5, 8
	ds_load_b64 v[98:99], v98
	v_cmp_eq_u32_e32 vcc_lo, 0, v95
	s_or_b32 s1, vcc_lo, s1
	s_waitcnt vmcnt(0) lgkmcnt(0)
	v_fma_f64 v[87:88], v[96:97], v[98:99], v[87:88]
	s_and_not1_b32 exec_lo, exec_lo, s1
	s_cbranch_execnz .LBB42_375
; %bb.376:
	s_or_b32 exec_lo, exec_lo, s1
.LBB42_377:
	s_delay_alu instid0(SALU_CYCLE_1)
	s_or_b32 exec_lo, exec_lo, s4
	v_mov_b32_e32 v94, 0
	ds_load_b64 v[94:95], v94 offset:32
	s_waitcnt lgkmcnt(0)
	v_mul_f64 v[87:88], v[87:88], v[94:95]
	scratch_store_b64 off, v[87:88], off offset:32
.LBB42_378:
	s_or_b32 exec_lo, exec_lo, s2
	scratch_load_b64 v[87:88], off, off offset:24
	v_cmp_lt_u32_e64 s1, 3, v0
	s_waitcnt vmcnt(0)
	ds_store_b64 v90, v[87:88]
	s_waitcnt lgkmcnt(0)
	s_waitcnt_vscnt null, 0x0
	s_barrier
	buffer_gl0_inv
	s_and_saveexec_b32 s2, s1
	s_cbranch_execz .LBB42_388
; %bb.379:
	s_and_not1_b32 vcc_lo, exec_lo, s3
	s_cbranch_vccnz .LBB42_381
; %bb.380:
	scratch_load_b64 v[87:88], v91, off
	ds_load_b64 v[94:95], v90
	s_waitcnt vmcnt(0) lgkmcnt(0)
	v_mul_f64 v[87:88], v[87:88], v[94:95]
	s_cbranch_execz .LBB42_382
	s_branch .LBB42_383
.LBB42_381:
                                        ; implicit-def: $vgpr87_vgpr88
.LBB42_382:
	ds_load_b64 v[87:88], v90
.LBB42_383:
	s_and_saveexec_b32 s4, s0
	s_cbranch_execz .LBB42_387
; %bb.384:
	v_add_nc_u32_e32 v94, -4, v0
	s_movk_i32 s5, 0x180
	s_mov_b32 s0, 0
.LBB42_385:                             ; =>This Inner Loop Header: Depth=1
	scratch_load_b64 v[95:96], v93, off
	v_dual_mov_b32 v97, s5 :: v_dual_add_nc_u32 v94, -1, v94
	v_add_nc_u32_e32 v93, 8, v93
	s_add_i32 s5, s5, 8
	ds_load_b64 v[97:98], v97
	v_cmp_eq_u32_e32 vcc_lo, 0, v94
	s_or_b32 s0, vcc_lo, s0
	s_waitcnt vmcnt(0) lgkmcnt(0)
	v_fma_f64 v[87:88], v[95:96], v[97:98], v[87:88]
	s_and_not1_b32 exec_lo, exec_lo, s0
	s_cbranch_execnz .LBB42_385
; %bb.386:
	s_or_b32 exec_lo, exec_lo, s0
.LBB42_387:
	s_delay_alu instid0(SALU_CYCLE_1)
	s_or_b32 exec_lo, exec_lo, s4
	v_mov_b32_e32 v93, 0
	ds_load_b64 v[93:94], v93 offset:24
	s_waitcnt lgkmcnt(0)
	v_mul_f64 v[87:88], v[87:88], v[93:94]
	scratch_store_b64 off, v[87:88], off offset:24
.LBB42_388:
	s_or_b32 exec_lo, exec_lo, s2
	scratch_load_b64 v[87:88], off, off offset:16
	v_cmp_lt_u32_e64 s0, 2, v0
	s_waitcnt vmcnt(0)
	ds_store_b64 v90, v[87:88]
	s_waitcnt lgkmcnt(0)
	s_waitcnt_vscnt null, 0x0
	s_barrier
	buffer_gl0_inv
	s_and_saveexec_b32 s2, s0
	s_cbranch_execz .LBB42_398
; %bb.389:
	s_and_not1_b32 vcc_lo, exec_lo, s3
	s_cbranch_vccnz .LBB42_391
; %bb.390:
	scratch_load_b64 v[87:88], v91, off
	ds_load_b64 v[93:94], v90
	s_waitcnt vmcnt(0) lgkmcnt(0)
	v_mul_f64 v[87:88], v[87:88], v[93:94]
	s_cbranch_execz .LBB42_392
	s_branch .LBB42_393
.LBB42_391:
                                        ; implicit-def: $vgpr87_vgpr88
.LBB42_392:
	ds_load_b64 v[87:88], v90
.LBB42_393:
	s_and_saveexec_b32 s4, s1
	s_cbranch_execz .LBB42_397
; %bb.394:
	v_add_nc_u32_e64 v93, 0, 24
	v_add_nc_u32_e32 v94, -3, v0
	s_movk_i32 s5, 0x178
	s_mov_b32 s1, 0
.LBB42_395:                             ; =>This Inner Loop Header: Depth=1
	scratch_load_b64 v[95:96], v93, off
	v_dual_mov_b32 v97, s5 :: v_dual_add_nc_u32 v94, -1, v94
	v_add_nc_u32_e32 v93, 8, v93
	s_add_i32 s5, s5, 8
	ds_load_b64 v[97:98], v97
	v_cmp_eq_u32_e32 vcc_lo, 0, v94
	s_or_b32 s1, vcc_lo, s1
	s_waitcnt vmcnt(0) lgkmcnt(0)
	v_fma_f64 v[87:88], v[95:96], v[97:98], v[87:88]
	s_and_not1_b32 exec_lo, exec_lo, s1
	s_cbranch_execnz .LBB42_395
; %bb.396:
	s_or_b32 exec_lo, exec_lo, s1
.LBB42_397:
	s_delay_alu instid0(SALU_CYCLE_1)
	s_or_b32 exec_lo, exec_lo, s4
	v_mov_b32_e32 v93, 0
	ds_load_b64 v[93:94], v93 offset:16
	s_waitcnt lgkmcnt(0)
	v_mul_f64 v[87:88], v[87:88], v[93:94]
	scratch_store_b64 off, v[87:88], off offset:16
.LBB42_398:
	s_or_b32 exec_lo, exec_lo, s2
	scratch_load_b64 v[87:88], off, off offset:8
	v_cmp_lt_u32_e64 s1, 1, v0
	s_waitcnt vmcnt(0)
	ds_store_b64 v90, v[87:88]
	s_waitcnt lgkmcnt(0)
	s_waitcnt_vscnt null, 0x0
	s_barrier
	buffer_gl0_inv
	s_and_saveexec_b32 s2, s1
	s_cbranch_execz .LBB42_408
; %bb.399:
	s_and_not1_b32 vcc_lo, exec_lo, s3
	s_cbranch_vccnz .LBB42_401
; %bb.400:
	scratch_load_b64 v[87:88], v91, off
	ds_load_b64 v[93:94], v90
	s_waitcnt vmcnt(0) lgkmcnt(0)
	v_mul_f64 v[87:88], v[87:88], v[93:94]
	s_cbranch_execz .LBB42_402
	s_branch .LBB42_403
.LBB42_401:
                                        ; implicit-def: $vgpr87_vgpr88
.LBB42_402:
	ds_load_b64 v[87:88], v90
.LBB42_403:
	s_and_saveexec_b32 s4, s0
	s_cbranch_execz .LBB42_407
; %bb.404:
	v_add_nc_u32_e32 v93, -2, v0
	s_movk_i32 s5, 0x170
	s_mov_b32 s0, 0
.LBB42_405:                             ; =>This Inner Loop Header: Depth=1
	scratch_load_b64 v[94:95], v92, off
	v_dual_mov_b32 v96, s5 :: v_dual_add_nc_u32 v93, -1, v93
	v_add_nc_u32_e32 v92, 8, v92
	s_add_i32 s5, s5, 8
	ds_load_b64 v[96:97], v96
	v_cmp_eq_u32_e32 vcc_lo, 0, v93
	s_or_b32 s0, vcc_lo, s0
	s_waitcnt vmcnt(0) lgkmcnt(0)
	v_fma_f64 v[87:88], v[94:95], v[96:97], v[87:88]
	s_and_not1_b32 exec_lo, exec_lo, s0
	s_cbranch_execnz .LBB42_405
; %bb.406:
	s_or_b32 exec_lo, exec_lo, s0
.LBB42_407:
	s_delay_alu instid0(SALU_CYCLE_1)
	s_or_b32 exec_lo, exec_lo, s4
	v_mov_b32_e32 v92, 0
	ds_load_b64 v[92:93], v92 offset:8
	s_waitcnt lgkmcnt(0)
	v_mul_f64 v[87:88], v[87:88], v[92:93]
	scratch_store_b64 off, v[87:88], off offset:8
.LBB42_408:
	s_or_b32 exec_lo, exec_lo, s2
	scratch_load_b64 v[87:88], off, off
	s_mov_b32 s0, 0
	s_mov_b32 s2, exec_lo
	s_waitcnt vmcnt(0)
	ds_store_b64 v90, v[87:88]
	s_waitcnt lgkmcnt(0)
	s_waitcnt_vscnt null, 0x0
	s_barrier
	buffer_gl0_inv
	v_cmpx_ne_u32_e32 0, v0
	s_cbranch_execz .LBB42_418
; %bb.409:
	s_and_not1_b32 vcc_lo, exec_lo, s3
	s_cbranch_vccnz .LBB42_411
; %bb.410:
	scratch_load_b64 v[87:88], v91, off
	ds_load_b64 v[92:93], v90
	s_waitcnt vmcnt(0) lgkmcnt(0)
	v_mul_f64 v[87:88], v[87:88], v[92:93]
	s_cbranch_execz .LBB42_412
	s_branch .LBB42_413
.LBB42_411:
                                        ; implicit-def: $vgpr87_vgpr88
.LBB42_412:
	ds_load_b64 v[87:88], v90
.LBB42_413:
	s_and_saveexec_b32 s4, s1
	s_cbranch_execz .LBB42_417
; %bb.414:
	v_or_b32_e64 v92, 0, 8
	v_add_nc_u32_e32 v93, -1, v0
	s_movk_i32 s5, 0x168
	s_mov_b32 s1, 0
.LBB42_415:                             ; =>This Inner Loop Header: Depth=1
	scratch_load_b64 v[94:95], v92, off
	v_dual_mov_b32 v96, s5 :: v_dual_add_nc_u32 v93, -1, v93
	v_add_nc_u32_e32 v92, 8, v92
	s_add_i32 s5, s5, 8
	ds_load_b64 v[96:97], v96
	v_cmp_eq_u32_e32 vcc_lo, 0, v93
	s_or_b32 s1, vcc_lo, s1
	s_waitcnt vmcnt(0) lgkmcnt(0)
	v_fma_f64 v[87:88], v[94:95], v[96:97], v[87:88]
	s_and_not1_b32 exec_lo, exec_lo, s1
	s_cbranch_execnz .LBB42_415
; %bb.416:
	s_or_b32 exec_lo, exec_lo, s1
.LBB42_417:
	s_delay_alu instid0(SALU_CYCLE_1)
	s_or_b32 exec_lo, exec_lo, s4
	v_mov_b32_e32 v92, 0
	ds_load_b64 v[92:93], v92
	s_waitcnt lgkmcnt(0)
	v_mul_f64 v[87:88], v[87:88], v[92:93]
	scratch_store_b64 off, v[87:88], off
.LBB42_418:
	s_or_b32 exec_lo, exec_lo, s2
.LBB42_419:
	s_delay_alu instid0(SALU_CYCLE_1)
	s_and_b32 vcc_lo, exec_lo, s0
	s_cbranch_vccz .LBB42_835
; %bb.420:
	scratch_load_b64 v[87:88], off, off offset:8
	v_cmp_eq_u32_e64 s0, 0, v0
	s_waitcnt vmcnt(0)
	ds_store_b64 v90, v[87:88]
	s_waitcnt lgkmcnt(0)
	s_waitcnt_vscnt null, 0x0
	s_barrier
	buffer_gl0_inv
	s_and_saveexec_b32 s1, s0
	s_cbranch_execz .LBB42_426
; %bb.421:
	s_and_b32 vcc_lo, exec_lo, s3
	s_cbranch_vccz .LBB42_423
; %bb.422:
	scratch_load_b64 v[87:88], v91, off
	ds_load_b64 v[92:93], v90
	s_waitcnt vmcnt(0) lgkmcnt(0)
	v_mul_f64 v[87:88], v[87:88], v[92:93]
	s_cbranch_execz .LBB42_424
	s_branch .LBB42_425
.LBB42_423:
                                        ; implicit-def: $vgpr87_vgpr88
.LBB42_424:
	ds_load_b64 v[87:88], v90
.LBB42_425:
	v_mov_b32_e32 v92, 0
	ds_load_b64 v[92:93], v92 offset:8
	s_waitcnt lgkmcnt(0)
	v_mul_f64 v[87:88], v[87:88], v[92:93]
	scratch_store_b64 off, v[87:88], off offset:8
.LBB42_426:
	s_or_b32 exec_lo, exec_lo, s1
	scratch_load_b64 v[87:88], off, off offset:16
	v_cndmask_b32_e64 v92, 0, 1, s3
	s_mov_b32 s1, exec_lo
	s_waitcnt vmcnt(0)
	ds_store_b64 v90, v[87:88]
	s_waitcnt lgkmcnt(0)
	s_waitcnt_vscnt null, 0x0
	s_barrier
	buffer_gl0_inv
	v_cmpx_gt_u32_e32 2, v0
	s_cbranch_execz .LBB42_434
; %bb.427:
	s_and_not1_b32 vcc_lo, exec_lo, s3
	s_cbranch_vccnz .LBB42_429
; %bb.428:
	scratch_load_b64 v[87:88], v91, off
	ds_load_b64 v[93:94], v90
	s_waitcnt vmcnt(0) lgkmcnt(0)
	v_mul_f64 v[87:88], v[87:88], v[93:94]
	s_cbranch_execz .LBB42_430
	s_branch .LBB42_431
.LBB42_429:
                                        ; implicit-def: $vgpr87_vgpr88
.LBB42_430:
	ds_load_b64 v[87:88], v90
.LBB42_431:
	s_and_saveexec_b32 s2, s0
	s_cbranch_execz .LBB42_433
; %bb.432:
	scratch_load_b64 v[93:94], v91, off offset:8
	ds_load_b64 v[95:96], v90 offset:8
	s_waitcnt vmcnt(0) lgkmcnt(0)
	v_fma_f64 v[87:88], v[93:94], v[95:96], v[87:88]
.LBB42_433:
	s_or_b32 exec_lo, exec_lo, s2
	v_mov_b32_e32 v93, 0
	ds_load_b64 v[93:94], v93 offset:16
	s_waitcnt lgkmcnt(0)
	v_mul_f64 v[87:88], v[87:88], v[93:94]
	scratch_store_b64 off, v[87:88], off offset:16
.LBB42_434:
	s_or_b32 exec_lo, exec_lo, s1
	scratch_load_b64 v[87:88], off, off offset:24
	s_mov_b32 s1, exec_lo
	s_waitcnt vmcnt(0)
	ds_store_b64 v90, v[87:88]
	s_waitcnt lgkmcnt(0)
	s_waitcnt_vscnt null, 0x0
	s_barrier
	buffer_gl0_inv
	v_cmpx_gt_u32_e32 3, v0
	s_cbranch_execz .LBB42_444
; %bb.435:
	v_cmp_ne_u32_e32 vcc_lo, 1, v92
	s_cbranch_vccnz .LBB42_437
; %bb.436:
	scratch_load_b64 v[87:88], v91, off
	ds_load_b64 v[93:94], v90
	s_waitcnt vmcnt(0) lgkmcnt(0)
	v_mul_f64 v[87:88], v[87:88], v[93:94]
	s_cbranch_execz .LBB42_438
	s_branch .LBB42_439
.LBB42_437:
                                        ; implicit-def: $vgpr87_vgpr88
.LBB42_438:
	ds_load_b64 v[87:88], v90
.LBB42_439:
	s_mov_b32 s2, exec_lo
	v_cmpx_ne_u32_e32 2, v0
	s_cbranch_execz .LBB42_443
; %bb.440:
	scratch_load_b64 v[93:94], v91, off offset:8
	ds_load_b64 v[95:96], v90 offset:8
	s_waitcnt vmcnt(0) lgkmcnt(0)
	v_fma_f64 v[87:88], v[93:94], v[95:96], v[87:88]
	s_and_saveexec_b32 s3, s0
	s_cbranch_execz .LBB42_442
; %bb.441:
	scratch_load_b64 v[93:94], off, off offset:16
	v_mov_b32_e32 v95, 0
	ds_load_b64 v[95:96], v95 offset:368
	s_waitcnt vmcnt(0) lgkmcnt(0)
	v_fma_f64 v[87:88], v[93:94], v[95:96], v[87:88]
.LBB42_442:
	s_or_b32 exec_lo, exec_lo, s3
.LBB42_443:
	s_delay_alu instid0(SALU_CYCLE_1)
	s_or_b32 exec_lo, exec_lo, s2
	v_mov_b32_e32 v93, 0
	ds_load_b64 v[93:94], v93 offset:24
	s_waitcnt lgkmcnt(0)
	v_mul_f64 v[87:88], v[87:88], v[93:94]
	scratch_store_b64 off, v[87:88], off offset:24
.LBB42_444:
	s_or_b32 exec_lo, exec_lo, s1
	scratch_load_b64 v[87:88], off, off offset:32
	s_mov_b32 s0, exec_lo
	s_waitcnt vmcnt(0)
	ds_store_b64 v90, v[87:88]
	s_waitcnt lgkmcnt(0)
	s_waitcnt_vscnt null, 0x0
	s_barrier
	buffer_gl0_inv
	v_cmpx_gt_u32_e32 4, v0
	s_cbranch_execz .LBB42_454
; %bb.445:
	v_cmp_ne_u32_e32 vcc_lo, 1, v92
	s_cbranch_vccnz .LBB42_447
; %bb.446:
	scratch_load_b64 v[87:88], v91, off
	ds_load_b64 v[93:94], v90
	s_waitcnt vmcnt(0) lgkmcnt(0)
	v_mul_f64 v[87:88], v[87:88], v[93:94]
	s_cbranch_execz .LBB42_448
	s_branch .LBB42_449
.LBB42_447:
                                        ; implicit-def: $vgpr87_vgpr88
.LBB42_448:
	ds_load_b64 v[87:88], v90
.LBB42_449:
	s_mov_b32 s1, exec_lo
	v_cmpx_ne_u32_e32 3, v0
	s_cbranch_execz .LBB42_453
; %bb.450:
	v_add_nc_u32_e32 v93, 0x168, v89
	v_add3_u32 v94, 0, v89, 8
	v_mov_b32_e32 v95, v0
	s_mov_b32 s2, 0
.LBB42_451:                             ; =>This Inner Loop Header: Depth=1
	scratch_load_b64 v[96:97], v94, off
	ds_load_b64 v[98:99], v93
	v_add_nc_u32_e32 v95, 1, v95
	v_add_nc_u32_e32 v93, 8, v93
	v_add_nc_u32_e32 v94, 8, v94
	s_delay_alu instid0(VALU_DEP_3)
	v_cmp_lt_u32_e32 vcc_lo, 2, v95
	s_or_b32 s2, vcc_lo, s2
	s_waitcnt vmcnt(0) lgkmcnt(0)
	v_fma_f64 v[87:88], v[96:97], v[98:99], v[87:88]
	s_and_not1_b32 exec_lo, exec_lo, s2
	s_cbranch_execnz .LBB42_451
; %bb.452:
	s_or_b32 exec_lo, exec_lo, s2
.LBB42_453:
	s_delay_alu instid0(SALU_CYCLE_1)
	s_or_b32 exec_lo, exec_lo, s1
	v_mov_b32_e32 v93, 0
	ds_load_b64 v[93:94], v93 offset:32
	s_waitcnt lgkmcnt(0)
	v_mul_f64 v[87:88], v[87:88], v[93:94]
	scratch_store_b64 off, v[87:88], off offset:32
.LBB42_454:
	s_or_b32 exec_lo, exec_lo, s0
	scratch_load_b64 v[87:88], off, off offset:40
	s_mov_b32 s0, exec_lo
	s_waitcnt vmcnt(0)
	ds_store_b64 v90, v[87:88]
	s_waitcnt lgkmcnt(0)
	s_waitcnt_vscnt null, 0x0
	s_barrier
	buffer_gl0_inv
	v_cmpx_gt_u32_e32 5, v0
	s_cbranch_execz .LBB42_464
; %bb.455:
	v_cmp_ne_u32_e32 vcc_lo, 1, v92
	s_cbranch_vccnz .LBB42_457
; %bb.456:
	scratch_load_b64 v[87:88], v91, off
	ds_load_b64 v[93:94], v90
	s_waitcnt vmcnt(0) lgkmcnt(0)
	v_mul_f64 v[87:88], v[87:88], v[93:94]
	s_cbranch_execz .LBB42_458
	s_branch .LBB42_459
.LBB42_457:
                                        ; implicit-def: $vgpr87_vgpr88
.LBB42_458:
	ds_load_b64 v[87:88], v90
.LBB42_459:
	s_mov_b32 s1, exec_lo
	v_cmpx_ne_u32_e32 4, v0
	s_cbranch_execz .LBB42_463
; %bb.460:
	v_add_nc_u32_e32 v93, 0x168, v89
	v_add3_u32 v94, 0, v89, 8
	v_mov_b32_e32 v95, v0
	s_mov_b32 s2, 0
.LBB42_461:                             ; =>This Inner Loop Header: Depth=1
	scratch_load_b64 v[96:97], v94, off
	ds_load_b64 v[98:99], v93
	v_add_nc_u32_e32 v95, 1, v95
	v_add_nc_u32_e32 v93, 8, v93
	v_add_nc_u32_e32 v94, 8, v94
	s_delay_alu instid0(VALU_DEP_3)
	v_cmp_lt_u32_e32 vcc_lo, 3, v95
	s_or_b32 s2, vcc_lo, s2
	s_waitcnt vmcnt(0) lgkmcnt(0)
	v_fma_f64 v[87:88], v[96:97], v[98:99], v[87:88]
	s_and_not1_b32 exec_lo, exec_lo, s2
	s_cbranch_execnz .LBB42_461
; %bb.462:
	s_or_b32 exec_lo, exec_lo, s2
.LBB42_463:
	s_delay_alu instid0(SALU_CYCLE_1)
	s_or_b32 exec_lo, exec_lo, s1
	v_mov_b32_e32 v93, 0
	ds_load_b64 v[93:94], v93 offset:40
	s_waitcnt lgkmcnt(0)
	v_mul_f64 v[87:88], v[87:88], v[93:94]
	scratch_store_b64 off, v[87:88], off offset:40
.LBB42_464:
	;; [unrolled: 58-line block ×37, first 2 shown]
	s_or_b32 exec_lo, exec_lo, s0
	scratch_load_b64 v[87:88], off, off offset:328
	v_cmp_gt_u32_e64 s0, 41, v0
	s_waitcnt vmcnt(0)
	ds_store_b64 v90, v[87:88]
	s_waitcnt lgkmcnt(0)
	s_waitcnt_vscnt null, 0x0
	s_barrier
	buffer_gl0_inv
	s_and_saveexec_b32 s1, s0
	s_cbranch_execz .LBB42_824
; %bb.815:
	v_cmp_ne_u32_e32 vcc_lo, 1, v92
	s_cbranch_vccnz .LBB42_817
; %bb.816:
	scratch_load_b64 v[87:88], v91, off
	ds_load_b64 v[93:94], v90
	s_waitcnt vmcnt(0) lgkmcnt(0)
	v_mul_f64 v[87:88], v[87:88], v[93:94]
	s_cbranch_execz .LBB42_818
	s_branch .LBB42_819
.LBB42_817:
                                        ; implicit-def: $vgpr87_vgpr88
.LBB42_818:
	ds_load_b64 v[87:88], v90
.LBB42_819:
	s_mov_b32 s2, exec_lo
	v_cmpx_ne_u32_e32 40, v0
	s_cbranch_execz .LBB42_823
; %bb.820:
	v_add_nc_u32_e32 v93, 0x168, v89
	v_add3_u32 v94, 0, v89, 8
	v_mov_b32_e32 v95, v0
	s_mov_b32 s3, 0
.LBB42_821:                             ; =>This Inner Loop Header: Depth=1
	scratch_load_b64 v[96:97], v94, off
	ds_load_b64 v[98:99], v93
	v_add_nc_u32_e32 v95, 1, v95
	v_add_nc_u32_e32 v93, 8, v93
	;; [unrolled: 1-line block ×3, first 2 shown]
	s_delay_alu instid0(VALU_DEP_3)
	v_cmp_lt_u32_e32 vcc_lo, 39, v95
	s_or_b32 s3, vcc_lo, s3
	s_waitcnt vmcnt(0) lgkmcnt(0)
	v_fma_f64 v[87:88], v[96:97], v[98:99], v[87:88]
	s_and_not1_b32 exec_lo, exec_lo, s3
	s_cbranch_execnz .LBB42_821
; %bb.822:
	s_or_b32 exec_lo, exec_lo, s3
.LBB42_823:
	s_delay_alu instid0(SALU_CYCLE_1)
	s_or_b32 exec_lo, exec_lo, s2
	v_mov_b32_e32 v93, 0
	ds_load_b64 v[93:94], v93 offset:328
	s_waitcnt lgkmcnt(0)
	v_mul_f64 v[87:88], v[87:88], v[93:94]
	scratch_store_b64 off, v[87:88], off offset:328
.LBB42_824:
	s_or_b32 exec_lo, exec_lo, s1
	scratch_load_b64 v[87:88], off, off offset:336
	s_mov_b32 s1, exec_lo
	s_waitcnt vmcnt(0)
	ds_store_b64 v90, v[87:88]
	s_waitcnt lgkmcnt(0)
	s_waitcnt_vscnt null, 0x0
	s_barrier
	buffer_gl0_inv
	v_cmpx_ne_u32_e32 42, v0
	s_cbranch_execz .LBB42_834
; %bb.825:
	v_cmp_ne_u32_e32 vcc_lo, 1, v92
	s_cbranch_vccnz .LBB42_827
; %bb.826:
	scratch_load_b64 v[87:88], v91, off
	ds_load_b64 v[91:92], v90
	s_waitcnt vmcnt(0) lgkmcnt(0)
	v_mul_f64 v[87:88], v[87:88], v[91:92]
	s_cbranch_execz .LBB42_828
	s_branch .LBB42_829
.LBB42_827:
                                        ; implicit-def: $vgpr87_vgpr88
.LBB42_828:
	ds_load_b64 v[87:88], v90
.LBB42_829:
	s_and_saveexec_b32 s2, s0
	s_cbranch_execz .LBB42_833
; %bb.830:
	v_add_nc_u32_e32 v90, 0x168, v89
	v_add3_u32 v89, 0, v89, 8
	s_mov_b32 s0, 0
.LBB42_831:                             ; =>This Inner Loop Header: Depth=1
	scratch_load_b64 v[91:92], v89, off
	ds_load_b64 v[93:94], v90
	v_add_nc_u32_e32 v0, 1, v0
	v_add_nc_u32_e32 v90, 8, v90
	;; [unrolled: 1-line block ×3, first 2 shown]
	s_delay_alu instid0(VALU_DEP_3)
	v_cmp_lt_u32_e32 vcc_lo, 40, v0
	s_or_b32 s0, vcc_lo, s0
	s_waitcnt vmcnt(0) lgkmcnt(0)
	v_fma_f64 v[87:88], v[91:92], v[93:94], v[87:88]
	s_and_not1_b32 exec_lo, exec_lo, s0
	s_cbranch_execnz .LBB42_831
; %bb.832:
	s_or_b32 exec_lo, exec_lo, s0
.LBB42_833:
	s_delay_alu instid0(SALU_CYCLE_1)
	s_or_b32 exec_lo, exec_lo, s2
	v_mov_b32_e32 v0, 0
	ds_load_b64 v[89:90], v0 offset:336
	s_waitcnt lgkmcnt(0)
	v_mul_f64 v[87:88], v[87:88], v[89:90]
	scratch_store_b64 off, v[87:88], off offset:336
.LBB42_834:
	s_or_b32 exec_lo, exec_lo, s1
.LBB42_835:
	s_clause 0x7
	scratch_load_b128 v[87:90], off, off
	scratch_load_b128 v[91:94], off, off offset:16
	scratch_load_b128 v[95:98], off, off offset:32
	;; [unrolled: 1-line block ×7, first 2 shown]
	s_waitcnt vmcnt(7)
	s_clause 0x1
	global_store_b64 v[15:16], v[87:88], off
	global_store_b64 v[13:14], v[89:90], off
	scratch_load_b128 v[13:16], off, off offset:128
	s_waitcnt vmcnt(7)
	s_clause 0x1
	global_store_b64 v[23:24], v[91:92], off
	global_store_b64 v[21:22], v[93:94], off
	s_waitcnt vmcnt(6)
	s_clause 0x1
	global_store_b64 v[19:20], v[95:96], off
	global_store_b64 v[17:18], v[97:98], off
	;; [unrolled: 4-line block ×6, first 2 shown]
	s_clause 0xc
	scratch_load_b128 v[87:90], off, off offset:144
	scratch_load_b128 v[21:24], off, off offset:160
	;; [unrolled: 1-line block ×12, first 2 shown]
	scratch_load_b64 v[35:36], off, off offset:336
	s_waitcnt vmcnt(14)
	s_clause 0x1
	global_store_b64 v[1:2], v[115:116], off
	global_store_b64 v[3:4], v[117:118], off
	s_waitcnt vmcnt(13)
	s_clause 0x1
	global_store_b64 v[37:38], v[13:14], off
	global_store_b64 v[39:40], v[15:16], off
	;; [unrolled: 4-line block ×14, first 2 shown]
	s_waitcnt vmcnt(0)
	global_store_b64 v[29:30], v[35:36], off
.LBB42_836:
	s_endpgm
	.section	.rodata,"a",@progbits
	.p2align	6, 0x0
	.amdhsa_kernel _ZN9rocsolver6v33100L18trti2_kernel_smallILi43EdPdEEv13rocblas_fill_17rocblas_diagonal_T1_iil
		.amdhsa_group_segment_fixed_size 696
		.amdhsa_private_segment_fixed_size 352
		.amdhsa_kernarg_size 32
		.amdhsa_user_sgpr_count 15
		.amdhsa_user_sgpr_dispatch_ptr 0
		.amdhsa_user_sgpr_queue_ptr 0
		.amdhsa_user_sgpr_kernarg_segment_ptr 1
		.amdhsa_user_sgpr_dispatch_id 0
		.amdhsa_user_sgpr_private_segment_size 0
		.amdhsa_wavefront_size32 1
		.amdhsa_uses_dynamic_stack 0
		.amdhsa_enable_private_segment 1
		.amdhsa_system_sgpr_workgroup_id_x 1
		.amdhsa_system_sgpr_workgroup_id_y 0
		.amdhsa_system_sgpr_workgroup_id_z 0
		.amdhsa_system_sgpr_workgroup_info 0
		.amdhsa_system_vgpr_workitem_id 0
		.amdhsa_next_free_vgpr 132
		.amdhsa_next_free_sgpr 19
		.amdhsa_reserve_vcc 1
		.amdhsa_float_round_mode_32 0
		.amdhsa_float_round_mode_16_64 0
		.amdhsa_float_denorm_mode_32 3
		.amdhsa_float_denorm_mode_16_64 3
		.amdhsa_dx10_clamp 1
		.amdhsa_ieee_mode 1
		.amdhsa_fp16_overflow 0
		.amdhsa_workgroup_processor_mode 1
		.amdhsa_memory_ordered 1
		.amdhsa_forward_progress 0
		.amdhsa_shared_vgpr_count 0
		.amdhsa_exception_fp_ieee_invalid_op 0
		.amdhsa_exception_fp_denorm_src 0
		.amdhsa_exception_fp_ieee_div_zero 0
		.amdhsa_exception_fp_ieee_overflow 0
		.amdhsa_exception_fp_ieee_underflow 0
		.amdhsa_exception_fp_ieee_inexact 0
		.amdhsa_exception_int_div_zero 0
	.end_amdhsa_kernel
	.section	.text._ZN9rocsolver6v33100L18trti2_kernel_smallILi43EdPdEEv13rocblas_fill_17rocblas_diagonal_T1_iil,"axG",@progbits,_ZN9rocsolver6v33100L18trti2_kernel_smallILi43EdPdEEv13rocblas_fill_17rocblas_diagonal_T1_iil,comdat
.Lfunc_end42:
	.size	_ZN9rocsolver6v33100L18trti2_kernel_smallILi43EdPdEEv13rocblas_fill_17rocblas_diagonal_T1_iil, .Lfunc_end42-_ZN9rocsolver6v33100L18trti2_kernel_smallILi43EdPdEEv13rocblas_fill_17rocblas_diagonal_T1_iil
                                        ; -- End function
	.section	.AMDGPU.csdata,"",@progbits
; Kernel info:
; codeLenInByte = 23468
; NumSgprs: 21
; NumVgprs: 132
; ScratchSize: 352
; MemoryBound: 0
; FloatMode: 240
; IeeeMode: 1
; LDSByteSize: 696 bytes/workgroup (compile time only)
; SGPRBlocks: 2
; VGPRBlocks: 16
; NumSGPRsForWavesPerEU: 21
; NumVGPRsForWavesPerEU: 132
; Occupancy: 10
; WaveLimiterHint : 0
; COMPUTE_PGM_RSRC2:SCRATCH_EN: 1
; COMPUTE_PGM_RSRC2:USER_SGPR: 15
; COMPUTE_PGM_RSRC2:TRAP_HANDLER: 0
; COMPUTE_PGM_RSRC2:TGID_X_EN: 1
; COMPUTE_PGM_RSRC2:TGID_Y_EN: 0
; COMPUTE_PGM_RSRC2:TGID_Z_EN: 0
; COMPUTE_PGM_RSRC2:TIDIG_COMP_CNT: 0
	.section	.text._ZN9rocsolver6v33100L18trti2_kernel_smallILi44EdPdEEv13rocblas_fill_17rocblas_diagonal_T1_iil,"axG",@progbits,_ZN9rocsolver6v33100L18trti2_kernel_smallILi44EdPdEEv13rocblas_fill_17rocblas_diagonal_T1_iil,comdat
	.globl	_ZN9rocsolver6v33100L18trti2_kernel_smallILi44EdPdEEv13rocblas_fill_17rocblas_diagonal_T1_iil ; -- Begin function _ZN9rocsolver6v33100L18trti2_kernel_smallILi44EdPdEEv13rocblas_fill_17rocblas_diagonal_T1_iil
	.p2align	8
	.type	_ZN9rocsolver6v33100L18trti2_kernel_smallILi44EdPdEEv13rocblas_fill_17rocblas_diagonal_T1_iil,@function
_ZN9rocsolver6v33100L18trti2_kernel_smallILi44EdPdEEv13rocblas_fill_17rocblas_diagonal_T1_iil: ; @_ZN9rocsolver6v33100L18trti2_kernel_smallILi44EdPdEEv13rocblas_fill_17rocblas_diagonal_T1_iil
; %bb.0:
	s_mov_b32 s2, exec_lo
	v_cmpx_gt_u32_e32 44, v0
	s_cbranch_execz .LBB43_856
; %bb.1:
	s_load_b256 s[0:7], s[0:1], 0x0
	s_ashr_i32 s10, s15, 31
	v_lshlrev_b32_e32 v97, 3, v0
	s_waitcnt lgkmcnt(0)
	s_ashr_i32 s9, s4, 31
	s_mov_b32 s8, s4
	s_mul_i32 s4, s15, s7
	s_mul_hi_u32 s7, s15, s6
	s_mul_i32 s11, s10, s6
	s_add_i32 s4, s7, s4
	v_add3_u32 v1, s5, s5, v0
	s_mul_i32 s6, s15, s6
	s_add_i32 s7, s4, s11
	s_mov_b32 s10, s5
	s_lshl_b64 s[6:7], s[6:7], 3
	v_add_nc_u32_e32 v3, s5, v1
	s_add_u32 s4, s2, s6
	s_addc_u32 s6, s3, s7
	s_lshl_b64 s[2:3], s[8:9], 3
	v_ashrrev_i32_e32 v2, 31, v1
	s_add_u32 s2, s4, s2
	v_add_nc_u32_e32 v7, s5, v3
	s_addc_u32 s3, s6, s3
	v_add_co_u32 v47, s4, s2, v97
	s_ashr_i32 s11, s5, 31
	v_lshlrev_b64 v[5:6], 3, v[1:2]
	v_add_co_ci_u32_e64 v48, null, s3, 0, s4
	s_lshl_b64 s[6:7], s[10:11], 3
	v_ashrrev_i32_e32 v8, 31, v7
	v_add_co_u32 v45, vcc_lo, v47, s6
	s_delay_alu instid0(VALU_DEP_3)
	v_add_co_ci_u32_e32 v46, vcc_lo, s7, v48, vcc_lo
	v_add_co_u32 v41, vcc_lo, s2, v5
	v_add_co_ci_u32_e32 v42, vcc_lo, s3, v6, vcc_lo
	v_lshlrev_b64 v[5:6], 3, v[7:8]
	v_add_nc_u32_e32 v7, s5, v7
	v_ashrrev_i32_e32 v4, 31, v3
	global_load_b64 v[1:2], v97, s[2:3]
	s_cmpk_lg_i32 s1, 0x84
	v_add_nc_u32_e32 v13, s5, v7
	v_lshlrev_b64 v[3:4], 3, v[3:4]
	v_ashrrev_i32_e32 v8, 31, v7
	s_delay_alu instid0(VALU_DEP_3) | instskip(SKIP_1) | instid1(VALU_DEP_4)
	v_add_nc_u32_e32 v15, s5, v13
	v_ashrrev_i32_e32 v14, 31, v13
	v_add_co_u32 v43, vcc_lo, s2, v3
	s_delay_alu instid0(VALU_DEP_4)
	v_lshlrev_b64 v[7:8], 3, v[7:8]
	v_add_co_ci_u32_e32 v44, vcc_lo, s3, v4, vcc_lo
	v_add_co_u32 v49, vcc_lo, s2, v5
	v_ashrrev_i32_e32 v16, 31, v15
	v_add_co_ci_u32_e32 v50, vcc_lo, s3, v6, vcc_lo
	v_add_co_u32 v51, vcc_lo, s2, v7
	v_add_co_ci_u32_e32 v52, vcc_lo, s3, v8, vcc_lo
	s_delay_alu instid0(VALU_DEP_4)
	v_lshlrev_b64 v[7:8], 3, v[15:16]
	v_add_nc_u32_e32 v15, s5, v15
	v_lshlrev_b64 v[13:14], 3, v[13:14]
	s_clause 0x3
	global_load_b64 v[3:4], v[45:46], off
	global_load_b64 v[9:10], v[41:42], off
	global_load_b64 v[11:12], v[43:44], off
	global_load_b64 v[5:6], v[49:50], off
	v_ashrrev_i32_e32 v16, 31, v15
	v_add_nc_u32_e32 v17, s5, v15
	v_add_co_u32 v55, vcc_lo, s2, v13
	v_add_co_ci_u32_e32 v56, vcc_lo, s3, v14, vcc_lo
	s_delay_alu instid0(VALU_DEP_4) | instskip(NEXT) | instid1(VALU_DEP_4)
	v_lshlrev_b64 v[19:20], 3, v[15:16]
	v_add_nc_u32_e32 v21, s5, v17
	v_add_co_u32 v53, vcc_lo, s2, v7
	v_add_co_ci_u32_e32 v54, vcc_lo, s3, v8, vcc_lo
	s_delay_alu instid0(VALU_DEP_4) | instskip(NEXT) | instid1(VALU_DEP_4)
	v_add_co_u32 v57, vcc_lo, s2, v19
	v_add_nc_u32_e32 v19, s5, v21
	v_ashrrev_i32_e32 v18, 31, v17
	v_ashrrev_i32_e32 v22, 31, v21
	v_add_co_ci_u32_e32 v58, vcc_lo, s3, v20, vcc_lo
	s_delay_alu instid0(VALU_DEP_4) | instskip(NEXT) | instid1(VALU_DEP_4)
	v_add_nc_u32_e32 v25, s5, v19
	v_lshlrev_b64 v[23:24], 3, v[17:18]
	v_ashrrev_i32_e32 v20, 31, v19
	v_lshlrev_b64 v[21:22], 3, v[21:22]
	s_clause 0x2
	global_load_b64 v[7:8], v[51:52], off
	global_load_b64 v[13:14], v[55:56], off
	;; [unrolled: 1-line block ×3, first 2 shown]
	v_add_nc_u32_e32 v27, s5, v25
	v_ashrrev_i32_e32 v26, 31, v25
	v_add_co_u32 v61, vcc_lo, s2, v23
	v_add_co_ci_u32_e32 v62, vcc_lo, s3, v24, vcc_lo
	s_delay_alu instid0(VALU_DEP_4)
	v_add_nc_u32_e32 v29, s5, v27
	v_lshlrev_b64 v[23:24], 3, v[19:20]
	v_ashrrev_i32_e32 v28, 31, v27
	v_add_co_u32 v59, vcc_lo, s2, v21
	v_lshlrev_b64 v[25:26], 3, v[25:26]
	v_add_nc_u32_e32 v31, s5, v29
	v_add_co_ci_u32_e32 v60, vcc_lo, s3, v22, vcc_lo
	v_add_co_u32 v63, vcc_lo, s2, v23
	v_lshlrev_b64 v[27:28], 3, v[27:28]
	v_ashrrev_i32_e32 v30, 31, v29
	v_add_co_ci_u32_e32 v64, vcc_lo, s3, v24, vcc_lo
	v_add_co_u32 v65, vcc_lo, s2, v25
	v_ashrrev_i32_e32 v32, 31, v31
	v_add_nc_u32_e32 v33, s5, v31
	v_add_co_ci_u32_e32 v66, vcc_lo, s3, v26, vcc_lo
	v_lshlrev_b64 v[25:26], 3, v[29:30]
	v_add_co_u32 v67, vcc_lo, s2, v27
	s_clause 0x3
	global_load_b64 v[17:18], v[57:58], off
	global_load_b64 v[19:20], v[61:62], off
	;; [unrolled: 1-line block ×4, first 2 shown]
	v_add_co_ci_u32_e32 v68, vcc_lo, s3, v28, vcc_lo
	v_lshlrev_b64 v[27:28], 3, v[31:32]
	v_add_nc_u32_e32 v35, s5, v33
	v_add_co_u32 v69, vcc_lo, s2, v25
	v_add_co_ci_u32_e32 v70, vcc_lo, s3, v26, vcc_lo
	v_ashrrev_i32_e32 v34, 31, v33
	v_add_co_u32 v71, vcc_lo, s2, v27
	v_add_nc_u32_e32 v37, s5, v35
	v_add_co_ci_u32_e32 v72, vcc_lo, s3, v28, vcc_lo
	v_ashrrev_i32_e32 v36, 31, v35
	v_lshlrev_b64 v[33:34], 3, v[33:34]
	s_clause 0x3
	global_load_b64 v[25:26], v[65:66], off
	global_load_b64 v[27:28], v[67:68], off
	;; [unrolled: 1-line block ×4, first 2 shown]
	v_add_nc_u32_e32 v81, s5, v37
	v_ashrrev_i32_e32 v38, 31, v37
	v_lshlrev_b64 v[35:36], 3, v[35:36]
	v_add_co_u32 v73, vcc_lo, s2, v33
	s_delay_alu instid0(VALU_DEP_4)
	v_ashrrev_i32_e32 v82, 31, v81
	v_add_co_ci_u32_e32 v74, vcc_lo, s3, v34, vcc_lo
	v_lshlrev_b64 v[37:38], 3, v[37:38]
	v_add_co_u32 v75, vcc_lo, s2, v35
	v_add_co_ci_u32_e32 v76, vcc_lo, s3, v36, vcc_lo
	v_lshlrev_b64 v[35:36], 3, v[81:82]
	s_delay_alu instid0(VALU_DEP_4)
	v_add_co_u32 v77, vcc_lo, s2, v37
	v_add_co_ci_u32_e32 v78, vcc_lo, s3, v38, vcc_lo
	global_load_b64 v[33:34], v[73:74], off
	v_add_co_u32 v79, vcc_lo, s2, v35
	v_add_co_ci_u32_e32 v80, vcc_lo, s3, v36, vcc_lo
	s_clause 0x2
	global_load_b64 v[35:36], v[75:76], off
	global_load_b64 v[37:38], v[77:78], off
	;; [unrolled: 1-line block ×3, first 2 shown]
	v_add_nc_u32_e32 v81, s5, v81
	s_delay_alu instid0(VALU_DEP_1) | instskip(SKIP_1) | instid1(VALU_DEP_2)
	v_add_nc_u32_e32 v83, s5, v81
	v_ashrrev_i32_e32 v82, 31, v81
	v_add_nc_u32_e32 v85, s5, v83
	v_ashrrev_i32_e32 v84, 31, v83
	s_delay_alu instid0(VALU_DEP_3) | instskip(NEXT) | instid1(VALU_DEP_3)
	v_lshlrev_b64 v[81:82], 3, v[81:82]
	v_add_nc_u32_e32 v87, s5, v85
	v_ashrrev_i32_e32 v86, 31, v85
	s_delay_alu instid0(VALU_DEP_4) | instskip(NEXT) | instid1(VALU_DEP_4)
	v_lshlrev_b64 v[83:84], 3, v[83:84]
	v_add_co_u32 v81, vcc_lo, s2, v81
	s_delay_alu instid0(VALU_DEP_4) | instskip(SKIP_3) | instid1(VALU_DEP_4)
	v_add_nc_u32_e32 v89, s5, v87
	v_ashrrev_i32_e32 v88, 31, v87
	v_add_co_ci_u32_e32 v82, vcc_lo, s3, v82, vcc_lo
	v_lshlrev_b64 v[100:101], 3, v[85:86]
	v_add_nc_u32_e32 v91, s5, v89
	v_add_co_u32 v85, vcc_lo, s2, v83
	v_add_co_ci_u32_e32 v86, vcc_lo, s3, v84, vcc_lo
	s_delay_alu instid0(VALU_DEP_3) | instskip(SKIP_3) | instid1(VALU_DEP_4)
	v_add_nc_u32_e32 v93, s5, v91
	v_lshlrev_b64 v[83:84], 3, v[87:88]
	v_ashrrev_i32_e32 v90, 31, v89
	v_add_co_u32 v87, vcc_lo, s2, v100
	v_add_nc_u32_e32 v95, s5, v93
	v_add_co_ci_u32_e32 v88, vcc_lo, s3, v101, vcc_lo
	v_ashrrev_i32_e32 v92, 31, v91
	v_lshlrev_b64 v[100:101], 3, v[89:90]
	s_delay_alu instid0(VALU_DEP_4) | instskip(SKIP_2) | instid1(VALU_DEP_3)
	v_add_nc_u32_e32 v102, s5, v95
	v_add_co_u32 v89, vcc_lo, s2, v83
	v_add_co_ci_u32_e32 v90, vcc_lo, s3, v84, vcc_lo
	v_add_nc_u32_e32 v112, s5, v102
	v_ashrrev_i32_e32 v94, 31, v93
	v_lshlrev_b64 v[115:116], 3, v[91:92]
	v_ashrrev_i32_e32 v96, 31, v95
	global_load_b64 v[98:99], v[81:82], off
	v_add_nc_u32_e32 v114, s5, v112
	v_lshlrev_b64 v[93:94], 3, v[93:94]
	v_ashrrev_i32_e32 v113, 31, v112
	s_delay_alu instid0(VALU_DEP_3) | instskip(NEXT) | instid1(VALU_DEP_1)
	v_add_nc_u32_e32 v120, s5, v114
	v_add_nc_u32_e32 v122, s5, v120
	v_ashrrev_i32_e32 v121, 31, v120
	s_delay_alu instid0(VALU_DEP_2) | instskip(SKIP_1) | instid1(VALU_DEP_2)
	v_add_nc_u32_e32 v124, s5, v122
	v_ashrrev_i32_e32 v123, 31, v122
	v_add_nc_u32_e32 v126, s5, v124
	v_ashrrev_i32_e32 v125, 31, v124
	s_delay_alu instid0(VALU_DEP_2) | instskip(SKIP_1) | instid1(VALU_DEP_2)
	v_add_nc_u32_e32 v128, s5, v126
	v_ashrrev_i32_e32 v127, 31, v126
	;; [unrolled: 5-line block ×6, first 2 shown]
	v_ashrrev_i32_e32 v104, 31, v103
	s_delay_alu instid0(VALU_DEP_1) | instskip(NEXT) | instid1(VALU_DEP_1)
	v_lshlrev_b64 v[103:104], 3, v[103:104]
	v_add_co_u32 v83, vcc_lo, s2, v103
	s_delay_alu instid0(VALU_DEP_2)
	v_add_co_ci_u32_e32 v84, vcc_lo, s3, v104, vcc_lo
	v_add_co_u32 v91, vcc_lo, s2, v100
	v_ashrrev_i32_e32 v103, 31, v102
	global_load_b64 v[104:105], v[83:84], off
	v_add_co_ci_u32_e32 v92, vcc_lo, s3, v101, vcc_lo
	s_waitcnt vmcnt(20)
	scratch_store_b128 off, v[1:4], off
	s_waitcnt vmcnt(18)
	scratch_store_b128 off, v[9:12], off offset:16
	v_add_co_u32 v1, vcc_lo, s2, v115
	v_lshlrev_b64 v[9:10], 3, v[95:96]
	v_add_co_ci_u32_e32 v2, vcc_lo, s3, v116, vcc_lo
	v_add_co_u32 v3, vcc_lo, s2, v93
	v_lshlrev_b64 v[11:12], 3, v[102:103]
	v_ashrrev_i32_e32 v115, 31, v114
	v_add_co_ci_u32_e32 v4, vcc_lo, s3, v94, vcc_lo
	v_add_co_u32 v9, vcc_lo, s2, v9
	v_lshlrev_b64 v[93:94], 3, v[112:113]
	v_add_co_ci_u32_e32 v10, vcc_lo, s3, v10, vcc_lo
	v_add_co_u32 v11, vcc_lo, s2, v11
	v_lshlrev_b64 v[95:96], 3, v[114:115]
	v_add_co_ci_u32_e32 v12, vcc_lo, s3, v12, vcc_lo
	s_clause 0x3
	global_load_b64 v[100:101], v[85:86], off
	global_load_b64 v[106:107], v[87:88], off
	;; [unrolled: 1-line block ×4, first 2 shown]
	s_waitcnt vmcnt(20)
	scratch_store_b128 off, v[5:8], off offset:32
	s_waitcnt vmcnt(18)
	scratch_store_b128 off, v[13:16], off offset:48
	v_add_co_u32 v5, vcc_lo, s2, v93
	v_lshlrev_b64 v[13:14], 3, v[120:121]
	v_add_co_ci_u32_e32 v6, vcc_lo, s3, v94, vcc_lo
	v_add_co_u32 v7, vcc_lo, s2, v95
	v_lshlrev_b64 v[15:16], 3, v[122:123]
	v_add_co_ci_u32_e32 v8, vcc_lo, s3, v96, vcc_lo
	;; [unrolled: 3-line block ×4, first 2 shown]
	s_clause 0x3
	global_load_b64 v[112:113], v[1:2], off
	global_load_b64 v[114:115], v[3:4], off
	;; [unrolled: 1-line block ×4, first 2 shown]
	s_waitcnt vmcnt(20)
	scratch_store_b128 off, v[17:20], off offset:64
	s_waitcnt vmcnt(18)
	scratch_store_b128 off, v[21:24], off offset:80
	v_add_co_u32 v17, vcc_lo, s2, v93
	v_lshlrev_b64 v[21:22], 3, v[128:129]
	v_add_co_ci_u32_e32 v18, vcc_lo, s3, v94, vcc_lo
	v_add_co_u32 v19, vcc_lo, s2, v95
	v_lshlrev_b64 v[23:24], 3, v[130:131]
	v_add_co_ci_u32_e32 v20, vcc_lo, s3, v96, vcc_lo
	;; [unrolled: 3-line block ×4, first 2 shown]
	s_clause 0x3
	global_load_b64 v[120:121], v[5:6], off
	global_load_b64 v[122:123], v[7:8], off
	;; [unrolled: 1-line block ×4, first 2 shown]
	s_waitcnt vmcnt(20)
	scratch_store_b128 off, v[25:28], off offset:96
	s_waitcnt vmcnt(18)
	scratch_store_b128 off, v[29:32], off offset:112
	v_add_co_u32 v25, vcc_lo, s2, v93
	v_lshlrev_b64 v[29:30], 3, v[136:137]
	v_add_co_ci_u32_e32 v26, vcc_lo, s3, v94, vcc_lo
	v_add_co_u32 v27, vcc_lo, s2, v95
	v_add_co_ci_u32_e32 v28, vcc_lo, s3, v96, vcc_lo
	v_lshlrev_b64 v[93:94], 3, v[138:139]
	v_add_co_u32 v31, vcc_lo, s2, v29
	v_add_co_ci_u32_e32 v32, vcc_lo, s3, v30, vcc_lo
	v_lshlrev_b64 v[29:30], 3, v[140:141]
	s_delay_alu instid0(VALU_DEP_4) | instskip(SKIP_2) | instid1(VALU_DEP_4)
	v_add_co_u32 v93, vcc_lo, s2, v93
	v_lshlrev_b64 v[102:103], 3, v[142:143]
	v_add_co_ci_u32_e32 v94, vcc_lo, s3, v94, vcc_lo
	v_add_co_u32 v95, vcc_lo, s2, v29
	v_add_co_ci_u32_e32 v96, vcc_lo, s3, v30, vcc_lo
	s_delay_alu instid0(VALU_DEP_4)
	v_add_co_u32 v29, vcc_lo, s2, v102
	v_add_co_ci_u32_e32 v30, vcc_lo, s3, v103, vcc_lo
	s_clause 0x3
	global_load_b64 v[128:129], v[17:18], off
	global_load_b64 v[130:131], v[19:20], off
	;; [unrolled: 1-line block ×4, first 2 shown]
	s_waitcnt vmcnt(20)
	scratch_store_b128 off, v[33:36], off offset:128
	s_clause 0x2
	global_load_b64 v[136:137], v[25:26], off
	global_load_b64 v[138:139], v[27:28], off
	;; [unrolled: 1-line block ×3, first 2 shown]
	s_waitcnt vmcnt(21)
	scratch_store_b128 off, v[37:40], off offset:144
	s_clause 0x2
	global_load_b64 v[35:36], v[93:94], off
	global_load_b64 v[37:38], v[95:96], off
	;; [unrolled: 1-line block ×3, first 2 shown]
	v_mov_b32_e32 v33, 0
	v_mov_b32_e32 v34, 0xbff00000
	s_cselect_b32 s2, -1, 0
	s_cmpk_eq_i32 s1, 0x84
	s_waitcnt vmcnt(21)
	scratch_store_b128 off, v[98:101], off offset:160
	s_waitcnt vmcnt(19)
	scratch_store_b128 off, v[106:109], off offset:176
	s_waitcnt vmcnt(17)
	scratch_store_b128 off, v[110:113], off offset:192
	s_waitcnt vmcnt(15)
	scratch_store_b128 off, v[114:117], off offset:208
	s_waitcnt vmcnt(13)
	scratch_store_b128 off, v[118:121], off offset:224
	s_waitcnt vmcnt(11)
	scratch_store_b128 off, v[122:125], off offset:240
	s_waitcnt vmcnt(9)
	scratch_store_b128 off, v[126:129], off offset:256
	s_waitcnt vmcnt(7)
	scratch_store_b128 off, v[130:133], off offset:272
	s_waitcnt vmcnt(5)
	scratch_store_b128 off, v[134:137], off offset:288
	s_waitcnt vmcnt(3)
	scratch_store_b128 off, v[138:141], off offset:304
	s_waitcnt vmcnt(1)
	scratch_store_b128 off, v[35:38], off offset:320
	s_waitcnt vmcnt(0)
	scratch_store_b128 off, v[102:105], off offset:336
	s_cbranch_scc1 .LBB43_3
; %bb.2:
	scratch_load_b64 v[33:34], v97, off
	s_waitcnt vmcnt(0)
	v_div_scale_f64 v[35:36], null, v[33:34], v[33:34], 1.0
	v_div_scale_f64 v[98:99], vcc_lo, 1.0, v[33:34], 1.0
	s_delay_alu instid0(VALU_DEP_2) | instskip(SKIP_2) | instid1(VALU_DEP_1)
	v_rcp_f64_e32 v[37:38], v[35:36]
	s_waitcnt_depctr 0xfff
	v_fma_f64 v[39:40], -v[35:36], v[37:38], 1.0
	v_fma_f64 v[37:38], v[37:38], v[39:40], v[37:38]
	s_delay_alu instid0(VALU_DEP_1) | instskip(NEXT) | instid1(VALU_DEP_1)
	v_fma_f64 v[39:40], -v[35:36], v[37:38], 1.0
	v_fma_f64 v[37:38], v[37:38], v[39:40], v[37:38]
	s_delay_alu instid0(VALU_DEP_1) | instskip(NEXT) | instid1(VALU_DEP_1)
	v_mul_f64 v[39:40], v[98:99], v[37:38]
	v_fma_f64 v[35:36], -v[35:36], v[39:40], v[98:99]
	s_delay_alu instid0(VALU_DEP_1) | instskip(NEXT) | instid1(VALU_DEP_1)
	v_div_fmas_f64 v[35:36], v[35:36], v[37:38], v[39:40]
	v_div_fixup_f64 v[33:34], v[35:36], v[33:34], 1.0
	scratch_store_b64 v97, v[33:34], off
	v_xor_b32_e32 v34, 0x80000000, v34
.LBB43_3:
	v_add_nc_u32_e32 v35, 0x160, v97
	v_add_nc_u32_e32 v36, 0, v97
	s_cmpk_eq_i32 s0, 0x79
	s_mov_b32 s0, -1
	ds_store_b64 v97, v[33:34]
	s_cbranch_scc1 .LBB43_429
; %bb.4:
	scratch_load_b64 v[33:34], off, off offset:336
	v_cmp_eq_u32_e64 s0, 43, v0
	s_movk_i32 s1, 0x50
	s_movk_i32 s3, 0x60
	;; [unrolled: 1-line block ×16, first 2 shown]
	s_waitcnt vmcnt(0)
	ds_store_b64 v35, v[33:34]
	s_waitcnt lgkmcnt(0)
	s_waitcnt_vscnt null, 0x0
	s_barrier
	buffer_gl0_inv
	s_and_saveexec_b32 s18, s0
	s_cbranch_execz .LBB43_10
; %bb.5:
	s_and_b32 vcc_lo, exec_lo, s2
	s_cbranch_vccz .LBB43_7
; %bb.6:
	scratch_load_b64 v[33:34], v36, off
	ds_load_b64 v[37:38], v35
	s_waitcnt vmcnt(0) lgkmcnt(0)
	v_mul_f64 v[33:34], v[33:34], v[37:38]
	s_cbranch_execz .LBB43_8
	s_branch .LBB43_9
.LBB43_7:
                                        ; implicit-def: $vgpr33_vgpr34
.LBB43_8:
	ds_load_b64 v[33:34], v35
.LBB43_9:
	v_mov_b32_e32 v37, 0
	ds_load_b64 v[37:38], v37 offset:336
	s_waitcnt lgkmcnt(0)
	v_mul_f64 v[33:34], v[33:34], v[37:38]
	scratch_store_b64 off, v[33:34], off offset:336
.LBB43_10:
	s_or_b32 exec_lo, exec_lo, s18
	scratch_load_b64 v[33:34], off, off offset:328
	v_add_nc_u32_e64 v37, 0, 16
	v_add_nc_u32_e64 v38, 0, 32
	;; [unrolled: 1-line block ×20, first 2 shown]
	v_cmp_lt_u32_e64 s1, 41, v0
	s_waitcnt vmcnt(0)
	ds_store_b64 v35, v[33:34]
	s_waitcnt lgkmcnt(0)
	s_waitcnt_vscnt null, 0x0
	s_barrier
	buffer_gl0_inv
	s_and_saveexec_b32 s3, s1
	s_cbranch_execz .LBB43_18
; %bb.11:
	s_and_not1_b32 vcc_lo, exec_lo, s2
	s_cbranch_vccnz .LBB43_13
; %bb.12:
	scratch_load_b64 v[33:34], v36, off
	ds_load_b64 v[114:115], v35
	s_waitcnt vmcnt(0) lgkmcnt(0)
	v_mul_f64 v[33:34], v[33:34], v[114:115]
	s_cbranch_execz .LBB43_14
	s_branch .LBB43_15
.LBB43_13:
                                        ; implicit-def: $vgpr33_vgpr34
.LBB43_14:
	ds_load_b64 v[33:34], v35
.LBB43_15:
	s_and_saveexec_b32 s4, s0
	s_cbranch_execz .LBB43_17
; %bb.16:
	scratch_load_b64 v[114:115], off, off offset:336
	v_mov_b32_e32 v116, 0
	ds_load_b64 v[116:117], v116 offset:688
	s_waitcnt vmcnt(0) lgkmcnt(0)
	v_fma_f64 v[33:34], v[114:115], v[116:117], v[33:34]
.LBB43_17:
	s_or_b32 exec_lo, exec_lo, s4
	v_mov_b32_e32 v114, 0
	ds_load_b64 v[114:115], v114 offset:328
	s_waitcnt lgkmcnt(0)
	v_mul_f64 v[33:34], v[33:34], v[114:115]
	scratch_store_b64 off, v[33:34], off offset:328
.LBB43_18:
	s_or_b32 exec_lo, exec_lo, s3
	scratch_load_b64 v[33:34], off, off offset:320
	v_cmp_lt_u32_e64 s0, 40, v0
	s_waitcnt vmcnt(0)
	ds_store_b64 v35, v[33:34]
	s_waitcnt lgkmcnt(0)
	s_waitcnt_vscnt null, 0x0
	s_barrier
	buffer_gl0_inv
	s_and_saveexec_b32 s3, s0
	s_cbranch_execz .LBB43_28
; %bb.19:
	s_and_not1_b32 vcc_lo, exec_lo, s2
	s_cbranch_vccnz .LBB43_21
; %bb.20:
	scratch_load_b64 v[33:34], v36, off
	ds_load_b64 v[114:115], v35
	s_waitcnt vmcnt(0) lgkmcnt(0)
	v_mul_f64 v[33:34], v[33:34], v[114:115]
	s_cbranch_execz .LBB43_22
	s_branch .LBB43_23
.LBB43_21:
                                        ; implicit-def: $vgpr33_vgpr34
.LBB43_22:
	ds_load_b64 v[33:34], v35
.LBB43_23:
	s_and_saveexec_b32 s4, s1
	s_cbranch_execz .LBB43_27
; %bb.24:
	v_mov_b32_e32 v114, 0
	v_subrev_nc_u32_e32 v115, 41, v0
	s_movk_i32 s5, 0x2a8
	s_mov_b32 s1, 0
	s_delay_alu instid0(VALU_DEP_2)
	v_add_nc_u32_e32 v114, 0x148, v114
.LBB43_25:                              ; =>This Inner Loop Header: Depth=1
	scratch_load_b64 v[116:117], v114, off
	v_dual_mov_b32 v118, s5 :: v_dual_add_nc_u32 v115, -1, v115
	v_add_nc_u32_e32 v114, 8, v114
	s_add_i32 s5, s5, 8
	ds_load_b64 v[118:119], v118
	v_cmp_eq_u32_e32 vcc_lo, 0, v115
	s_or_b32 s1, vcc_lo, s1
	s_waitcnt vmcnt(0) lgkmcnt(0)
	v_fma_f64 v[33:34], v[116:117], v[118:119], v[33:34]
	s_and_not1_b32 exec_lo, exec_lo, s1
	s_cbranch_execnz .LBB43_25
; %bb.26:
	s_or_b32 exec_lo, exec_lo, s1
.LBB43_27:
	s_delay_alu instid0(SALU_CYCLE_1)
	s_or_b32 exec_lo, exec_lo, s4
	v_mov_b32_e32 v114, 0
	ds_load_b64 v[114:115], v114 offset:320
	s_waitcnt lgkmcnt(0)
	v_mul_f64 v[33:34], v[33:34], v[114:115]
	scratch_store_b64 off, v[33:34], off offset:320
.LBB43_28:
	s_or_b32 exec_lo, exec_lo, s3
	scratch_load_b64 v[33:34], off, off offset:312
	v_cmp_lt_u32_e64 s1, 39, v0
	s_waitcnt vmcnt(0)
	ds_store_b64 v35, v[33:34]
	s_waitcnt lgkmcnt(0)
	s_waitcnt_vscnt null, 0x0
	s_barrier
	buffer_gl0_inv
	s_and_saveexec_b32 s3, s1
	s_cbranch_execz .LBB43_38
; %bb.29:
	s_and_not1_b32 vcc_lo, exec_lo, s2
	s_cbranch_vccnz .LBB43_31
; %bb.30:
	scratch_load_b64 v[33:34], v36, off
	ds_load_b64 v[114:115], v35
	s_waitcnt vmcnt(0) lgkmcnt(0)
	v_mul_f64 v[33:34], v[33:34], v[114:115]
	s_cbranch_execz .LBB43_32
	s_branch .LBB43_33
.LBB43_31:
                                        ; implicit-def: $vgpr33_vgpr34
.LBB43_32:
	ds_load_b64 v[33:34], v35
.LBB43_33:
	s_and_saveexec_b32 s4, s0
	s_cbranch_execz .LBB43_37
; %bb.34:
	v_subrev_nc_u32_e32 v114, 40, v0
	s_movk_i32 s5, 0x2a0
	s_mov_b32 s0, 0
.LBB43_35:                              ; =>This Inner Loop Header: Depth=1
	scratch_load_b64 v[115:116], v113, off
	v_dual_mov_b32 v117, s5 :: v_dual_add_nc_u32 v114, -1, v114
	v_add_nc_u32_e32 v113, 8, v113
	s_add_i32 s5, s5, 8
	ds_load_b64 v[117:118], v117
	v_cmp_eq_u32_e32 vcc_lo, 0, v114
	s_or_b32 s0, vcc_lo, s0
	s_waitcnt vmcnt(0) lgkmcnt(0)
	v_fma_f64 v[33:34], v[115:116], v[117:118], v[33:34]
	s_and_not1_b32 exec_lo, exec_lo, s0
	s_cbranch_execnz .LBB43_35
; %bb.36:
	s_or_b32 exec_lo, exec_lo, s0
.LBB43_37:
	s_delay_alu instid0(SALU_CYCLE_1)
	s_or_b32 exec_lo, exec_lo, s4
	v_mov_b32_e32 v113, 0
	ds_load_b64 v[113:114], v113 offset:312
	s_waitcnt lgkmcnt(0)
	v_mul_f64 v[33:34], v[33:34], v[113:114]
	scratch_store_b64 off, v[33:34], off offset:312
.LBB43_38:
	s_or_b32 exec_lo, exec_lo, s3
	scratch_load_b64 v[33:34], off, off offset:304
	v_cmp_lt_u32_e64 s0, 38, v0
	s_waitcnt vmcnt(0)
	ds_store_b64 v35, v[33:34]
	s_waitcnt lgkmcnt(0)
	s_waitcnt_vscnt null, 0x0
	s_barrier
	buffer_gl0_inv
	s_and_saveexec_b32 s3, s0
	s_cbranch_execz .LBB43_48
; %bb.39:
	s_and_not1_b32 vcc_lo, exec_lo, s2
	s_cbranch_vccnz .LBB43_41
; %bb.40:
	scratch_load_b64 v[33:34], v36, off
	ds_load_b64 v[113:114], v35
	s_waitcnt vmcnt(0) lgkmcnt(0)
	v_mul_f64 v[33:34], v[33:34], v[113:114]
	s_cbranch_execz .LBB43_42
	s_branch .LBB43_43
.LBB43_41:
                                        ; implicit-def: $vgpr33_vgpr34
.LBB43_42:
	ds_load_b64 v[33:34], v35
.LBB43_43:
	s_and_saveexec_b32 s4, s1
	s_cbranch_execz .LBB43_47
; %bb.44:
	v_mov_b32_e32 v113, 0
	v_subrev_nc_u32_e32 v114, 39, v0
	s_movk_i32 s5, 0x298
	s_mov_b32 s1, 0
	s_delay_alu instid0(VALU_DEP_2)
	v_add_nc_u32_e32 v113, 0x138, v113
.LBB43_45:                              ; =>This Inner Loop Header: Depth=1
	scratch_load_b64 v[115:116], v113, off
	v_dual_mov_b32 v117, s5 :: v_dual_add_nc_u32 v114, -1, v114
	v_add_nc_u32_e32 v113, 8, v113
	s_add_i32 s5, s5, 8
	ds_load_b64 v[117:118], v117
	v_cmp_eq_u32_e32 vcc_lo, 0, v114
	s_or_b32 s1, vcc_lo, s1
	s_waitcnt vmcnt(0) lgkmcnt(0)
	v_fma_f64 v[33:34], v[115:116], v[117:118], v[33:34]
	s_and_not1_b32 exec_lo, exec_lo, s1
	s_cbranch_execnz .LBB43_45
; %bb.46:
	s_or_b32 exec_lo, exec_lo, s1
.LBB43_47:
	s_delay_alu instid0(SALU_CYCLE_1)
	s_or_b32 exec_lo, exec_lo, s4
	v_mov_b32_e32 v113, 0
	ds_load_b64 v[113:114], v113 offset:304
	s_waitcnt lgkmcnt(0)
	v_mul_f64 v[33:34], v[33:34], v[113:114]
	scratch_store_b64 off, v[33:34], off offset:304
.LBB43_48:
	s_or_b32 exec_lo, exec_lo, s3
	scratch_load_b64 v[33:34], off, off offset:296
	v_cmp_lt_u32_e64 s1, 37, v0
	s_waitcnt vmcnt(0)
	ds_store_b64 v35, v[33:34]
	s_waitcnt lgkmcnt(0)
	s_waitcnt_vscnt null, 0x0
	s_barrier
	buffer_gl0_inv
	s_and_saveexec_b32 s3, s1
	s_cbranch_execz .LBB43_58
; %bb.49:
	s_and_not1_b32 vcc_lo, exec_lo, s2
	s_cbranch_vccnz .LBB43_51
; %bb.50:
	scratch_load_b64 v[33:34], v36, off
	ds_load_b64 v[113:114], v35
	s_waitcnt vmcnt(0) lgkmcnt(0)
	v_mul_f64 v[33:34], v[33:34], v[113:114]
	s_cbranch_execz .LBB43_52
	s_branch .LBB43_53
.LBB43_51:
                                        ; implicit-def: $vgpr33_vgpr34
.LBB43_52:
	ds_load_b64 v[33:34], v35
.LBB43_53:
	s_and_saveexec_b32 s4, s0
	s_cbranch_execz .LBB43_57
; %bb.54:
	v_subrev_nc_u32_e32 v113, 38, v0
	s_movk_i32 s5, 0x290
	s_mov_b32 s0, 0
.LBB43_55:                              ; =>This Inner Loop Header: Depth=1
	scratch_load_b64 v[114:115], v112, off
	v_dual_mov_b32 v116, s5 :: v_dual_add_nc_u32 v113, -1, v113
	v_add_nc_u32_e32 v112, 8, v112
	s_add_i32 s5, s5, 8
	ds_load_b64 v[116:117], v116
	v_cmp_eq_u32_e32 vcc_lo, 0, v113
	s_or_b32 s0, vcc_lo, s0
	s_waitcnt vmcnt(0) lgkmcnt(0)
	v_fma_f64 v[33:34], v[114:115], v[116:117], v[33:34]
	s_and_not1_b32 exec_lo, exec_lo, s0
	s_cbranch_execnz .LBB43_55
; %bb.56:
	s_or_b32 exec_lo, exec_lo, s0
.LBB43_57:
	s_delay_alu instid0(SALU_CYCLE_1)
	s_or_b32 exec_lo, exec_lo, s4
	v_mov_b32_e32 v112, 0
	ds_load_b64 v[112:113], v112 offset:296
	s_waitcnt lgkmcnt(0)
	v_mul_f64 v[33:34], v[33:34], v[112:113]
	scratch_store_b64 off, v[33:34], off offset:296
.LBB43_58:
	s_or_b32 exec_lo, exec_lo, s3
	scratch_load_b64 v[33:34], off, off offset:288
	v_cmp_lt_u32_e64 s0, 36, v0
	s_waitcnt vmcnt(0)
	ds_store_b64 v35, v[33:34]
	s_waitcnt lgkmcnt(0)
	s_waitcnt_vscnt null, 0x0
	s_barrier
	buffer_gl0_inv
	s_and_saveexec_b32 s3, s0
	s_cbranch_execz .LBB43_68
; %bb.59:
	s_and_not1_b32 vcc_lo, exec_lo, s2
	s_cbranch_vccnz .LBB43_61
; %bb.60:
	scratch_load_b64 v[33:34], v36, off
	ds_load_b64 v[112:113], v35
	s_waitcnt vmcnt(0) lgkmcnt(0)
	v_mul_f64 v[33:34], v[33:34], v[112:113]
	s_cbranch_execz .LBB43_62
	s_branch .LBB43_63
.LBB43_61:
                                        ; implicit-def: $vgpr33_vgpr34
.LBB43_62:
	ds_load_b64 v[33:34], v35
.LBB43_63:
	s_and_saveexec_b32 s4, s1
	s_cbranch_execz .LBB43_67
; %bb.64:
	v_mov_b32_e32 v112, 0
	v_subrev_nc_u32_e32 v113, 37, v0
	s_movk_i32 s5, 0x288
	s_mov_b32 s1, 0
	s_delay_alu instid0(VALU_DEP_2)
	v_add_nc_u32_e32 v112, 0x128, v112
.LBB43_65:                              ; =>This Inner Loop Header: Depth=1
	scratch_load_b64 v[114:115], v112, off
	v_dual_mov_b32 v116, s5 :: v_dual_add_nc_u32 v113, -1, v113
	v_add_nc_u32_e32 v112, 8, v112
	s_add_i32 s5, s5, 8
	ds_load_b64 v[116:117], v116
	v_cmp_eq_u32_e32 vcc_lo, 0, v113
	s_or_b32 s1, vcc_lo, s1
	s_waitcnt vmcnt(0) lgkmcnt(0)
	v_fma_f64 v[33:34], v[114:115], v[116:117], v[33:34]
	s_and_not1_b32 exec_lo, exec_lo, s1
	s_cbranch_execnz .LBB43_65
; %bb.66:
	s_or_b32 exec_lo, exec_lo, s1
.LBB43_67:
	s_delay_alu instid0(SALU_CYCLE_1)
	s_or_b32 exec_lo, exec_lo, s4
	v_mov_b32_e32 v112, 0
	ds_load_b64 v[112:113], v112 offset:288
	s_waitcnt lgkmcnt(0)
	v_mul_f64 v[33:34], v[33:34], v[112:113]
	scratch_store_b64 off, v[33:34], off offset:288
.LBB43_68:
	s_or_b32 exec_lo, exec_lo, s3
	scratch_load_b64 v[33:34], off, off offset:280
	v_cmp_lt_u32_e64 s1, 35, v0
	s_waitcnt vmcnt(0)
	ds_store_b64 v35, v[33:34]
	s_waitcnt lgkmcnt(0)
	s_waitcnt_vscnt null, 0x0
	s_barrier
	buffer_gl0_inv
	s_and_saveexec_b32 s3, s1
	s_cbranch_execz .LBB43_78
; %bb.69:
	s_and_not1_b32 vcc_lo, exec_lo, s2
	s_cbranch_vccnz .LBB43_71
; %bb.70:
	scratch_load_b64 v[33:34], v36, off
	ds_load_b64 v[112:113], v35
	s_waitcnt vmcnt(0) lgkmcnt(0)
	v_mul_f64 v[33:34], v[33:34], v[112:113]
	s_cbranch_execz .LBB43_72
	s_branch .LBB43_73
.LBB43_71:
                                        ; implicit-def: $vgpr33_vgpr34
.LBB43_72:
	ds_load_b64 v[33:34], v35
.LBB43_73:
	s_and_saveexec_b32 s4, s0
	s_cbranch_execz .LBB43_77
; %bb.74:
	v_subrev_nc_u32_e32 v112, 36, v0
	s_movk_i32 s5, 0x280
	s_mov_b32 s0, 0
.LBB43_75:                              ; =>This Inner Loop Header: Depth=1
	scratch_load_b64 v[113:114], v111, off
	v_dual_mov_b32 v115, s5 :: v_dual_add_nc_u32 v112, -1, v112
	v_add_nc_u32_e32 v111, 8, v111
	s_add_i32 s5, s5, 8
	ds_load_b64 v[115:116], v115
	v_cmp_eq_u32_e32 vcc_lo, 0, v112
	s_or_b32 s0, vcc_lo, s0
	s_waitcnt vmcnt(0) lgkmcnt(0)
	v_fma_f64 v[33:34], v[113:114], v[115:116], v[33:34]
	s_and_not1_b32 exec_lo, exec_lo, s0
	s_cbranch_execnz .LBB43_75
; %bb.76:
	s_or_b32 exec_lo, exec_lo, s0
.LBB43_77:
	s_delay_alu instid0(SALU_CYCLE_1)
	s_or_b32 exec_lo, exec_lo, s4
	v_mov_b32_e32 v111, 0
	ds_load_b64 v[111:112], v111 offset:280
	s_waitcnt lgkmcnt(0)
	v_mul_f64 v[33:34], v[33:34], v[111:112]
	scratch_store_b64 off, v[33:34], off offset:280
.LBB43_78:
	s_or_b32 exec_lo, exec_lo, s3
	scratch_load_b64 v[33:34], off, off offset:272
	v_cmp_lt_u32_e64 s0, 34, v0
	s_waitcnt vmcnt(0)
	ds_store_b64 v35, v[33:34]
	s_waitcnt lgkmcnt(0)
	s_waitcnt_vscnt null, 0x0
	s_barrier
	buffer_gl0_inv
	s_and_saveexec_b32 s3, s0
	s_cbranch_execz .LBB43_88
; %bb.79:
	s_and_not1_b32 vcc_lo, exec_lo, s2
	s_cbranch_vccnz .LBB43_81
; %bb.80:
	scratch_load_b64 v[33:34], v36, off
	ds_load_b64 v[111:112], v35
	s_waitcnt vmcnt(0) lgkmcnt(0)
	v_mul_f64 v[33:34], v[33:34], v[111:112]
	s_cbranch_execz .LBB43_82
	s_branch .LBB43_83
.LBB43_81:
                                        ; implicit-def: $vgpr33_vgpr34
.LBB43_82:
	ds_load_b64 v[33:34], v35
.LBB43_83:
	s_and_saveexec_b32 s4, s1
	s_cbranch_execz .LBB43_87
; %bb.84:
	v_mov_b32_e32 v111, 0
	v_subrev_nc_u32_e32 v112, 35, v0
	s_movk_i32 s5, 0x278
	s_mov_b32 s1, 0
	s_delay_alu instid0(VALU_DEP_2)
	v_add_nc_u32_e32 v111, 0x118, v111
.LBB43_85:                              ; =>This Inner Loop Header: Depth=1
	scratch_load_b64 v[113:114], v111, off
	v_dual_mov_b32 v115, s5 :: v_dual_add_nc_u32 v112, -1, v112
	v_add_nc_u32_e32 v111, 8, v111
	s_add_i32 s5, s5, 8
	ds_load_b64 v[115:116], v115
	v_cmp_eq_u32_e32 vcc_lo, 0, v112
	s_or_b32 s1, vcc_lo, s1
	s_waitcnt vmcnt(0) lgkmcnt(0)
	v_fma_f64 v[33:34], v[113:114], v[115:116], v[33:34]
	s_and_not1_b32 exec_lo, exec_lo, s1
	s_cbranch_execnz .LBB43_85
; %bb.86:
	s_or_b32 exec_lo, exec_lo, s1
.LBB43_87:
	s_delay_alu instid0(SALU_CYCLE_1)
	s_or_b32 exec_lo, exec_lo, s4
	v_mov_b32_e32 v111, 0
	ds_load_b64 v[111:112], v111 offset:272
	s_waitcnt lgkmcnt(0)
	v_mul_f64 v[33:34], v[33:34], v[111:112]
	scratch_store_b64 off, v[33:34], off offset:272
.LBB43_88:
	s_or_b32 exec_lo, exec_lo, s3
	scratch_load_b64 v[33:34], off, off offset:264
	v_cmp_lt_u32_e64 s1, 33, v0
	s_waitcnt vmcnt(0)
	ds_store_b64 v35, v[33:34]
	s_waitcnt lgkmcnt(0)
	s_waitcnt_vscnt null, 0x0
	s_barrier
	buffer_gl0_inv
	s_and_saveexec_b32 s3, s1
	s_cbranch_execz .LBB43_98
; %bb.89:
	s_and_not1_b32 vcc_lo, exec_lo, s2
	s_cbranch_vccnz .LBB43_91
; %bb.90:
	scratch_load_b64 v[33:34], v36, off
	ds_load_b64 v[111:112], v35
	s_waitcnt vmcnt(0) lgkmcnt(0)
	v_mul_f64 v[33:34], v[33:34], v[111:112]
	s_cbranch_execz .LBB43_92
	s_branch .LBB43_93
.LBB43_91:
                                        ; implicit-def: $vgpr33_vgpr34
.LBB43_92:
	ds_load_b64 v[33:34], v35
.LBB43_93:
	s_and_saveexec_b32 s4, s0
	s_cbranch_execz .LBB43_97
; %bb.94:
	v_subrev_nc_u32_e32 v111, 34, v0
	s_movk_i32 s5, 0x270
	s_mov_b32 s0, 0
.LBB43_95:                              ; =>This Inner Loop Header: Depth=1
	scratch_load_b64 v[112:113], v110, off
	v_dual_mov_b32 v114, s5 :: v_dual_add_nc_u32 v111, -1, v111
	v_add_nc_u32_e32 v110, 8, v110
	s_add_i32 s5, s5, 8
	ds_load_b64 v[114:115], v114
	v_cmp_eq_u32_e32 vcc_lo, 0, v111
	s_or_b32 s0, vcc_lo, s0
	s_waitcnt vmcnt(0) lgkmcnt(0)
	v_fma_f64 v[33:34], v[112:113], v[114:115], v[33:34]
	s_and_not1_b32 exec_lo, exec_lo, s0
	s_cbranch_execnz .LBB43_95
; %bb.96:
	s_or_b32 exec_lo, exec_lo, s0
.LBB43_97:
	s_delay_alu instid0(SALU_CYCLE_1)
	s_or_b32 exec_lo, exec_lo, s4
	v_mov_b32_e32 v110, 0
	ds_load_b64 v[110:111], v110 offset:264
	s_waitcnt lgkmcnt(0)
	v_mul_f64 v[33:34], v[33:34], v[110:111]
	scratch_store_b64 off, v[33:34], off offset:264
.LBB43_98:
	s_or_b32 exec_lo, exec_lo, s3
	scratch_load_b64 v[33:34], off, off offset:256
	v_cmp_lt_u32_e64 s0, 32, v0
	s_waitcnt vmcnt(0)
	ds_store_b64 v35, v[33:34]
	s_waitcnt lgkmcnt(0)
	s_waitcnt_vscnt null, 0x0
	s_barrier
	buffer_gl0_inv
	s_and_saveexec_b32 s3, s0
	s_cbranch_execz .LBB43_108
; %bb.99:
	s_and_not1_b32 vcc_lo, exec_lo, s2
	s_cbranch_vccnz .LBB43_101
; %bb.100:
	scratch_load_b64 v[33:34], v36, off
	ds_load_b64 v[110:111], v35
	s_waitcnt vmcnt(0) lgkmcnt(0)
	v_mul_f64 v[33:34], v[33:34], v[110:111]
	s_cbranch_execz .LBB43_102
	s_branch .LBB43_103
.LBB43_101:
                                        ; implicit-def: $vgpr33_vgpr34
.LBB43_102:
	ds_load_b64 v[33:34], v35
.LBB43_103:
	s_and_saveexec_b32 s4, s1
	s_cbranch_execz .LBB43_107
; %bb.104:
	v_mov_b32_e32 v110, 0
	v_subrev_nc_u32_e32 v111, 33, v0
	s_movk_i32 s5, 0x268
	s_mov_b32 s1, 0
	s_delay_alu instid0(VALU_DEP_2)
	v_add_nc_u32_e32 v110, 0x108, v110
.LBB43_105:                             ; =>This Inner Loop Header: Depth=1
	scratch_load_b64 v[112:113], v110, off
	v_dual_mov_b32 v114, s5 :: v_dual_add_nc_u32 v111, -1, v111
	v_add_nc_u32_e32 v110, 8, v110
	s_add_i32 s5, s5, 8
	ds_load_b64 v[114:115], v114
	v_cmp_eq_u32_e32 vcc_lo, 0, v111
	s_or_b32 s1, vcc_lo, s1
	s_waitcnt vmcnt(0) lgkmcnt(0)
	v_fma_f64 v[33:34], v[112:113], v[114:115], v[33:34]
	s_and_not1_b32 exec_lo, exec_lo, s1
	s_cbranch_execnz .LBB43_105
; %bb.106:
	s_or_b32 exec_lo, exec_lo, s1
.LBB43_107:
	s_delay_alu instid0(SALU_CYCLE_1)
	s_or_b32 exec_lo, exec_lo, s4
	v_mov_b32_e32 v110, 0
	ds_load_b64 v[110:111], v110 offset:256
	s_waitcnt lgkmcnt(0)
	v_mul_f64 v[33:34], v[33:34], v[110:111]
	scratch_store_b64 off, v[33:34], off offset:256
.LBB43_108:
	s_or_b32 exec_lo, exec_lo, s3
	scratch_load_b64 v[33:34], off, off offset:248
	v_cmp_lt_u32_e64 s1, 31, v0
	s_waitcnt vmcnt(0)
	ds_store_b64 v35, v[33:34]
	s_waitcnt lgkmcnt(0)
	s_waitcnt_vscnt null, 0x0
	s_barrier
	buffer_gl0_inv
	s_and_saveexec_b32 s3, s1
	s_cbranch_execz .LBB43_118
; %bb.109:
	s_and_not1_b32 vcc_lo, exec_lo, s2
	s_cbranch_vccnz .LBB43_111
; %bb.110:
	scratch_load_b64 v[33:34], v36, off
	ds_load_b64 v[110:111], v35
	s_waitcnt vmcnt(0) lgkmcnt(0)
	v_mul_f64 v[33:34], v[33:34], v[110:111]
	s_cbranch_execz .LBB43_112
	s_branch .LBB43_113
.LBB43_111:
                                        ; implicit-def: $vgpr33_vgpr34
.LBB43_112:
	ds_load_b64 v[33:34], v35
.LBB43_113:
	s_and_saveexec_b32 s4, s0
	s_cbranch_execz .LBB43_117
; %bb.114:
	v_subrev_nc_u32_e32 v110, 32, v0
	s_movk_i32 s5, 0x260
	s_mov_b32 s0, 0
.LBB43_115:                             ; =>This Inner Loop Header: Depth=1
	scratch_load_b64 v[111:112], v109, off
	v_dual_mov_b32 v113, s5 :: v_dual_add_nc_u32 v110, -1, v110
	v_add_nc_u32_e32 v109, 8, v109
	s_add_i32 s5, s5, 8
	ds_load_b64 v[113:114], v113
	v_cmp_eq_u32_e32 vcc_lo, 0, v110
	s_or_b32 s0, vcc_lo, s0
	s_waitcnt vmcnt(0) lgkmcnt(0)
	v_fma_f64 v[33:34], v[111:112], v[113:114], v[33:34]
	s_and_not1_b32 exec_lo, exec_lo, s0
	s_cbranch_execnz .LBB43_115
; %bb.116:
	s_or_b32 exec_lo, exec_lo, s0
.LBB43_117:
	s_delay_alu instid0(SALU_CYCLE_1)
	s_or_b32 exec_lo, exec_lo, s4
	v_mov_b32_e32 v109, 0
	ds_load_b64 v[109:110], v109 offset:248
	s_waitcnt lgkmcnt(0)
	v_mul_f64 v[33:34], v[33:34], v[109:110]
	scratch_store_b64 off, v[33:34], off offset:248
.LBB43_118:
	s_or_b32 exec_lo, exec_lo, s3
	scratch_load_b64 v[33:34], off, off offset:240
	v_cmp_lt_u32_e64 s0, 30, v0
	s_waitcnt vmcnt(0)
	ds_store_b64 v35, v[33:34]
	s_waitcnt lgkmcnt(0)
	s_waitcnt_vscnt null, 0x0
	s_barrier
	buffer_gl0_inv
	s_and_saveexec_b32 s3, s0
	s_cbranch_execz .LBB43_128
; %bb.119:
	s_and_not1_b32 vcc_lo, exec_lo, s2
	s_cbranch_vccnz .LBB43_121
; %bb.120:
	scratch_load_b64 v[33:34], v36, off
	ds_load_b64 v[109:110], v35
	s_waitcnt vmcnt(0) lgkmcnt(0)
	v_mul_f64 v[33:34], v[33:34], v[109:110]
	s_cbranch_execz .LBB43_122
	s_branch .LBB43_123
.LBB43_121:
                                        ; implicit-def: $vgpr33_vgpr34
.LBB43_122:
	ds_load_b64 v[33:34], v35
.LBB43_123:
	s_and_saveexec_b32 s4, s1
	s_cbranch_execz .LBB43_127
; %bb.124:
	v_mov_b32_e32 v109, 0
	v_subrev_nc_u32_e32 v110, 31, v0
	s_movk_i32 s5, 0x258
	s_mov_b32 s1, 0
	s_delay_alu instid0(VALU_DEP_2)
	v_add_nc_u32_e32 v109, 0xf8, v109
.LBB43_125:                             ; =>This Inner Loop Header: Depth=1
	scratch_load_b64 v[111:112], v109, off
	v_dual_mov_b32 v113, s5 :: v_dual_add_nc_u32 v110, -1, v110
	v_add_nc_u32_e32 v109, 8, v109
	s_add_i32 s5, s5, 8
	ds_load_b64 v[113:114], v113
	v_cmp_eq_u32_e32 vcc_lo, 0, v110
	s_or_b32 s1, vcc_lo, s1
	s_waitcnt vmcnt(0) lgkmcnt(0)
	v_fma_f64 v[33:34], v[111:112], v[113:114], v[33:34]
	s_and_not1_b32 exec_lo, exec_lo, s1
	s_cbranch_execnz .LBB43_125
; %bb.126:
	s_or_b32 exec_lo, exec_lo, s1
.LBB43_127:
	s_delay_alu instid0(SALU_CYCLE_1)
	s_or_b32 exec_lo, exec_lo, s4
	v_mov_b32_e32 v109, 0
	ds_load_b64 v[109:110], v109 offset:240
	s_waitcnt lgkmcnt(0)
	v_mul_f64 v[33:34], v[33:34], v[109:110]
	scratch_store_b64 off, v[33:34], off offset:240
.LBB43_128:
	s_or_b32 exec_lo, exec_lo, s3
	scratch_load_b64 v[33:34], off, off offset:232
	v_cmp_lt_u32_e64 s1, 29, v0
	s_waitcnt vmcnt(0)
	ds_store_b64 v35, v[33:34]
	s_waitcnt lgkmcnt(0)
	s_waitcnt_vscnt null, 0x0
	s_barrier
	buffer_gl0_inv
	s_and_saveexec_b32 s3, s1
	s_cbranch_execz .LBB43_138
; %bb.129:
	s_and_not1_b32 vcc_lo, exec_lo, s2
	s_cbranch_vccnz .LBB43_131
; %bb.130:
	scratch_load_b64 v[33:34], v36, off
	ds_load_b64 v[109:110], v35
	s_waitcnt vmcnt(0) lgkmcnt(0)
	v_mul_f64 v[33:34], v[33:34], v[109:110]
	s_cbranch_execz .LBB43_132
	s_branch .LBB43_133
.LBB43_131:
                                        ; implicit-def: $vgpr33_vgpr34
.LBB43_132:
	ds_load_b64 v[33:34], v35
.LBB43_133:
	s_and_saveexec_b32 s4, s0
	s_cbranch_execz .LBB43_137
; %bb.134:
	v_subrev_nc_u32_e32 v109, 30, v0
	s_movk_i32 s5, 0x250
	s_mov_b32 s0, 0
.LBB43_135:                             ; =>This Inner Loop Header: Depth=1
	scratch_load_b64 v[110:111], v108, off
	v_dual_mov_b32 v112, s5 :: v_dual_add_nc_u32 v109, -1, v109
	v_add_nc_u32_e32 v108, 8, v108
	s_add_i32 s5, s5, 8
	ds_load_b64 v[112:113], v112
	v_cmp_eq_u32_e32 vcc_lo, 0, v109
	s_or_b32 s0, vcc_lo, s0
	s_waitcnt vmcnt(0) lgkmcnt(0)
	v_fma_f64 v[33:34], v[110:111], v[112:113], v[33:34]
	s_and_not1_b32 exec_lo, exec_lo, s0
	s_cbranch_execnz .LBB43_135
; %bb.136:
	s_or_b32 exec_lo, exec_lo, s0
.LBB43_137:
	s_delay_alu instid0(SALU_CYCLE_1)
	s_or_b32 exec_lo, exec_lo, s4
	v_mov_b32_e32 v108, 0
	ds_load_b64 v[108:109], v108 offset:232
	s_waitcnt lgkmcnt(0)
	v_mul_f64 v[33:34], v[33:34], v[108:109]
	scratch_store_b64 off, v[33:34], off offset:232
.LBB43_138:
	s_or_b32 exec_lo, exec_lo, s3
	scratch_load_b64 v[33:34], off, off offset:224
	v_cmp_lt_u32_e64 s0, 28, v0
	s_waitcnt vmcnt(0)
	ds_store_b64 v35, v[33:34]
	s_waitcnt lgkmcnt(0)
	s_waitcnt_vscnt null, 0x0
	s_barrier
	buffer_gl0_inv
	s_and_saveexec_b32 s3, s0
	s_cbranch_execz .LBB43_148
; %bb.139:
	s_and_not1_b32 vcc_lo, exec_lo, s2
	s_cbranch_vccnz .LBB43_141
; %bb.140:
	scratch_load_b64 v[33:34], v36, off
	ds_load_b64 v[108:109], v35
	s_waitcnt vmcnt(0) lgkmcnt(0)
	v_mul_f64 v[33:34], v[33:34], v[108:109]
	s_cbranch_execz .LBB43_142
	s_branch .LBB43_143
.LBB43_141:
                                        ; implicit-def: $vgpr33_vgpr34
.LBB43_142:
	ds_load_b64 v[33:34], v35
.LBB43_143:
	s_and_saveexec_b32 s4, s1
	s_cbranch_execz .LBB43_147
; %bb.144:
	v_mov_b32_e32 v108, 0
	v_subrev_nc_u32_e32 v109, 29, v0
	s_movk_i32 s5, 0x248
	s_mov_b32 s1, 0
	s_delay_alu instid0(VALU_DEP_2)
	v_add_nc_u32_e32 v108, 0xe8, v108
.LBB43_145:                             ; =>This Inner Loop Header: Depth=1
	scratch_load_b64 v[110:111], v108, off
	v_dual_mov_b32 v112, s5 :: v_dual_add_nc_u32 v109, -1, v109
	v_add_nc_u32_e32 v108, 8, v108
	s_add_i32 s5, s5, 8
	ds_load_b64 v[112:113], v112
	v_cmp_eq_u32_e32 vcc_lo, 0, v109
	s_or_b32 s1, vcc_lo, s1
	s_waitcnt vmcnt(0) lgkmcnt(0)
	v_fma_f64 v[33:34], v[110:111], v[112:113], v[33:34]
	s_and_not1_b32 exec_lo, exec_lo, s1
	s_cbranch_execnz .LBB43_145
; %bb.146:
	s_or_b32 exec_lo, exec_lo, s1
.LBB43_147:
	s_delay_alu instid0(SALU_CYCLE_1)
	s_or_b32 exec_lo, exec_lo, s4
	v_mov_b32_e32 v108, 0
	ds_load_b64 v[108:109], v108 offset:224
	s_waitcnt lgkmcnt(0)
	v_mul_f64 v[33:34], v[33:34], v[108:109]
	scratch_store_b64 off, v[33:34], off offset:224
.LBB43_148:
	s_or_b32 exec_lo, exec_lo, s3
	scratch_load_b64 v[33:34], off, off offset:216
	v_cmp_lt_u32_e64 s1, 27, v0
	s_waitcnt vmcnt(0)
	ds_store_b64 v35, v[33:34]
	s_waitcnt lgkmcnt(0)
	s_waitcnt_vscnt null, 0x0
	s_barrier
	buffer_gl0_inv
	s_and_saveexec_b32 s3, s1
	s_cbranch_execz .LBB43_158
; %bb.149:
	s_and_not1_b32 vcc_lo, exec_lo, s2
	s_cbranch_vccnz .LBB43_151
; %bb.150:
	scratch_load_b64 v[33:34], v36, off
	ds_load_b64 v[108:109], v35
	s_waitcnt vmcnt(0) lgkmcnt(0)
	v_mul_f64 v[33:34], v[33:34], v[108:109]
	s_cbranch_execz .LBB43_152
	s_branch .LBB43_153
.LBB43_151:
                                        ; implicit-def: $vgpr33_vgpr34
.LBB43_152:
	ds_load_b64 v[33:34], v35
.LBB43_153:
	s_and_saveexec_b32 s4, s0
	s_cbranch_execz .LBB43_157
; %bb.154:
	v_subrev_nc_u32_e32 v108, 28, v0
	s_movk_i32 s5, 0x240
	s_mov_b32 s0, 0
.LBB43_155:                             ; =>This Inner Loop Header: Depth=1
	scratch_load_b64 v[109:110], v107, off
	v_dual_mov_b32 v111, s5 :: v_dual_add_nc_u32 v108, -1, v108
	v_add_nc_u32_e32 v107, 8, v107
	s_add_i32 s5, s5, 8
	ds_load_b64 v[111:112], v111
	v_cmp_eq_u32_e32 vcc_lo, 0, v108
	s_or_b32 s0, vcc_lo, s0
	s_waitcnt vmcnt(0) lgkmcnt(0)
	v_fma_f64 v[33:34], v[109:110], v[111:112], v[33:34]
	s_and_not1_b32 exec_lo, exec_lo, s0
	s_cbranch_execnz .LBB43_155
; %bb.156:
	s_or_b32 exec_lo, exec_lo, s0
.LBB43_157:
	s_delay_alu instid0(SALU_CYCLE_1)
	s_or_b32 exec_lo, exec_lo, s4
	v_mov_b32_e32 v107, 0
	ds_load_b64 v[107:108], v107 offset:216
	s_waitcnt lgkmcnt(0)
	v_mul_f64 v[33:34], v[33:34], v[107:108]
	scratch_store_b64 off, v[33:34], off offset:216
.LBB43_158:
	s_or_b32 exec_lo, exec_lo, s3
	scratch_load_b64 v[33:34], off, off offset:208
	v_cmp_lt_u32_e64 s0, 26, v0
	s_waitcnt vmcnt(0)
	ds_store_b64 v35, v[33:34]
	s_waitcnt lgkmcnt(0)
	s_waitcnt_vscnt null, 0x0
	s_barrier
	buffer_gl0_inv
	s_and_saveexec_b32 s3, s0
	s_cbranch_execz .LBB43_168
; %bb.159:
	s_and_not1_b32 vcc_lo, exec_lo, s2
	s_cbranch_vccnz .LBB43_161
; %bb.160:
	scratch_load_b64 v[33:34], v36, off
	ds_load_b64 v[107:108], v35
	s_waitcnt vmcnt(0) lgkmcnt(0)
	v_mul_f64 v[33:34], v[33:34], v[107:108]
	s_cbranch_execz .LBB43_162
	s_branch .LBB43_163
.LBB43_161:
                                        ; implicit-def: $vgpr33_vgpr34
.LBB43_162:
	ds_load_b64 v[33:34], v35
.LBB43_163:
	s_and_saveexec_b32 s4, s1
	s_cbranch_execz .LBB43_167
; %bb.164:
	v_mov_b32_e32 v107, 0
	v_subrev_nc_u32_e32 v108, 27, v0
	s_movk_i32 s5, 0x238
	s_mov_b32 s1, 0
	s_delay_alu instid0(VALU_DEP_2)
	v_add_nc_u32_e32 v107, 0xd8, v107
.LBB43_165:                             ; =>This Inner Loop Header: Depth=1
	scratch_load_b64 v[109:110], v107, off
	v_dual_mov_b32 v111, s5 :: v_dual_add_nc_u32 v108, -1, v108
	v_add_nc_u32_e32 v107, 8, v107
	s_add_i32 s5, s5, 8
	ds_load_b64 v[111:112], v111
	v_cmp_eq_u32_e32 vcc_lo, 0, v108
	s_or_b32 s1, vcc_lo, s1
	s_waitcnt vmcnt(0) lgkmcnt(0)
	v_fma_f64 v[33:34], v[109:110], v[111:112], v[33:34]
	s_and_not1_b32 exec_lo, exec_lo, s1
	s_cbranch_execnz .LBB43_165
; %bb.166:
	s_or_b32 exec_lo, exec_lo, s1
.LBB43_167:
	s_delay_alu instid0(SALU_CYCLE_1)
	s_or_b32 exec_lo, exec_lo, s4
	v_mov_b32_e32 v107, 0
	ds_load_b64 v[107:108], v107 offset:208
	s_waitcnt lgkmcnt(0)
	v_mul_f64 v[33:34], v[33:34], v[107:108]
	scratch_store_b64 off, v[33:34], off offset:208
.LBB43_168:
	s_or_b32 exec_lo, exec_lo, s3
	scratch_load_b64 v[33:34], off, off offset:200
	v_cmp_lt_u32_e64 s1, 25, v0
	s_waitcnt vmcnt(0)
	ds_store_b64 v35, v[33:34]
	s_waitcnt lgkmcnt(0)
	s_waitcnt_vscnt null, 0x0
	s_barrier
	buffer_gl0_inv
	s_and_saveexec_b32 s3, s1
	s_cbranch_execz .LBB43_178
; %bb.169:
	s_and_not1_b32 vcc_lo, exec_lo, s2
	s_cbranch_vccnz .LBB43_171
; %bb.170:
	scratch_load_b64 v[33:34], v36, off
	ds_load_b64 v[107:108], v35
	s_waitcnt vmcnt(0) lgkmcnt(0)
	v_mul_f64 v[33:34], v[33:34], v[107:108]
	s_cbranch_execz .LBB43_172
	s_branch .LBB43_173
.LBB43_171:
                                        ; implicit-def: $vgpr33_vgpr34
.LBB43_172:
	ds_load_b64 v[33:34], v35
.LBB43_173:
	s_and_saveexec_b32 s4, s0
	s_cbranch_execz .LBB43_177
; %bb.174:
	v_subrev_nc_u32_e32 v107, 26, v0
	s_movk_i32 s5, 0x230
	s_mov_b32 s0, 0
.LBB43_175:                             ; =>This Inner Loop Header: Depth=1
	scratch_load_b64 v[108:109], v106, off
	v_dual_mov_b32 v110, s5 :: v_dual_add_nc_u32 v107, -1, v107
	v_add_nc_u32_e32 v106, 8, v106
	s_add_i32 s5, s5, 8
	ds_load_b64 v[110:111], v110
	v_cmp_eq_u32_e32 vcc_lo, 0, v107
	s_or_b32 s0, vcc_lo, s0
	s_waitcnt vmcnt(0) lgkmcnt(0)
	v_fma_f64 v[33:34], v[108:109], v[110:111], v[33:34]
	s_and_not1_b32 exec_lo, exec_lo, s0
	s_cbranch_execnz .LBB43_175
; %bb.176:
	s_or_b32 exec_lo, exec_lo, s0
.LBB43_177:
	s_delay_alu instid0(SALU_CYCLE_1)
	s_or_b32 exec_lo, exec_lo, s4
	v_mov_b32_e32 v106, 0
	ds_load_b64 v[106:107], v106 offset:200
	s_waitcnt lgkmcnt(0)
	v_mul_f64 v[33:34], v[33:34], v[106:107]
	scratch_store_b64 off, v[33:34], off offset:200
.LBB43_178:
	s_or_b32 exec_lo, exec_lo, s3
	scratch_load_b64 v[33:34], off, off offset:192
	v_cmp_lt_u32_e64 s0, 24, v0
	s_waitcnt vmcnt(0)
	ds_store_b64 v35, v[33:34]
	s_waitcnt lgkmcnt(0)
	s_waitcnt_vscnt null, 0x0
	s_barrier
	buffer_gl0_inv
	s_and_saveexec_b32 s3, s0
	s_cbranch_execz .LBB43_188
; %bb.179:
	s_and_not1_b32 vcc_lo, exec_lo, s2
	s_cbranch_vccnz .LBB43_181
; %bb.180:
	scratch_load_b64 v[33:34], v36, off
	ds_load_b64 v[106:107], v35
	s_waitcnt vmcnt(0) lgkmcnt(0)
	v_mul_f64 v[33:34], v[33:34], v[106:107]
	s_cbranch_execz .LBB43_182
	s_branch .LBB43_183
.LBB43_181:
                                        ; implicit-def: $vgpr33_vgpr34
.LBB43_182:
	ds_load_b64 v[33:34], v35
.LBB43_183:
	s_and_saveexec_b32 s4, s1
	s_cbranch_execz .LBB43_187
; %bb.184:
	v_mov_b32_e32 v106, 0
	v_subrev_nc_u32_e32 v107, 25, v0
	s_movk_i32 s5, 0x228
	s_mov_b32 s1, 0
	s_delay_alu instid0(VALU_DEP_2)
	v_add_nc_u32_e32 v106, 0xc8, v106
.LBB43_185:                             ; =>This Inner Loop Header: Depth=1
	scratch_load_b64 v[108:109], v106, off
	v_dual_mov_b32 v110, s5 :: v_dual_add_nc_u32 v107, -1, v107
	v_add_nc_u32_e32 v106, 8, v106
	s_add_i32 s5, s5, 8
	ds_load_b64 v[110:111], v110
	v_cmp_eq_u32_e32 vcc_lo, 0, v107
	s_or_b32 s1, vcc_lo, s1
	s_waitcnt vmcnt(0) lgkmcnt(0)
	v_fma_f64 v[33:34], v[108:109], v[110:111], v[33:34]
	s_and_not1_b32 exec_lo, exec_lo, s1
	s_cbranch_execnz .LBB43_185
; %bb.186:
	s_or_b32 exec_lo, exec_lo, s1
.LBB43_187:
	s_delay_alu instid0(SALU_CYCLE_1)
	s_or_b32 exec_lo, exec_lo, s4
	v_mov_b32_e32 v106, 0
	ds_load_b64 v[106:107], v106 offset:192
	s_waitcnt lgkmcnt(0)
	v_mul_f64 v[33:34], v[33:34], v[106:107]
	scratch_store_b64 off, v[33:34], off offset:192
.LBB43_188:
	s_or_b32 exec_lo, exec_lo, s3
	scratch_load_b64 v[33:34], off, off offset:184
	v_cmp_lt_u32_e64 s1, 23, v0
	s_waitcnt vmcnt(0)
	ds_store_b64 v35, v[33:34]
	s_waitcnt lgkmcnt(0)
	s_waitcnt_vscnt null, 0x0
	s_barrier
	buffer_gl0_inv
	s_and_saveexec_b32 s3, s1
	s_cbranch_execz .LBB43_198
; %bb.189:
	s_and_not1_b32 vcc_lo, exec_lo, s2
	s_cbranch_vccnz .LBB43_191
; %bb.190:
	scratch_load_b64 v[33:34], v36, off
	ds_load_b64 v[106:107], v35
	s_waitcnt vmcnt(0) lgkmcnt(0)
	v_mul_f64 v[33:34], v[33:34], v[106:107]
	s_cbranch_execz .LBB43_192
	s_branch .LBB43_193
.LBB43_191:
                                        ; implicit-def: $vgpr33_vgpr34
.LBB43_192:
	ds_load_b64 v[33:34], v35
.LBB43_193:
	s_and_saveexec_b32 s4, s0
	s_cbranch_execz .LBB43_197
; %bb.194:
	v_subrev_nc_u32_e32 v106, 24, v0
	s_movk_i32 s5, 0x220
	s_mov_b32 s0, 0
.LBB43_195:                             ; =>This Inner Loop Header: Depth=1
	scratch_load_b64 v[107:108], v105, off
	v_dual_mov_b32 v109, s5 :: v_dual_add_nc_u32 v106, -1, v106
	v_add_nc_u32_e32 v105, 8, v105
	s_add_i32 s5, s5, 8
	ds_load_b64 v[109:110], v109
	v_cmp_eq_u32_e32 vcc_lo, 0, v106
	s_or_b32 s0, vcc_lo, s0
	s_waitcnt vmcnt(0) lgkmcnt(0)
	v_fma_f64 v[33:34], v[107:108], v[109:110], v[33:34]
	s_and_not1_b32 exec_lo, exec_lo, s0
	s_cbranch_execnz .LBB43_195
; %bb.196:
	s_or_b32 exec_lo, exec_lo, s0
.LBB43_197:
	s_delay_alu instid0(SALU_CYCLE_1)
	s_or_b32 exec_lo, exec_lo, s4
	v_mov_b32_e32 v105, 0
	ds_load_b64 v[105:106], v105 offset:184
	s_waitcnt lgkmcnt(0)
	v_mul_f64 v[33:34], v[33:34], v[105:106]
	scratch_store_b64 off, v[33:34], off offset:184
.LBB43_198:
	s_or_b32 exec_lo, exec_lo, s3
	scratch_load_b64 v[33:34], off, off offset:176
	v_cmp_lt_u32_e64 s0, 22, v0
	s_waitcnt vmcnt(0)
	ds_store_b64 v35, v[33:34]
	s_waitcnt lgkmcnt(0)
	s_waitcnt_vscnt null, 0x0
	s_barrier
	buffer_gl0_inv
	s_and_saveexec_b32 s3, s0
	s_cbranch_execz .LBB43_208
; %bb.199:
	s_and_not1_b32 vcc_lo, exec_lo, s2
	s_cbranch_vccnz .LBB43_201
; %bb.200:
	scratch_load_b64 v[33:34], v36, off
	ds_load_b64 v[105:106], v35
	s_waitcnt vmcnt(0) lgkmcnt(0)
	v_mul_f64 v[33:34], v[33:34], v[105:106]
	s_cbranch_execz .LBB43_202
	s_branch .LBB43_203
.LBB43_201:
                                        ; implicit-def: $vgpr33_vgpr34
.LBB43_202:
	ds_load_b64 v[33:34], v35
.LBB43_203:
	s_and_saveexec_b32 s4, s1
	s_cbranch_execz .LBB43_207
; %bb.204:
	v_mov_b32_e32 v105, 0
	v_subrev_nc_u32_e32 v106, 23, v0
	s_movk_i32 s5, 0x218
	s_mov_b32 s1, 0
	s_delay_alu instid0(VALU_DEP_2)
	v_add_nc_u32_e32 v105, 0xb8, v105
.LBB43_205:                             ; =>This Inner Loop Header: Depth=1
	scratch_load_b64 v[107:108], v105, off
	v_dual_mov_b32 v109, s5 :: v_dual_add_nc_u32 v106, -1, v106
	v_add_nc_u32_e32 v105, 8, v105
	s_add_i32 s5, s5, 8
	ds_load_b64 v[109:110], v109
	v_cmp_eq_u32_e32 vcc_lo, 0, v106
	s_or_b32 s1, vcc_lo, s1
	s_waitcnt vmcnt(0) lgkmcnt(0)
	v_fma_f64 v[33:34], v[107:108], v[109:110], v[33:34]
	s_and_not1_b32 exec_lo, exec_lo, s1
	s_cbranch_execnz .LBB43_205
; %bb.206:
	s_or_b32 exec_lo, exec_lo, s1
.LBB43_207:
	s_delay_alu instid0(SALU_CYCLE_1)
	s_or_b32 exec_lo, exec_lo, s4
	v_mov_b32_e32 v105, 0
	ds_load_b64 v[105:106], v105 offset:176
	s_waitcnt lgkmcnt(0)
	v_mul_f64 v[33:34], v[33:34], v[105:106]
	scratch_store_b64 off, v[33:34], off offset:176
.LBB43_208:
	s_or_b32 exec_lo, exec_lo, s3
	scratch_load_b64 v[33:34], off, off offset:168
	v_cmp_lt_u32_e64 s1, 21, v0
	s_waitcnt vmcnt(0)
	ds_store_b64 v35, v[33:34]
	s_waitcnt lgkmcnt(0)
	s_waitcnt_vscnt null, 0x0
	s_barrier
	buffer_gl0_inv
	s_and_saveexec_b32 s3, s1
	s_cbranch_execz .LBB43_218
; %bb.209:
	s_and_not1_b32 vcc_lo, exec_lo, s2
	s_cbranch_vccnz .LBB43_211
; %bb.210:
	scratch_load_b64 v[33:34], v36, off
	ds_load_b64 v[105:106], v35
	s_waitcnt vmcnt(0) lgkmcnt(0)
	v_mul_f64 v[33:34], v[33:34], v[105:106]
	s_cbranch_execz .LBB43_212
	s_branch .LBB43_213
.LBB43_211:
                                        ; implicit-def: $vgpr33_vgpr34
.LBB43_212:
	ds_load_b64 v[33:34], v35
.LBB43_213:
	s_and_saveexec_b32 s4, s0
	s_cbranch_execz .LBB43_217
; %bb.214:
	v_subrev_nc_u32_e32 v105, 22, v0
	s_movk_i32 s5, 0x210
	s_mov_b32 s0, 0
.LBB43_215:                             ; =>This Inner Loop Header: Depth=1
	scratch_load_b64 v[106:107], v104, off
	v_dual_mov_b32 v108, s5 :: v_dual_add_nc_u32 v105, -1, v105
	v_add_nc_u32_e32 v104, 8, v104
	s_add_i32 s5, s5, 8
	ds_load_b64 v[108:109], v108
	v_cmp_eq_u32_e32 vcc_lo, 0, v105
	s_or_b32 s0, vcc_lo, s0
	s_waitcnt vmcnt(0) lgkmcnt(0)
	v_fma_f64 v[33:34], v[106:107], v[108:109], v[33:34]
	s_and_not1_b32 exec_lo, exec_lo, s0
	s_cbranch_execnz .LBB43_215
; %bb.216:
	s_or_b32 exec_lo, exec_lo, s0
.LBB43_217:
	s_delay_alu instid0(SALU_CYCLE_1)
	s_or_b32 exec_lo, exec_lo, s4
	v_mov_b32_e32 v104, 0
	ds_load_b64 v[104:105], v104 offset:168
	s_waitcnt lgkmcnt(0)
	v_mul_f64 v[33:34], v[33:34], v[104:105]
	scratch_store_b64 off, v[33:34], off offset:168
.LBB43_218:
	s_or_b32 exec_lo, exec_lo, s3
	scratch_load_b64 v[33:34], off, off offset:160
	v_cmp_lt_u32_e64 s0, 20, v0
	s_waitcnt vmcnt(0)
	ds_store_b64 v35, v[33:34]
	s_waitcnt lgkmcnt(0)
	s_waitcnt_vscnt null, 0x0
	s_barrier
	buffer_gl0_inv
	s_and_saveexec_b32 s3, s0
	s_cbranch_execz .LBB43_228
; %bb.219:
	s_and_not1_b32 vcc_lo, exec_lo, s2
	s_cbranch_vccnz .LBB43_221
; %bb.220:
	scratch_load_b64 v[33:34], v36, off
	ds_load_b64 v[104:105], v35
	s_waitcnt vmcnt(0) lgkmcnt(0)
	v_mul_f64 v[33:34], v[33:34], v[104:105]
	s_cbranch_execz .LBB43_222
	s_branch .LBB43_223
.LBB43_221:
                                        ; implicit-def: $vgpr33_vgpr34
.LBB43_222:
	ds_load_b64 v[33:34], v35
.LBB43_223:
	s_and_saveexec_b32 s4, s1
	s_cbranch_execz .LBB43_227
; %bb.224:
	v_mov_b32_e32 v104, 0
	v_subrev_nc_u32_e32 v105, 21, v0
	s_movk_i32 s5, 0x208
	s_mov_b32 s1, 0
	s_delay_alu instid0(VALU_DEP_2)
	v_add_nc_u32_e32 v104, 0xa8, v104
.LBB43_225:                             ; =>This Inner Loop Header: Depth=1
	scratch_load_b64 v[106:107], v104, off
	v_dual_mov_b32 v108, s5 :: v_dual_add_nc_u32 v105, -1, v105
	v_add_nc_u32_e32 v104, 8, v104
	s_add_i32 s5, s5, 8
	ds_load_b64 v[108:109], v108
	v_cmp_eq_u32_e32 vcc_lo, 0, v105
	s_or_b32 s1, vcc_lo, s1
	s_waitcnt vmcnt(0) lgkmcnt(0)
	v_fma_f64 v[33:34], v[106:107], v[108:109], v[33:34]
	s_and_not1_b32 exec_lo, exec_lo, s1
	s_cbranch_execnz .LBB43_225
; %bb.226:
	s_or_b32 exec_lo, exec_lo, s1
.LBB43_227:
	s_delay_alu instid0(SALU_CYCLE_1)
	s_or_b32 exec_lo, exec_lo, s4
	v_mov_b32_e32 v104, 0
	ds_load_b64 v[104:105], v104 offset:160
	s_waitcnt lgkmcnt(0)
	v_mul_f64 v[33:34], v[33:34], v[104:105]
	scratch_store_b64 off, v[33:34], off offset:160
.LBB43_228:
	s_or_b32 exec_lo, exec_lo, s3
	scratch_load_b64 v[33:34], off, off offset:152
	v_cmp_lt_u32_e64 s1, 19, v0
	s_waitcnt vmcnt(0)
	ds_store_b64 v35, v[33:34]
	s_waitcnt lgkmcnt(0)
	s_waitcnt_vscnt null, 0x0
	s_barrier
	buffer_gl0_inv
	s_and_saveexec_b32 s3, s1
	s_cbranch_execz .LBB43_238
; %bb.229:
	s_and_not1_b32 vcc_lo, exec_lo, s2
	s_cbranch_vccnz .LBB43_231
; %bb.230:
	scratch_load_b64 v[33:34], v36, off
	ds_load_b64 v[104:105], v35
	s_waitcnt vmcnt(0) lgkmcnt(0)
	v_mul_f64 v[33:34], v[33:34], v[104:105]
	s_cbranch_execz .LBB43_232
	s_branch .LBB43_233
.LBB43_231:
                                        ; implicit-def: $vgpr33_vgpr34
.LBB43_232:
	ds_load_b64 v[33:34], v35
.LBB43_233:
	s_and_saveexec_b32 s4, s0
	s_cbranch_execz .LBB43_237
; %bb.234:
	v_subrev_nc_u32_e32 v104, 20, v0
	s_movk_i32 s5, 0x200
	s_mov_b32 s0, 0
.LBB43_235:                             ; =>This Inner Loop Header: Depth=1
	scratch_load_b64 v[105:106], v103, off
	v_dual_mov_b32 v107, s5 :: v_dual_add_nc_u32 v104, -1, v104
	v_add_nc_u32_e32 v103, 8, v103
	s_add_i32 s5, s5, 8
	ds_load_b64 v[107:108], v107
	v_cmp_eq_u32_e32 vcc_lo, 0, v104
	s_or_b32 s0, vcc_lo, s0
	s_waitcnt vmcnt(0) lgkmcnt(0)
	v_fma_f64 v[33:34], v[105:106], v[107:108], v[33:34]
	s_and_not1_b32 exec_lo, exec_lo, s0
	s_cbranch_execnz .LBB43_235
; %bb.236:
	s_or_b32 exec_lo, exec_lo, s0
.LBB43_237:
	s_delay_alu instid0(SALU_CYCLE_1)
	s_or_b32 exec_lo, exec_lo, s4
	v_mov_b32_e32 v103, 0
	ds_load_b64 v[103:104], v103 offset:152
	s_waitcnt lgkmcnt(0)
	v_mul_f64 v[33:34], v[33:34], v[103:104]
	scratch_store_b64 off, v[33:34], off offset:152
.LBB43_238:
	s_or_b32 exec_lo, exec_lo, s3
	scratch_load_b64 v[33:34], off, off offset:144
	v_cmp_lt_u32_e64 s0, 18, v0
	s_waitcnt vmcnt(0)
	ds_store_b64 v35, v[33:34]
	s_waitcnt lgkmcnt(0)
	s_waitcnt_vscnt null, 0x0
	s_barrier
	buffer_gl0_inv
	s_and_saveexec_b32 s3, s0
	s_cbranch_execz .LBB43_248
; %bb.239:
	s_and_not1_b32 vcc_lo, exec_lo, s2
	s_cbranch_vccnz .LBB43_241
; %bb.240:
	scratch_load_b64 v[33:34], v36, off
	ds_load_b64 v[103:104], v35
	s_waitcnt vmcnt(0) lgkmcnt(0)
	v_mul_f64 v[33:34], v[33:34], v[103:104]
	s_cbranch_execz .LBB43_242
	s_branch .LBB43_243
.LBB43_241:
                                        ; implicit-def: $vgpr33_vgpr34
.LBB43_242:
	ds_load_b64 v[33:34], v35
.LBB43_243:
	s_and_saveexec_b32 s4, s1
	s_cbranch_execz .LBB43_247
; %bb.244:
	v_mov_b32_e32 v103, 0
	v_subrev_nc_u32_e32 v104, 19, v0
	s_movk_i32 s5, 0x1f8
	s_mov_b32 s1, 0
	s_delay_alu instid0(VALU_DEP_2)
	v_add_nc_u32_e32 v103, 0x98, v103
.LBB43_245:                             ; =>This Inner Loop Header: Depth=1
	scratch_load_b64 v[105:106], v103, off
	v_dual_mov_b32 v107, s5 :: v_dual_add_nc_u32 v104, -1, v104
	v_add_nc_u32_e32 v103, 8, v103
	s_add_i32 s5, s5, 8
	ds_load_b64 v[107:108], v107
	v_cmp_eq_u32_e32 vcc_lo, 0, v104
	s_or_b32 s1, vcc_lo, s1
	s_waitcnt vmcnt(0) lgkmcnt(0)
	v_fma_f64 v[33:34], v[105:106], v[107:108], v[33:34]
	s_and_not1_b32 exec_lo, exec_lo, s1
	s_cbranch_execnz .LBB43_245
; %bb.246:
	s_or_b32 exec_lo, exec_lo, s1
.LBB43_247:
	s_delay_alu instid0(SALU_CYCLE_1)
	s_or_b32 exec_lo, exec_lo, s4
	v_mov_b32_e32 v103, 0
	ds_load_b64 v[103:104], v103 offset:144
	s_waitcnt lgkmcnt(0)
	v_mul_f64 v[33:34], v[33:34], v[103:104]
	scratch_store_b64 off, v[33:34], off offset:144
.LBB43_248:
	s_or_b32 exec_lo, exec_lo, s3
	scratch_load_b64 v[33:34], off, off offset:136
	v_cmp_lt_u32_e64 s1, 17, v0
	s_waitcnt vmcnt(0)
	ds_store_b64 v35, v[33:34]
	s_waitcnt lgkmcnt(0)
	s_waitcnt_vscnt null, 0x0
	s_barrier
	buffer_gl0_inv
	s_and_saveexec_b32 s3, s1
	s_cbranch_execz .LBB43_258
; %bb.249:
	s_and_not1_b32 vcc_lo, exec_lo, s2
	s_cbranch_vccnz .LBB43_251
; %bb.250:
	scratch_load_b64 v[33:34], v36, off
	ds_load_b64 v[103:104], v35
	s_waitcnt vmcnt(0) lgkmcnt(0)
	v_mul_f64 v[33:34], v[33:34], v[103:104]
	s_cbranch_execz .LBB43_252
	s_branch .LBB43_253
.LBB43_251:
                                        ; implicit-def: $vgpr33_vgpr34
.LBB43_252:
	ds_load_b64 v[33:34], v35
.LBB43_253:
	s_and_saveexec_b32 s4, s0
	s_cbranch_execz .LBB43_257
; %bb.254:
	v_subrev_nc_u32_e32 v103, 18, v0
	s_movk_i32 s5, 0x1f0
	s_mov_b32 s0, 0
.LBB43_255:                             ; =>This Inner Loop Header: Depth=1
	scratch_load_b64 v[104:105], v102, off
	v_dual_mov_b32 v106, s5 :: v_dual_add_nc_u32 v103, -1, v103
	v_add_nc_u32_e32 v102, 8, v102
	s_add_i32 s5, s5, 8
	ds_load_b64 v[106:107], v106
	v_cmp_eq_u32_e32 vcc_lo, 0, v103
	s_or_b32 s0, vcc_lo, s0
	s_waitcnt vmcnt(0) lgkmcnt(0)
	v_fma_f64 v[33:34], v[104:105], v[106:107], v[33:34]
	s_and_not1_b32 exec_lo, exec_lo, s0
	s_cbranch_execnz .LBB43_255
; %bb.256:
	s_or_b32 exec_lo, exec_lo, s0
.LBB43_257:
	s_delay_alu instid0(SALU_CYCLE_1)
	s_or_b32 exec_lo, exec_lo, s4
	v_mov_b32_e32 v102, 0
	ds_load_b64 v[102:103], v102 offset:136
	s_waitcnt lgkmcnt(0)
	v_mul_f64 v[33:34], v[33:34], v[102:103]
	scratch_store_b64 off, v[33:34], off offset:136
.LBB43_258:
	s_or_b32 exec_lo, exec_lo, s3
	scratch_load_b64 v[33:34], off, off offset:128
	v_cmp_lt_u32_e64 s0, 16, v0
	s_waitcnt vmcnt(0)
	ds_store_b64 v35, v[33:34]
	s_waitcnt lgkmcnt(0)
	s_waitcnt_vscnt null, 0x0
	s_barrier
	buffer_gl0_inv
	s_and_saveexec_b32 s3, s0
	s_cbranch_execz .LBB43_268
; %bb.259:
	s_and_not1_b32 vcc_lo, exec_lo, s2
	s_cbranch_vccnz .LBB43_261
; %bb.260:
	scratch_load_b64 v[33:34], v36, off
	ds_load_b64 v[102:103], v35
	s_waitcnt vmcnt(0) lgkmcnt(0)
	v_mul_f64 v[33:34], v[33:34], v[102:103]
	s_cbranch_execz .LBB43_262
	s_branch .LBB43_263
.LBB43_261:
                                        ; implicit-def: $vgpr33_vgpr34
.LBB43_262:
	ds_load_b64 v[33:34], v35
.LBB43_263:
	s_and_saveexec_b32 s4, s1
	s_cbranch_execz .LBB43_267
; %bb.264:
	v_mov_b32_e32 v102, 0
	v_subrev_nc_u32_e32 v103, 17, v0
	s_movk_i32 s5, 0x1e8
	s_mov_b32 s1, 0
	s_delay_alu instid0(VALU_DEP_2)
	v_add_nc_u32_e32 v102, 0x88, v102
.LBB43_265:                             ; =>This Inner Loop Header: Depth=1
	scratch_load_b64 v[104:105], v102, off
	v_dual_mov_b32 v106, s5 :: v_dual_add_nc_u32 v103, -1, v103
	v_add_nc_u32_e32 v102, 8, v102
	s_add_i32 s5, s5, 8
	ds_load_b64 v[106:107], v106
	v_cmp_eq_u32_e32 vcc_lo, 0, v103
	s_or_b32 s1, vcc_lo, s1
	s_waitcnt vmcnt(0) lgkmcnt(0)
	v_fma_f64 v[33:34], v[104:105], v[106:107], v[33:34]
	s_and_not1_b32 exec_lo, exec_lo, s1
	s_cbranch_execnz .LBB43_265
; %bb.266:
	s_or_b32 exec_lo, exec_lo, s1
.LBB43_267:
	s_delay_alu instid0(SALU_CYCLE_1)
	s_or_b32 exec_lo, exec_lo, s4
	v_mov_b32_e32 v102, 0
	ds_load_b64 v[102:103], v102 offset:128
	s_waitcnt lgkmcnt(0)
	v_mul_f64 v[33:34], v[33:34], v[102:103]
	scratch_store_b64 off, v[33:34], off offset:128
.LBB43_268:
	s_or_b32 exec_lo, exec_lo, s3
	scratch_load_b64 v[33:34], off, off offset:120
	v_cmp_lt_u32_e64 s1, 15, v0
	s_waitcnt vmcnt(0)
	ds_store_b64 v35, v[33:34]
	s_waitcnt lgkmcnt(0)
	s_waitcnt_vscnt null, 0x0
	s_barrier
	buffer_gl0_inv
	s_and_saveexec_b32 s3, s1
	s_cbranch_execz .LBB43_278
; %bb.269:
	s_and_not1_b32 vcc_lo, exec_lo, s2
	s_cbranch_vccnz .LBB43_271
; %bb.270:
	scratch_load_b64 v[33:34], v36, off
	ds_load_b64 v[102:103], v35
	s_waitcnt vmcnt(0) lgkmcnt(0)
	v_mul_f64 v[33:34], v[33:34], v[102:103]
	s_cbranch_execz .LBB43_272
	s_branch .LBB43_273
.LBB43_271:
                                        ; implicit-def: $vgpr33_vgpr34
.LBB43_272:
	ds_load_b64 v[33:34], v35
.LBB43_273:
	s_and_saveexec_b32 s4, s0
	s_cbranch_execz .LBB43_277
; %bb.274:
	v_add_nc_u32_e32 v102, -16, v0
	s_movk_i32 s5, 0x1e0
	s_mov_b32 s0, 0
.LBB43_275:                             ; =>This Inner Loop Header: Depth=1
	scratch_load_b64 v[103:104], v101, off
	v_dual_mov_b32 v105, s5 :: v_dual_add_nc_u32 v102, -1, v102
	v_add_nc_u32_e32 v101, 8, v101
	s_add_i32 s5, s5, 8
	ds_load_b64 v[105:106], v105
	v_cmp_eq_u32_e32 vcc_lo, 0, v102
	s_or_b32 s0, vcc_lo, s0
	s_waitcnt vmcnt(0) lgkmcnt(0)
	v_fma_f64 v[33:34], v[103:104], v[105:106], v[33:34]
	s_and_not1_b32 exec_lo, exec_lo, s0
	s_cbranch_execnz .LBB43_275
; %bb.276:
	s_or_b32 exec_lo, exec_lo, s0
.LBB43_277:
	s_delay_alu instid0(SALU_CYCLE_1)
	s_or_b32 exec_lo, exec_lo, s4
	v_mov_b32_e32 v101, 0
	ds_load_b64 v[101:102], v101 offset:120
	s_waitcnt lgkmcnt(0)
	v_mul_f64 v[33:34], v[33:34], v[101:102]
	scratch_store_b64 off, v[33:34], off offset:120
.LBB43_278:
	s_or_b32 exec_lo, exec_lo, s3
	scratch_load_b64 v[33:34], off, off offset:112
	v_cmp_lt_u32_e64 s0, 14, v0
	s_waitcnt vmcnt(0)
	ds_store_b64 v35, v[33:34]
	s_waitcnt lgkmcnt(0)
	s_waitcnt_vscnt null, 0x0
	s_barrier
	buffer_gl0_inv
	s_and_saveexec_b32 s3, s0
	s_cbranch_execz .LBB43_288
; %bb.279:
	s_and_not1_b32 vcc_lo, exec_lo, s2
	s_cbranch_vccnz .LBB43_281
; %bb.280:
	scratch_load_b64 v[33:34], v36, off
	ds_load_b64 v[101:102], v35
	s_waitcnt vmcnt(0) lgkmcnt(0)
	v_mul_f64 v[33:34], v[33:34], v[101:102]
	s_cbranch_execz .LBB43_282
	s_branch .LBB43_283
.LBB43_281:
                                        ; implicit-def: $vgpr33_vgpr34
.LBB43_282:
	ds_load_b64 v[33:34], v35
.LBB43_283:
	s_and_saveexec_b32 s4, s1
	s_cbranch_execz .LBB43_287
; %bb.284:
	v_dual_mov_b32 v101, 0 :: v_dual_add_nc_u32 v102, -15, v0
	s_movk_i32 s5, 0x1d8
	s_mov_b32 s1, 0
	s_delay_alu instid0(VALU_DEP_1)
	v_add_nc_u32_e32 v101, 0x78, v101
.LBB43_285:                             ; =>This Inner Loop Header: Depth=1
	scratch_load_b64 v[103:104], v101, off
	v_dual_mov_b32 v105, s5 :: v_dual_add_nc_u32 v102, -1, v102
	v_add_nc_u32_e32 v101, 8, v101
	s_add_i32 s5, s5, 8
	ds_load_b64 v[105:106], v105
	v_cmp_eq_u32_e32 vcc_lo, 0, v102
	s_or_b32 s1, vcc_lo, s1
	s_waitcnt vmcnt(0) lgkmcnt(0)
	v_fma_f64 v[33:34], v[103:104], v[105:106], v[33:34]
	s_and_not1_b32 exec_lo, exec_lo, s1
	s_cbranch_execnz .LBB43_285
; %bb.286:
	s_or_b32 exec_lo, exec_lo, s1
.LBB43_287:
	s_delay_alu instid0(SALU_CYCLE_1)
	s_or_b32 exec_lo, exec_lo, s4
	v_mov_b32_e32 v101, 0
	ds_load_b64 v[101:102], v101 offset:112
	s_waitcnt lgkmcnt(0)
	v_mul_f64 v[33:34], v[33:34], v[101:102]
	scratch_store_b64 off, v[33:34], off offset:112
.LBB43_288:
	s_or_b32 exec_lo, exec_lo, s3
	scratch_load_b64 v[33:34], off, off offset:104
	v_cmp_lt_u32_e64 s1, 13, v0
	s_waitcnt vmcnt(0)
	ds_store_b64 v35, v[33:34]
	s_waitcnt lgkmcnt(0)
	s_waitcnt_vscnt null, 0x0
	s_barrier
	buffer_gl0_inv
	s_and_saveexec_b32 s3, s1
	s_cbranch_execz .LBB43_298
; %bb.289:
	s_and_not1_b32 vcc_lo, exec_lo, s2
	s_cbranch_vccnz .LBB43_291
; %bb.290:
	scratch_load_b64 v[33:34], v36, off
	ds_load_b64 v[101:102], v35
	s_waitcnt vmcnt(0) lgkmcnt(0)
	v_mul_f64 v[33:34], v[33:34], v[101:102]
	s_cbranch_execz .LBB43_292
	s_branch .LBB43_293
.LBB43_291:
                                        ; implicit-def: $vgpr33_vgpr34
.LBB43_292:
	ds_load_b64 v[33:34], v35
.LBB43_293:
	s_and_saveexec_b32 s4, s0
	s_cbranch_execz .LBB43_297
; %bb.294:
	v_add_nc_u32_e32 v101, -14, v0
	s_movk_i32 s5, 0x1d0
	s_mov_b32 s0, 0
.LBB43_295:                             ; =>This Inner Loop Header: Depth=1
	scratch_load_b64 v[102:103], v100, off
	v_dual_mov_b32 v104, s5 :: v_dual_add_nc_u32 v101, -1, v101
	v_add_nc_u32_e32 v100, 8, v100
	s_add_i32 s5, s5, 8
	ds_load_b64 v[104:105], v104
	v_cmp_eq_u32_e32 vcc_lo, 0, v101
	s_or_b32 s0, vcc_lo, s0
	s_waitcnt vmcnt(0) lgkmcnt(0)
	v_fma_f64 v[33:34], v[102:103], v[104:105], v[33:34]
	s_and_not1_b32 exec_lo, exec_lo, s0
	s_cbranch_execnz .LBB43_295
; %bb.296:
	s_or_b32 exec_lo, exec_lo, s0
.LBB43_297:
	s_delay_alu instid0(SALU_CYCLE_1)
	s_or_b32 exec_lo, exec_lo, s4
	v_mov_b32_e32 v100, 0
	ds_load_b64 v[100:101], v100 offset:104
	s_waitcnt lgkmcnt(0)
	v_mul_f64 v[33:34], v[33:34], v[100:101]
	scratch_store_b64 off, v[33:34], off offset:104
.LBB43_298:
	s_or_b32 exec_lo, exec_lo, s3
	scratch_load_b64 v[33:34], off, off offset:96
	v_cmp_lt_u32_e64 s0, 12, v0
	s_waitcnt vmcnt(0)
	ds_store_b64 v35, v[33:34]
	s_waitcnt lgkmcnt(0)
	s_waitcnt_vscnt null, 0x0
	s_barrier
	buffer_gl0_inv
	s_and_saveexec_b32 s3, s0
	s_cbranch_execz .LBB43_308
; %bb.299:
	s_and_not1_b32 vcc_lo, exec_lo, s2
	s_cbranch_vccnz .LBB43_301
; %bb.300:
	scratch_load_b64 v[33:34], v36, off
	ds_load_b64 v[100:101], v35
	s_waitcnt vmcnt(0) lgkmcnt(0)
	v_mul_f64 v[33:34], v[33:34], v[100:101]
	s_cbranch_execz .LBB43_302
	s_branch .LBB43_303
.LBB43_301:
                                        ; implicit-def: $vgpr33_vgpr34
.LBB43_302:
	ds_load_b64 v[33:34], v35
.LBB43_303:
	s_and_saveexec_b32 s4, s1
	s_cbranch_execz .LBB43_307
; %bb.304:
	v_dual_mov_b32 v100, 0 :: v_dual_add_nc_u32 v101, -13, v0
	s_movk_i32 s5, 0x1c8
	s_mov_b32 s1, 0
	s_delay_alu instid0(VALU_DEP_1)
	v_add_nc_u32_e32 v100, 0x68, v100
.LBB43_305:                             ; =>This Inner Loop Header: Depth=1
	scratch_load_b64 v[102:103], v100, off
	v_dual_mov_b32 v104, s5 :: v_dual_add_nc_u32 v101, -1, v101
	v_add_nc_u32_e32 v100, 8, v100
	s_add_i32 s5, s5, 8
	ds_load_b64 v[104:105], v104
	v_cmp_eq_u32_e32 vcc_lo, 0, v101
	s_or_b32 s1, vcc_lo, s1
	s_waitcnt vmcnt(0) lgkmcnt(0)
	v_fma_f64 v[33:34], v[102:103], v[104:105], v[33:34]
	s_and_not1_b32 exec_lo, exec_lo, s1
	s_cbranch_execnz .LBB43_305
; %bb.306:
	s_or_b32 exec_lo, exec_lo, s1
.LBB43_307:
	s_delay_alu instid0(SALU_CYCLE_1)
	s_or_b32 exec_lo, exec_lo, s4
	v_mov_b32_e32 v100, 0
	ds_load_b64 v[100:101], v100 offset:96
	s_waitcnt lgkmcnt(0)
	v_mul_f64 v[33:34], v[33:34], v[100:101]
	scratch_store_b64 off, v[33:34], off offset:96
.LBB43_308:
	s_or_b32 exec_lo, exec_lo, s3
	scratch_load_b64 v[33:34], off, off offset:88
	v_cmp_lt_u32_e64 s1, 11, v0
	s_waitcnt vmcnt(0)
	ds_store_b64 v35, v[33:34]
	s_waitcnt lgkmcnt(0)
	s_waitcnt_vscnt null, 0x0
	s_barrier
	buffer_gl0_inv
	s_and_saveexec_b32 s3, s1
	s_cbranch_execz .LBB43_318
; %bb.309:
	s_and_not1_b32 vcc_lo, exec_lo, s2
	s_cbranch_vccnz .LBB43_311
; %bb.310:
	scratch_load_b64 v[33:34], v36, off
	ds_load_b64 v[100:101], v35
	s_waitcnt vmcnt(0) lgkmcnt(0)
	v_mul_f64 v[33:34], v[33:34], v[100:101]
	s_cbranch_execz .LBB43_312
	s_branch .LBB43_313
.LBB43_311:
                                        ; implicit-def: $vgpr33_vgpr34
.LBB43_312:
	ds_load_b64 v[33:34], v35
.LBB43_313:
	s_and_saveexec_b32 s4, s0
	s_cbranch_execz .LBB43_317
; %bb.314:
	v_add_nc_u32_e32 v100, -12, v0
	s_movk_i32 s5, 0x1c0
	s_mov_b32 s0, 0
.LBB43_315:                             ; =>This Inner Loop Header: Depth=1
	scratch_load_b64 v[101:102], v99, off
	v_dual_mov_b32 v103, s5 :: v_dual_add_nc_u32 v100, -1, v100
	v_add_nc_u32_e32 v99, 8, v99
	s_add_i32 s5, s5, 8
	ds_load_b64 v[103:104], v103
	v_cmp_eq_u32_e32 vcc_lo, 0, v100
	s_or_b32 s0, vcc_lo, s0
	s_waitcnt vmcnt(0) lgkmcnt(0)
	v_fma_f64 v[33:34], v[101:102], v[103:104], v[33:34]
	s_and_not1_b32 exec_lo, exec_lo, s0
	s_cbranch_execnz .LBB43_315
; %bb.316:
	s_or_b32 exec_lo, exec_lo, s0
.LBB43_317:
	s_delay_alu instid0(SALU_CYCLE_1)
	s_or_b32 exec_lo, exec_lo, s4
	v_mov_b32_e32 v99, 0
	ds_load_b64 v[99:100], v99 offset:88
	s_waitcnt lgkmcnt(0)
	v_mul_f64 v[33:34], v[33:34], v[99:100]
	scratch_store_b64 off, v[33:34], off offset:88
.LBB43_318:
	s_or_b32 exec_lo, exec_lo, s3
	scratch_load_b64 v[33:34], off, off offset:80
	v_cmp_lt_u32_e64 s0, 10, v0
	s_waitcnt vmcnt(0)
	ds_store_b64 v35, v[33:34]
	s_waitcnt lgkmcnt(0)
	s_waitcnt_vscnt null, 0x0
	s_barrier
	buffer_gl0_inv
	s_and_saveexec_b32 s3, s0
	s_cbranch_execz .LBB43_328
; %bb.319:
	s_and_not1_b32 vcc_lo, exec_lo, s2
	s_cbranch_vccnz .LBB43_321
; %bb.320:
	scratch_load_b64 v[33:34], v36, off
	ds_load_b64 v[99:100], v35
	s_waitcnt vmcnt(0) lgkmcnt(0)
	v_mul_f64 v[33:34], v[33:34], v[99:100]
	s_cbranch_execz .LBB43_322
	s_branch .LBB43_323
.LBB43_321:
                                        ; implicit-def: $vgpr33_vgpr34
.LBB43_322:
	ds_load_b64 v[33:34], v35
.LBB43_323:
	s_and_saveexec_b32 s4, s1
	s_cbranch_execz .LBB43_327
; %bb.324:
	v_dual_mov_b32 v99, 0 :: v_dual_add_nc_u32 v100, -11, v0
	s_movk_i32 s5, 0x1b8
	s_mov_b32 s1, 0
	s_delay_alu instid0(VALU_DEP_1)
	v_add_nc_u32_e32 v99, 0x58, v99
.LBB43_325:                             ; =>This Inner Loop Header: Depth=1
	scratch_load_b64 v[101:102], v99, off
	v_dual_mov_b32 v103, s5 :: v_dual_add_nc_u32 v100, -1, v100
	v_add_nc_u32_e32 v99, 8, v99
	s_add_i32 s5, s5, 8
	ds_load_b64 v[103:104], v103
	v_cmp_eq_u32_e32 vcc_lo, 0, v100
	s_or_b32 s1, vcc_lo, s1
	s_waitcnt vmcnt(0) lgkmcnt(0)
	v_fma_f64 v[33:34], v[101:102], v[103:104], v[33:34]
	s_and_not1_b32 exec_lo, exec_lo, s1
	s_cbranch_execnz .LBB43_325
; %bb.326:
	s_or_b32 exec_lo, exec_lo, s1
.LBB43_327:
	s_delay_alu instid0(SALU_CYCLE_1)
	s_or_b32 exec_lo, exec_lo, s4
	v_mov_b32_e32 v99, 0
	ds_load_b64 v[99:100], v99 offset:80
	s_waitcnt lgkmcnt(0)
	v_mul_f64 v[33:34], v[33:34], v[99:100]
	scratch_store_b64 off, v[33:34], off offset:80
.LBB43_328:
	s_or_b32 exec_lo, exec_lo, s3
	scratch_load_b64 v[33:34], off, off offset:72
	v_cmp_lt_u32_e64 s1, 9, v0
	s_waitcnt vmcnt(0)
	ds_store_b64 v35, v[33:34]
	s_waitcnt lgkmcnt(0)
	s_waitcnt_vscnt null, 0x0
	s_barrier
	buffer_gl0_inv
	s_and_saveexec_b32 s3, s1
	s_cbranch_execz .LBB43_338
; %bb.329:
	s_and_not1_b32 vcc_lo, exec_lo, s2
	s_cbranch_vccnz .LBB43_331
; %bb.330:
	scratch_load_b64 v[33:34], v36, off
	ds_load_b64 v[99:100], v35
	s_waitcnt vmcnt(0) lgkmcnt(0)
	v_mul_f64 v[33:34], v[33:34], v[99:100]
	s_cbranch_execz .LBB43_332
	s_branch .LBB43_333
.LBB43_331:
                                        ; implicit-def: $vgpr33_vgpr34
.LBB43_332:
	ds_load_b64 v[33:34], v35
.LBB43_333:
	s_and_saveexec_b32 s4, s0
	s_cbranch_execz .LBB43_337
; %bb.334:
	v_add_nc_u32_e32 v99, -10, v0
	s_movk_i32 s5, 0x1b0
	s_mov_b32 s0, 0
.LBB43_335:                             ; =>This Inner Loop Header: Depth=1
	scratch_load_b64 v[100:101], v98, off
	v_dual_mov_b32 v102, s5 :: v_dual_add_nc_u32 v99, -1, v99
	v_add_nc_u32_e32 v98, 8, v98
	s_add_i32 s5, s5, 8
	ds_load_b64 v[102:103], v102
	v_cmp_eq_u32_e32 vcc_lo, 0, v99
	s_or_b32 s0, vcc_lo, s0
	s_waitcnt vmcnt(0) lgkmcnt(0)
	v_fma_f64 v[33:34], v[100:101], v[102:103], v[33:34]
	s_and_not1_b32 exec_lo, exec_lo, s0
	s_cbranch_execnz .LBB43_335
; %bb.336:
	s_or_b32 exec_lo, exec_lo, s0
.LBB43_337:
	s_delay_alu instid0(SALU_CYCLE_1)
	s_or_b32 exec_lo, exec_lo, s4
	v_mov_b32_e32 v98, 0
	ds_load_b64 v[98:99], v98 offset:72
	s_waitcnt lgkmcnt(0)
	v_mul_f64 v[33:34], v[33:34], v[98:99]
	scratch_store_b64 off, v[33:34], off offset:72
.LBB43_338:
	s_or_b32 exec_lo, exec_lo, s3
	scratch_load_b64 v[33:34], off, off offset:64
	v_cmp_lt_u32_e64 s0, 8, v0
	s_waitcnt vmcnt(0)
	ds_store_b64 v35, v[33:34]
	s_waitcnt lgkmcnt(0)
	s_waitcnt_vscnt null, 0x0
	s_barrier
	buffer_gl0_inv
	s_and_saveexec_b32 s3, s0
	s_cbranch_execz .LBB43_348
; %bb.339:
	s_and_not1_b32 vcc_lo, exec_lo, s2
	s_cbranch_vccnz .LBB43_341
; %bb.340:
	scratch_load_b64 v[33:34], v36, off
	ds_load_b64 v[98:99], v35
	s_waitcnt vmcnt(0) lgkmcnt(0)
	v_mul_f64 v[33:34], v[33:34], v[98:99]
	s_cbranch_execz .LBB43_342
	s_branch .LBB43_343
.LBB43_341:
                                        ; implicit-def: $vgpr33_vgpr34
.LBB43_342:
	ds_load_b64 v[33:34], v35
.LBB43_343:
	s_and_saveexec_b32 s4, s1
	s_cbranch_execz .LBB43_347
; %bb.344:
	v_dual_mov_b32 v98, 0 :: v_dual_add_nc_u32 v99, -9, v0
	s_movk_i32 s5, 0x1a8
	s_mov_b32 s1, 0
	s_delay_alu instid0(VALU_DEP_1)
	v_add_nc_u32_e32 v98, 0x48, v98
.LBB43_345:                             ; =>This Inner Loop Header: Depth=1
	scratch_load_b64 v[100:101], v98, off
	v_dual_mov_b32 v102, s5 :: v_dual_add_nc_u32 v99, -1, v99
	v_add_nc_u32_e32 v98, 8, v98
	s_add_i32 s5, s5, 8
	ds_load_b64 v[102:103], v102
	v_cmp_eq_u32_e32 vcc_lo, 0, v99
	s_or_b32 s1, vcc_lo, s1
	s_waitcnt vmcnt(0) lgkmcnt(0)
	v_fma_f64 v[33:34], v[100:101], v[102:103], v[33:34]
	s_and_not1_b32 exec_lo, exec_lo, s1
	s_cbranch_execnz .LBB43_345
; %bb.346:
	s_or_b32 exec_lo, exec_lo, s1
.LBB43_347:
	s_delay_alu instid0(SALU_CYCLE_1)
	s_or_b32 exec_lo, exec_lo, s4
	v_mov_b32_e32 v98, 0
	ds_load_b64 v[98:99], v98 offset:64
	s_waitcnt lgkmcnt(0)
	v_mul_f64 v[33:34], v[33:34], v[98:99]
	scratch_store_b64 off, v[33:34], off offset:64
.LBB43_348:
	s_or_b32 exec_lo, exec_lo, s3
	scratch_load_b64 v[33:34], off, off offset:56
	v_cmp_lt_u32_e64 s1, 7, v0
	s_waitcnt vmcnt(0)
	ds_store_b64 v35, v[33:34]
	s_waitcnt lgkmcnt(0)
	s_waitcnt_vscnt null, 0x0
	s_barrier
	buffer_gl0_inv
	s_and_saveexec_b32 s3, s1
	s_cbranch_execz .LBB43_358
; %bb.349:
	s_and_not1_b32 vcc_lo, exec_lo, s2
	s_cbranch_vccnz .LBB43_351
; %bb.350:
	scratch_load_b64 v[33:34], v36, off
	ds_load_b64 v[98:99], v35
	s_waitcnt vmcnt(0) lgkmcnt(0)
	v_mul_f64 v[33:34], v[33:34], v[98:99]
	s_cbranch_execz .LBB43_352
	s_branch .LBB43_353
.LBB43_351:
                                        ; implicit-def: $vgpr33_vgpr34
.LBB43_352:
	ds_load_b64 v[33:34], v35
.LBB43_353:
	s_and_saveexec_b32 s4, s0
	s_cbranch_execz .LBB43_357
; %bb.354:
	v_add_nc_u32_e32 v98, -8, v0
	s_movk_i32 s5, 0x1a0
	s_mov_b32 s0, 0
.LBB43_355:                             ; =>This Inner Loop Header: Depth=1
	scratch_load_b64 v[99:100], v40, off
	v_dual_mov_b32 v101, s5 :: v_dual_add_nc_u32 v98, -1, v98
	v_add_nc_u32_e32 v40, 8, v40
	s_add_i32 s5, s5, 8
	ds_load_b64 v[101:102], v101
	v_cmp_eq_u32_e32 vcc_lo, 0, v98
	s_or_b32 s0, vcc_lo, s0
	s_waitcnt vmcnt(0) lgkmcnt(0)
	v_fma_f64 v[33:34], v[99:100], v[101:102], v[33:34]
	s_and_not1_b32 exec_lo, exec_lo, s0
	s_cbranch_execnz .LBB43_355
; %bb.356:
	s_or_b32 exec_lo, exec_lo, s0
.LBB43_357:
	s_delay_alu instid0(SALU_CYCLE_1)
	s_or_b32 exec_lo, exec_lo, s4
	v_mov_b32_e32 v40, 0
	ds_load_b64 v[98:99], v40 offset:56
	s_waitcnt lgkmcnt(0)
	v_mul_f64 v[33:34], v[33:34], v[98:99]
	scratch_store_b64 off, v[33:34], off offset:56
.LBB43_358:
	s_or_b32 exec_lo, exec_lo, s3
	scratch_load_b64 v[33:34], off, off offset:48
	v_cmp_lt_u32_e64 s0, 6, v0
	s_waitcnt vmcnt(0)
	ds_store_b64 v35, v[33:34]
	s_waitcnt lgkmcnt(0)
	s_waitcnt_vscnt null, 0x0
	s_barrier
	buffer_gl0_inv
	s_and_saveexec_b32 s3, s0
	s_cbranch_execz .LBB43_368
; %bb.359:
	s_and_not1_b32 vcc_lo, exec_lo, s2
	s_cbranch_vccnz .LBB43_361
; %bb.360:
	scratch_load_b64 v[33:34], v36, off
	ds_load_b64 v[98:99], v35
	s_waitcnt vmcnt(0) lgkmcnt(0)
	v_mul_f64 v[33:34], v[33:34], v[98:99]
	s_cbranch_execz .LBB43_362
	s_branch .LBB43_363
.LBB43_361:
                                        ; implicit-def: $vgpr33_vgpr34
.LBB43_362:
	ds_load_b64 v[33:34], v35
.LBB43_363:
	s_and_saveexec_b32 s4, s1
	s_cbranch_execz .LBB43_367
; %bb.364:
	v_add_nc_u32_e64 v40, 0, 56
	v_add_nc_u32_e32 v98, -7, v0
	s_movk_i32 s5, 0x198
	s_mov_b32 s1, 0
.LBB43_365:                             ; =>This Inner Loop Header: Depth=1
	scratch_load_b64 v[99:100], v40, off
	v_dual_mov_b32 v101, s5 :: v_dual_add_nc_u32 v98, -1, v98
	v_add_nc_u32_e32 v40, 8, v40
	s_add_i32 s5, s5, 8
	ds_load_b64 v[101:102], v101
	v_cmp_eq_u32_e32 vcc_lo, 0, v98
	s_or_b32 s1, vcc_lo, s1
	s_waitcnt vmcnt(0) lgkmcnt(0)
	v_fma_f64 v[33:34], v[99:100], v[101:102], v[33:34]
	s_and_not1_b32 exec_lo, exec_lo, s1
	s_cbranch_execnz .LBB43_365
; %bb.366:
	s_or_b32 exec_lo, exec_lo, s1
.LBB43_367:
	s_delay_alu instid0(SALU_CYCLE_1)
	s_or_b32 exec_lo, exec_lo, s4
	v_mov_b32_e32 v40, 0
	ds_load_b64 v[98:99], v40 offset:48
	s_waitcnt lgkmcnt(0)
	v_mul_f64 v[33:34], v[33:34], v[98:99]
	scratch_store_b64 off, v[33:34], off offset:48
.LBB43_368:
	s_or_b32 exec_lo, exec_lo, s3
	scratch_load_b64 v[33:34], off, off offset:40
	v_cmp_lt_u32_e64 s1, 5, v0
	s_waitcnt vmcnt(0)
	ds_store_b64 v35, v[33:34]
	s_waitcnt lgkmcnt(0)
	s_waitcnt_vscnt null, 0x0
	s_barrier
	buffer_gl0_inv
	s_and_saveexec_b32 s3, s1
	s_cbranch_execz .LBB43_378
; %bb.369:
	s_and_not1_b32 vcc_lo, exec_lo, s2
	s_cbranch_vccnz .LBB43_371
; %bb.370:
	scratch_load_b64 v[33:34], v36, off
	ds_load_b64 v[98:99], v35
	s_waitcnt vmcnt(0) lgkmcnt(0)
	v_mul_f64 v[33:34], v[33:34], v[98:99]
	s_cbranch_execz .LBB43_372
	s_branch .LBB43_373
.LBB43_371:
                                        ; implicit-def: $vgpr33_vgpr34
.LBB43_372:
	ds_load_b64 v[33:34], v35
.LBB43_373:
	s_and_saveexec_b32 s4, s0
	s_cbranch_execz .LBB43_377
; %bb.374:
	v_add_nc_u32_e32 v40, -6, v0
	s_movk_i32 s5, 0x190
	s_mov_b32 s0, 0
.LBB43_375:                             ; =>This Inner Loop Header: Depth=1
	scratch_load_b64 v[98:99], v39, off
	v_dual_mov_b32 v100, s5 :: v_dual_add_nc_u32 v39, 8, v39
	v_add_nc_u32_e32 v40, -1, v40
	s_add_i32 s5, s5, 8
	ds_load_b64 v[100:101], v100
	v_cmp_eq_u32_e32 vcc_lo, 0, v40
	s_or_b32 s0, vcc_lo, s0
	s_waitcnt vmcnt(0) lgkmcnt(0)
	v_fma_f64 v[33:34], v[98:99], v[100:101], v[33:34]
	s_and_not1_b32 exec_lo, exec_lo, s0
	s_cbranch_execnz .LBB43_375
; %bb.376:
	s_or_b32 exec_lo, exec_lo, s0
.LBB43_377:
	s_delay_alu instid0(SALU_CYCLE_1)
	s_or_b32 exec_lo, exec_lo, s4
	v_mov_b32_e32 v39, 0
	ds_load_b64 v[39:40], v39 offset:40
	s_waitcnt lgkmcnt(0)
	v_mul_f64 v[33:34], v[33:34], v[39:40]
	scratch_store_b64 off, v[33:34], off offset:40
.LBB43_378:
	s_or_b32 exec_lo, exec_lo, s3
	scratch_load_b64 v[33:34], off, off offset:32
	v_cmp_lt_u32_e64 s0, 4, v0
	s_waitcnt vmcnt(0)
	ds_store_b64 v35, v[33:34]
	s_waitcnt lgkmcnt(0)
	s_waitcnt_vscnt null, 0x0
	s_barrier
	buffer_gl0_inv
	s_and_saveexec_b32 s3, s0
	s_cbranch_execz .LBB43_388
; %bb.379:
	s_and_not1_b32 vcc_lo, exec_lo, s2
	s_cbranch_vccnz .LBB43_381
; %bb.380:
	scratch_load_b64 v[33:34], v36, off
	ds_load_b64 v[39:40], v35
	s_waitcnt vmcnt(0) lgkmcnt(0)
	v_mul_f64 v[33:34], v[33:34], v[39:40]
	s_cbranch_execz .LBB43_382
	s_branch .LBB43_383
.LBB43_381:
                                        ; implicit-def: $vgpr33_vgpr34
.LBB43_382:
	ds_load_b64 v[33:34], v35
.LBB43_383:
	s_and_saveexec_b32 s4, s1
	s_cbranch_execz .LBB43_387
; %bb.384:
	v_add_nc_u32_e64 v39, 0, 40
	v_add_nc_u32_e32 v40, -5, v0
	s_movk_i32 s5, 0x188
	s_mov_b32 s1, 0
.LBB43_385:                             ; =>This Inner Loop Header: Depth=1
	scratch_load_b64 v[98:99], v39, off
	v_dual_mov_b32 v100, s5 :: v_dual_add_nc_u32 v39, 8, v39
	v_add_nc_u32_e32 v40, -1, v40
	s_add_i32 s5, s5, 8
	ds_load_b64 v[100:101], v100
	v_cmp_eq_u32_e32 vcc_lo, 0, v40
	s_or_b32 s1, vcc_lo, s1
	s_waitcnt vmcnt(0) lgkmcnt(0)
	v_fma_f64 v[33:34], v[98:99], v[100:101], v[33:34]
	s_and_not1_b32 exec_lo, exec_lo, s1
	s_cbranch_execnz .LBB43_385
; %bb.386:
	s_or_b32 exec_lo, exec_lo, s1
.LBB43_387:
	s_delay_alu instid0(SALU_CYCLE_1)
	s_or_b32 exec_lo, exec_lo, s4
	v_mov_b32_e32 v39, 0
	ds_load_b64 v[39:40], v39 offset:32
	s_waitcnt lgkmcnt(0)
	v_mul_f64 v[33:34], v[33:34], v[39:40]
	scratch_store_b64 off, v[33:34], off offset:32
.LBB43_388:
	s_or_b32 exec_lo, exec_lo, s3
	scratch_load_b64 v[33:34], off, off offset:24
	v_cmp_lt_u32_e64 s1, 3, v0
	s_waitcnt vmcnt(0)
	ds_store_b64 v35, v[33:34]
	s_waitcnt lgkmcnt(0)
	s_waitcnt_vscnt null, 0x0
	s_barrier
	buffer_gl0_inv
	s_and_saveexec_b32 s3, s1
	s_cbranch_execz .LBB43_398
; %bb.389:
	s_and_not1_b32 vcc_lo, exec_lo, s2
	s_cbranch_vccnz .LBB43_391
; %bb.390:
	scratch_load_b64 v[33:34], v36, off
	ds_load_b64 v[39:40], v35
	s_waitcnt vmcnt(0) lgkmcnt(0)
	v_mul_f64 v[33:34], v[33:34], v[39:40]
	s_cbranch_execz .LBB43_392
	s_branch .LBB43_393
.LBB43_391:
                                        ; implicit-def: $vgpr33_vgpr34
.LBB43_392:
	ds_load_b64 v[33:34], v35
.LBB43_393:
	s_and_saveexec_b32 s4, s0
	s_cbranch_execz .LBB43_397
; %bb.394:
	v_add_nc_u32_e32 v39, -4, v0
	s_movk_i32 s5, 0x180
	s_mov_b32 s0, 0
.LBB43_395:                             ; =>This Inner Loop Header: Depth=1
	scratch_load_b64 v[98:99], v38, off
	v_dual_mov_b32 v40, s5 :: v_dual_add_nc_u32 v39, -1, v39
	v_add_nc_u32_e32 v38, 8, v38
	s_add_i32 s5, s5, 8
	ds_load_b64 v[100:101], v40
	v_cmp_eq_u32_e32 vcc_lo, 0, v39
	s_or_b32 s0, vcc_lo, s0
	s_waitcnt vmcnt(0) lgkmcnt(0)
	v_fma_f64 v[33:34], v[98:99], v[100:101], v[33:34]
	s_and_not1_b32 exec_lo, exec_lo, s0
	s_cbranch_execnz .LBB43_395
; %bb.396:
	s_or_b32 exec_lo, exec_lo, s0
.LBB43_397:
	s_delay_alu instid0(SALU_CYCLE_1)
	s_or_b32 exec_lo, exec_lo, s4
	v_mov_b32_e32 v38, 0
	ds_load_b64 v[38:39], v38 offset:24
	s_waitcnt lgkmcnt(0)
	v_mul_f64 v[33:34], v[33:34], v[38:39]
	scratch_store_b64 off, v[33:34], off offset:24
.LBB43_398:
	s_or_b32 exec_lo, exec_lo, s3
	scratch_load_b64 v[33:34], off, off offset:16
	v_cmp_lt_u32_e64 s0, 2, v0
	s_waitcnt vmcnt(0)
	ds_store_b64 v35, v[33:34]
	s_waitcnt lgkmcnt(0)
	s_waitcnt_vscnt null, 0x0
	s_barrier
	buffer_gl0_inv
	s_and_saveexec_b32 s3, s0
	s_cbranch_execz .LBB43_408
; %bb.399:
	s_and_not1_b32 vcc_lo, exec_lo, s2
	s_cbranch_vccnz .LBB43_401
; %bb.400:
	scratch_load_b64 v[33:34], v36, off
	ds_load_b64 v[38:39], v35
	s_waitcnt vmcnt(0) lgkmcnt(0)
	v_mul_f64 v[33:34], v[33:34], v[38:39]
	s_cbranch_execz .LBB43_402
	s_branch .LBB43_403
.LBB43_401:
                                        ; implicit-def: $vgpr33_vgpr34
.LBB43_402:
	ds_load_b64 v[33:34], v35
.LBB43_403:
	s_and_saveexec_b32 s4, s1
	s_cbranch_execz .LBB43_407
; %bb.404:
	v_add_nc_u32_e64 v38, 0, 24
	v_add_nc_u32_e32 v39, -3, v0
	s_movk_i32 s5, 0x178
	s_mov_b32 s1, 0
.LBB43_405:                             ; =>This Inner Loop Header: Depth=1
	scratch_load_b64 v[98:99], v38, off
	v_dual_mov_b32 v40, s5 :: v_dual_add_nc_u32 v39, -1, v39
	v_add_nc_u32_e32 v38, 8, v38
	s_add_i32 s5, s5, 8
	ds_load_b64 v[100:101], v40
	v_cmp_eq_u32_e32 vcc_lo, 0, v39
	s_or_b32 s1, vcc_lo, s1
	s_waitcnt vmcnt(0) lgkmcnt(0)
	v_fma_f64 v[33:34], v[98:99], v[100:101], v[33:34]
	s_and_not1_b32 exec_lo, exec_lo, s1
	s_cbranch_execnz .LBB43_405
; %bb.406:
	s_or_b32 exec_lo, exec_lo, s1
.LBB43_407:
	s_delay_alu instid0(SALU_CYCLE_1)
	s_or_b32 exec_lo, exec_lo, s4
	v_mov_b32_e32 v38, 0
	ds_load_b64 v[38:39], v38 offset:16
	s_waitcnt lgkmcnt(0)
	v_mul_f64 v[33:34], v[33:34], v[38:39]
	scratch_store_b64 off, v[33:34], off offset:16
.LBB43_408:
	s_or_b32 exec_lo, exec_lo, s3
	scratch_load_b64 v[33:34], off, off offset:8
	v_cmp_lt_u32_e64 s1, 1, v0
	s_waitcnt vmcnt(0)
	ds_store_b64 v35, v[33:34]
	s_waitcnt lgkmcnt(0)
	s_waitcnt_vscnt null, 0x0
	s_barrier
	buffer_gl0_inv
	s_and_saveexec_b32 s3, s1
	s_cbranch_execz .LBB43_418
; %bb.409:
	s_and_not1_b32 vcc_lo, exec_lo, s2
	s_cbranch_vccnz .LBB43_411
; %bb.410:
	scratch_load_b64 v[33:34], v36, off
	ds_load_b64 v[38:39], v35
	s_waitcnt vmcnt(0) lgkmcnt(0)
	v_mul_f64 v[33:34], v[33:34], v[38:39]
	s_cbranch_execz .LBB43_412
	s_branch .LBB43_413
.LBB43_411:
                                        ; implicit-def: $vgpr33_vgpr34
.LBB43_412:
	ds_load_b64 v[33:34], v35
.LBB43_413:
	s_and_saveexec_b32 s4, s0
	s_cbranch_execz .LBB43_417
; %bb.414:
	v_add_nc_u32_e32 v38, -2, v0
	s_movk_i32 s5, 0x170
	s_mov_b32 s0, 0
.LBB43_415:                             ; =>This Inner Loop Header: Depth=1
	scratch_load_b64 v[39:40], v37, off
	v_dual_mov_b32 v98, s5 :: v_dual_add_nc_u32 v37, 8, v37
	v_add_nc_u32_e32 v38, -1, v38
	s_add_i32 s5, s5, 8
	ds_load_b64 v[98:99], v98
	v_cmp_eq_u32_e32 vcc_lo, 0, v38
	s_or_b32 s0, vcc_lo, s0
	s_waitcnt vmcnt(0) lgkmcnt(0)
	v_fma_f64 v[33:34], v[39:40], v[98:99], v[33:34]
	s_and_not1_b32 exec_lo, exec_lo, s0
	s_cbranch_execnz .LBB43_415
; %bb.416:
	s_or_b32 exec_lo, exec_lo, s0
.LBB43_417:
	s_delay_alu instid0(SALU_CYCLE_1)
	s_or_b32 exec_lo, exec_lo, s4
	v_mov_b32_e32 v37, 0
	ds_load_b64 v[37:38], v37 offset:8
	s_waitcnt lgkmcnt(0)
	v_mul_f64 v[33:34], v[33:34], v[37:38]
	scratch_store_b64 off, v[33:34], off offset:8
.LBB43_418:
	s_or_b32 exec_lo, exec_lo, s3
	scratch_load_b64 v[33:34], off, off
	s_mov_b32 s0, 0
	s_mov_b32 s3, exec_lo
	s_waitcnt vmcnt(0)
	ds_store_b64 v35, v[33:34]
	s_waitcnt lgkmcnt(0)
	s_waitcnt_vscnt null, 0x0
	s_barrier
	buffer_gl0_inv
	v_cmpx_ne_u32_e32 0, v0
	s_cbranch_execz .LBB43_428
; %bb.419:
	s_and_not1_b32 vcc_lo, exec_lo, s2
	s_cbranch_vccnz .LBB43_421
; %bb.420:
	scratch_load_b64 v[33:34], v36, off
	ds_load_b64 v[37:38], v35
	s_waitcnt vmcnt(0) lgkmcnt(0)
	v_mul_f64 v[33:34], v[33:34], v[37:38]
	s_cbranch_execz .LBB43_422
	s_branch .LBB43_423
.LBB43_421:
                                        ; implicit-def: $vgpr33_vgpr34
.LBB43_422:
	ds_load_b64 v[33:34], v35
.LBB43_423:
	s_and_saveexec_b32 s4, s1
	s_cbranch_execz .LBB43_427
; %bb.424:
	v_or_b32_e64 v37, 0, 8
	v_add_nc_u32_e32 v38, -1, v0
	s_movk_i32 s5, 0x168
	s_mov_b32 s1, 0
.LBB43_425:                             ; =>This Inner Loop Header: Depth=1
	scratch_load_b64 v[39:40], v37, off
	v_dual_mov_b32 v98, s5 :: v_dual_add_nc_u32 v37, 8, v37
	v_add_nc_u32_e32 v38, -1, v38
	s_add_i32 s5, s5, 8
	ds_load_b64 v[98:99], v98
	v_cmp_eq_u32_e32 vcc_lo, 0, v38
	s_or_b32 s1, vcc_lo, s1
	s_waitcnt vmcnt(0) lgkmcnt(0)
	v_fma_f64 v[33:34], v[39:40], v[98:99], v[33:34]
	s_and_not1_b32 exec_lo, exec_lo, s1
	s_cbranch_execnz .LBB43_425
; %bb.426:
	s_or_b32 exec_lo, exec_lo, s1
.LBB43_427:
	s_delay_alu instid0(SALU_CYCLE_1)
	s_or_b32 exec_lo, exec_lo, s4
	v_mov_b32_e32 v37, 0
	ds_load_b64 v[37:38], v37
	s_waitcnt lgkmcnt(0)
	v_mul_f64 v[33:34], v[33:34], v[37:38]
	scratch_store_b64 off, v[33:34], off
.LBB43_428:
	s_or_b32 exec_lo, exec_lo, s3
.LBB43_429:
	s_delay_alu instid0(SALU_CYCLE_1)
	s_and_b32 vcc_lo, exec_lo, s0
	s_cbranch_vccz .LBB43_855
; %bb.430:
	scratch_load_b64 v[33:34], off, off offset:8
	v_cmp_eq_u32_e64 s0, 0, v0
	s_waitcnt vmcnt(0)
	ds_store_b64 v35, v[33:34]
	s_waitcnt lgkmcnt(0)
	s_waitcnt_vscnt null, 0x0
	s_barrier
	buffer_gl0_inv
	s_and_saveexec_b32 s1, s0
	s_cbranch_execz .LBB43_436
; %bb.431:
	s_and_b32 vcc_lo, exec_lo, s2
	s_cbranch_vccz .LBB43_433
; %bb.432:
	scratch_load_b64 v[33:34], v36, off
	ds_load_b64 v[37:38], v35
	s_waitcnt vmcnt(0) lgkmcnt(0)
	v_mul_f64 v[33:34], v[33:34], v[37:38]
	s_cbranch_execz .LBB43_434
	s_branch .LBB43_435
.LBB43_433:
                                        ; implicit-def: $vgpr33_vgpr34
.LBB43_434:
	ds_load_b64 v[33:34], v35
.LBB43_435:
	v_mov_b32_e32 v37, 0
	ds_load_b64 v[37:38], v37 offset:8
	s_waitcnt lgkmcnt(0)
	v_mul_f64 v[33:34], v[33:34], v[37:38]
	scratch_store_b64 off, v[33:34], off offset:8
.LBB43_436:
	s_or_b32 exec_lo, exec_lo, s1
	scratch_load_b64 v[33:34], off, off offset:16
	v_cndmask_b32_e64 v37, 0, 1, s2
	s_mov_b32 s1, exec_lo
	s_waitcnt vmcnt(0)
	ds_store_b64 v35, v[33:34]
	s_waitcnt lgkmcnt(0)
	s_waitcnt_vscnt null, 0x0
	s_barrier
	buffer_gl0_inv
	v_cmpx_gt_u32_e32 2, v0
	s_cbranch_execz .LBB43_444
; %bb.437:
	s_and_not1_b32 vcc_lo, exec_lo, s2
	s_cbranch_vccnz .LBB43_439
; %bb.438:
	scratch_load_b64 v[33:34], v36, off
	ds_load_b64 v[38:39], v35
	s_waitcnt vmcnt(0) lgkmcnt(0)
	v_mul_f64 v[33:34], v[33:34], v[38:39]
	s_cbranch_execz .LBB43_440
	s_branch .LBB43_441
.LBB43_439:
                                        ; implicit-def: $vgpr33_vgpr34
.LBB43_440:
	ds_load_b64 v[33:34], v35
.LBB43_441:
	s_and_saveexec_b32 s2, s0
	s_cbranch_execz .LBB43_443
; %bb.442:
	scratch_load_b64 v[38:39], v36, off offset:8
	ds_load_b64 v[98:99], v35 offset:8
	s_waitcnt vmcnt(0) lgkmcnt(0)
	v_fma_f64 v[33:34], v[38:39], v[98:99], v[33:34]
.LBB43_443:
	s_or_b32 exec_lo, exec_lo, s2
	v_mov_b32_e32 v38, 0
	ds_load_b64 v[38:39], v38 offset:16
	s_waitcnt lgkmcnt(0)
	v_mul_f64 v[33:34], v[33:34], v[38:39]
	scratch_store_b64 off, v[33:34], off offset:16
.LBB43_444:
	s_or_b32 exec_lo, exec_lo, s1
	scratch_load_b64 v[33:34], off, off offset:24
	s_mov_b32 s1, exec_lo
	s_waitcnt vmcnt(0)
	ds_store_b64 v35, v[33:34]
	s_waitcnt lgkmcnt(0)
	s_waitcnt_vscnt null, 0x0
	s_barrier
	buffer_gl0_inv
	v_cmpx_gt_u32_e32 3, v0
	s_cbranch_execz .LBB43_454
; %bb.445:
	v_cmp_ne_u32_e32 vcc_lo, 1, v37
	s_cbranch_vccnz .LBB43_447
; %bb.446:
	scratch_load_b64 v[33:34], v36, off
	ds_load_b64 v[38:39], v35
	s_waitcnt vmcnt(0) lgkmcnt(0)
	v_mul_f64 v[33:34], v[33:34], v[38:39]
	s_cbranch_execz .LBB43_448
	s_branch .LBB43_449
.LBB43_447:
                                        ; implicit-def: $vgpr33_vgpr34
.LBB43_448:
	ds_load_b64 v[33:34], v35
.LBB43_449:
	s_mov_b32 s2, exec_lo
	v_cmpx_ne_u32_e32 2, v0
	s_cbranch_execz .LBB43_453
; %bb.450:
	scratch_load_b64 v[38:39], v36, off offset:8
	ds_load_b64 v[98:99], v35 offset:8
	s_waitcnt vmcnt(0) lgkmcnt(0)
	v_fma_f64 v[33:34], v[38:39], v[98:99], v[33:34]
	s_and_saveexec_b32 s3, s0
	s_cbranch_execz .LBB43_452
; %bb.451:
	scratch_load_b64 v[38:39], off, off offset:16
	v_mov_b32_e32 v40, 0
	ds_load_b64 v[98:99], v40 offset:368
	s_waitcnt vmcnt(0) lgkmcnt(0)
	v_fma_f64 v[33:34], v[38:39], v[98:99], v[33:34]
.LBB43_452:
	s_or_b32 exec_lo, exec_lo, s3
.LBB43_453:
	s_delay_alu instid0(SALU_CYCLE_1)
	s_or_b32 exec_lo, exec_lo, s2
	v_mov_b32_e32 v38, 0
	ds_load_b64 v[38:39], v38 offset:24
	s_waitcnt lgkmcnt(0)
	v_mul_f64 v[33:34], v[33:34], v[38:39]
	scratch_store_b64 off, v[33:34], off offset:24
.LBB43_454:
	s_or_b32 exec_lo, exec_lo, s1
	scratch_load_b64 v[33:34], off, off offset:32
	s_mov_b32 s0, exec_lo
	s_waitcnt vmcnt(0)
	ds_store_b64 v35, v[33:34]
	s_waitcnt lgkmcnt(0)
	s_waitcnt_vscnt null, 0x0
	s_barrier
	buffer_gl0_inv
	v_cmpx_gt_u32_e32 4, v0
	s_cbranch_execz .LBB43_464
; %bb.455:
	v_cmp_ne_u32_e32 vcc_lo, 1, v37
	s_cbranch_vccnz .LBB43_457
; %bb.456:
	scratch_load_b64 v[33:34], v36, off
	ds_load_b64 v[38:39], v35
	s_waitcnt vmcnt(0) lgkmcnt(0)
	v_mul_f64 v[33:34], v[33:34], v[38:39]
	s_cbranch_execz .LBB43_458
	s_branch .LBB43_459
.LBB43_457:
                                        ; implicit-def: $vgpr33_vgpr34
.LBB43_458:
	ds_load_b64 v[33:34], v35
.LBB43_459:
	s_mov_b32 s1, exec_lo
	v_cmpx_ne_u32_e32 3, v0
	s_cbranch_execz .LBB43_463
; %bb.460:
	v_add_nc_u32_e32 v38, 0x168, v97
	v_add3_u32 v39, 0, v97, 8
	v_mov_b32_e32 v40, v0
	s_mov_b32 s2, 0
.LBB43_461:                             ; =>This Inner Loop Header: Depth=1
	scratch_load_b64 v[98:99], v39, off
	ds_load_b64 v[100:101], v38
	v_add_nc_u32_e32 v40, 1, v40
	v_add_nc_u32_e32 v38, 8, v38
	v_add_nc_u32_e32 v39, 8, v39
	s_delay_alu instid0(VALU_DEP_3)
	v_cmp_lt_u32_e32 vcc_lo, 2, v40
	s_or_b32 s2, vcc_lo, s2
	s_waitcnt vmcnt(0) lgkmcnt(0)
	v_fma_f64 v[33:34], v[98:99], v[100:101], v[33:34]
	s_and_not1_b32 exec_lo, exec_lo, s2
	s_cbranch_execnz .LBB43_461
; %bb.462:
	s_or_b32 exec_lo, exec_lo, s2
.LBB43_463:
	s_delay_alu instid0(SALU_CYCLE_1)
	s_or_b32 exec_lo, exec_lo, s1
	v_mov_b32_e32 v38, 0
	ds_load_b64 v[38:39], v38 offset:32
	s_waitcnt lgkmcnt(0)
	v_mul_f64 v[33:34], v[33:34], v[38:39]
	scratch_store_b64 off, v[33:34], off offset:32
.LBB43_464:
	s_or_b32 exec_lo, exec_lo, s0
	scratch_load_b64 v[33:34], off, off offset:40
	s_mov_b32 s0, exec_lo
	s_waitcnt vmcnt(0)
	ds_store_b64 v35, v[33:34]
	s_waitcnt lgkmcnt(0)
	s_waitcnt_vscnt null, 0x0
	s_barrier
	buffer_gl0_inv
	v_cmpx_gt_u32_e32 5, v0
	s_cbranch_execz .LBB43_474
; %bb.465:
	v_cmp_ne_u32_e32 vcc_lo, 1, v37
	s_cbranch_vccnz .LBB43_467
; %bb.466:
	scratch_load_b64 v[33:34], v36, off
	ds_load_b64 v[38:39], v35
	s_waitcnt vmcnt(0) lgkmcnt(0)
	v_mul_f64 v[33:34], v[33:34], v[38:39]
	s_cbranch_execz .LBB43_468
	s_branch .LBB43_469
.LBB43_467:
                                        ; implicit-def: $vgpr33_vgpr34
.LBB43_468:
	ds_load_b64 v[33:34], v35
.LBB43_469:
	s_mov_b32 s1, exec_lo
	v_cmpx_ne_u32_e32 4, v0
	s_cbranch_execz .LBB43_473
; %bb.470:
	v_add_nc_u32_e32 v38, 0x168, v97
	v_add3_u32 v39, 0, v97, 8
	v_mov_b32_e32 v40, v0
	s_mov_b32 s2, 0
.LBB43_471:                             ; =>This Inner Loop Header: Depth=1
	scratch_load_b64 v[98:99], v39, off
	ds_load_b64 v[100:101], v38
	v_add_nc_u32_e32 v40, 1, v40
	v_add_nc_u32_e32 v38, 8, v38
	v_add_nc_u32_e32 v39, 8, v39
	s_delay_alu instid0(VALU_DEP_3)
	v_cmp_lt_u32_e32 vcc_lo, 3, v40
	s_or_b32 s2, vcc_lo, s2
	s_waitcnt vmcnt(0) lgkmcnt(0)
	v_fma_f64 v[33:34], v[98:99], v[100:101], v[33:34]
	s_and_not1_b32 exec_lo, exec_lo, s2
	s_cbranch_execnz .LBB43_471
; %bb.472:
	s_or_b32 exec_lo, exec_lo, s2
.LBB43_473:
	s_delay_alu instid0(SALU_CYCLE_1)
	s_or_b32 exec_lo, exec_lo, s1
	v_mov_b32_e32 v38, 0
	ds_load_b64 v[38:39], v38 offset:40
	s_waitcnt lgkmcnt(0)
	v_mul_f64 v[33:34], v[33:34], v[38:39]
	scratch_store_b64 off, v[33:34], off offset:40
.LBB43_474:
	;; [unrolled: 58-line block ×38, first 2 shown]
	s_or_b32 exec_lo, exec_lo, s0
	scratch_load_b64 v[33:34], off, off offset:336
	v_cmp_gt_u32_e64 s0, 42, v0
	s_waitcnt vmcnt(0)
	ds_store_b64 v35, v[33:34]
	s_waitcnt lgkmcnt(0)
	s_waitcnt_vscnt null, 0x0
	s_barrier
	buffer_gl0_inv
	s_and_saveexec_b32 s1, s0
	s_cbranch_execz .LBB43_844
; %bb.835:
	v_cmp_ne_u32_e32 vcc_lo, 1, v37
	s_cbranch_vccnz .LBB43_837
; %bb.836:
	scratch_load_b64 v[33:34], v36, off
	ds_load_b64 v[38:39], v35
	s_waitcnt vmcnt(0) lgkmcnt(0)
	v_mul_f64 v[33:34], v[33:34], v[38:39]
	s_cbranch_execz .LBB43_838
	s_branch .LBB43_839
.LBB43_837:
                                        ; implicit-def: $vgpr33_vgpr34
.LBB43_838:
	ds_load_b64 v[33:34], v35
.LBB43_839:
	s_mov_b32 s2, exec_lo
	v_cmpx_ne_u32_e32 41, v0
	s_cbranch_execz .LBB43_843
; %bb.840:
	v_add_nc_u32_e32 v38, 0x168, v97
	v_add3_u32 v39, 0, v97, 8
	v_mov_b32_e32 v40, v0
	s_mov_b32 s3, 0
.LBB43_841:                             ; =>This Inner Loop Header: Depth=1
	scratch_load_b64 v[98:99], v39, off
	ds_load_b64 v[100:101], v38
	v_add_nc_u32_e32 v40, 1, v40
	v_add_nc_u32_e32 v38, 8, v38
	;; [unrolled: 1-line block ×3, first 2 shown]
	s_delay_alu instid0(VALU_DEP_3)
	v_cmp_lt_u32_e32 vcc_lo, 40, v40
	s_or_b32 s3, vcc_lo, s3
	s_waitcnt vmcnt(0) lgkmcnt(0)
	v_fma_f64 v[33:34], v[98:99], v[100:101], v[33:34]
	s_and_not1_b32 exec_lo, exec_lo, s3
	s_cbranch_execnz .LBB43_841
; %bb.842:
	s_or_b32 exec_lo, exec_lo, s3
.LBB43_843:
	s_delay_alu instid0(SALU_CYCLE_1)
	s_or_b32 exec_lo, exec_lo, s2
	v_mov_b32_e32 v38, 0
	ds_load_b64 v[38:39], v38 offset:336
	s_waitcnt lgkmcnt(0)
	v_mul_f64 v[33:34], v[33:34], v[38:39]
	scratch_store_b64 off, v[33:34], off offset:336
.LBB43_844:
	s_or_b32 exec_lo, exec_lo, s1
	scratch_load_b64 v[33:34], off, off offset:344
	s_mov_b32 s1, exec_lo
	s_waitcnt vmcnt(0)
	ds_store_b64 v35, v[33:34]
	s_waitcnt lgkmcnt(0)
	s_waitcnt_vscnt null, 0x0
	s_barrier
	buffer_gl0_inv
	v_cmpx_ne_u32_e32 43, v0
	s_cbranch_execz .LBB43_854
; %bb.845:
	v_cmp_ne_u32_e32 vcc_lo, 1, v37
	s_cbranch_vccnz .LBB43_847
; %bb.846:
	scratch_load_b64 v[33:34], v36, off
	ds_load_b64 v[36:37], v35
	s_waitcnt vmcnt(0) lgkmcnt(0)
	v_mul_f64 v[33:34], v[33:34], v[36:37]
	s_cbranch_execz .LBB43_848
	s_branch .LBB43_849
.LBB43_847:
                                        ; implicit-def: $vgpr33_vgpr34
.LBB43_848:
	ds_load_b64 v[33:34], v35
.LBB43_849:
	s_and_saveexec_b32 s2, s0
	s_cbranch_execz .LBB43_853
; %bb.850:
	v_add_nc_u32_e32 v35, 0x168, v97
	v_add3_u32 v36, 0, v97, 8
	s_mov_b32 s0, 0
.LBB43_851:                             ; =>This Inner Loop Header: Depth=1
	scratch_load_b64 v[37:38], v36, off
	ds_load_b64 v[39:40], v35
	v_add_nc_u32_e32 v0, 1, v0
	v_add_nc_u32_e32 v35, 8, v35
	;; [unrolled: 1-line block ×3, first 2 shown]
	s_delay_alu instid0(VALU_DEP_3)
	v_cmp_lt_u32_e32 vcc_lo, 41, v0
	s_or_b32 s0, vcc_lo, s0
	s_waitcnt vmcnt(0) lgkmcnt(0)
	v_fma_f64 v[33:34], v[37:38], v[39:40], v[33:34]
	s_and_not1_b32 exec_lo, exec_lo, s0
	s_cbranch_execnz .LBB43_851
; %bb.852:
	s_or_b32 exec_lo, exec_lo, s0
.LBB43_853:
	s_delay_alu instid0(SALU_CYCLE_1)
	s_or_b32 exec_lo, exec_lo, s2
	v_mov_b32_e32 v0, 0
	ds_load_b64 v[35:36], v0 offset:344
	s_waitcnt lgkmcnt(0)
	v_mul_f64 v[33:34], v[33:34], v[35:36]
	scratch_store_b64 off, v[33:34], off offset:344
.LBB43_854:
	s_or_b32 exec_lo, exec_lo, s1
.LBB43_855:
	s_clause 0xc
	scratch_load_b128 v[33:36], off, off
	scratch_load_b128 v[37:40], off, off offset:16
	scratch_load_b128 v[97:100], off, off offset:32
	;; [unrolled: 1-line block ×12, first 2 shown]
	s_waitcnt vmcnt(12)
	s_clause 0x1
	global_store_b64 v[47:48], v[33:34], off
	global_store_b64 v[45:46], v[35:36], off
	s_clause 0x1
	scratch_load_b128 v[33:36], off, off offset:208
	scratch_load_b128 v[45:48], off, off offset:224
	s_waitcnt vmcnt(13)
	s_clause 0x1
	global_store_b64 v[41:42], v[37:38], off
	global_store_b64 v[43:44], v[39:40], off
	s_clause 0x1
	scratch_load_b128 v[37:40], off, off offset:240
	scratch_load_b128 v[41:44], off, off offset:256
	;; [unrolled: 7-line block ×4, first 2 shown]
	s_waitcnt vmcnt(16)
	s_clause 0x1
	global_store_b64 v[57:58], v[105:106], off
	global_store_b64 v[61:62], v[107:108], off
	scratch_load_b128 v[105:108], off, off offset:336
	s_waitcnt vmcnt(16)
	s_clause 0x1
	global_store_b64 v[59:60], v[109:110], off
	global_store_b64 v[63:64], v[111:112], off
	s_waitcnt vmcnt(15)
	s_clause 0x1
	global_store_b64 v[65:66], v[113:114], off
	global_store_b64 v[67:68], v[115:116], off
	;; [unrolled: 4-line block ×17, first 2 shown]
.LBB43_856:
	s_endpgm
	.section	.rodata,"a",@progbits
	.p2align	6, 0x0
	.amdhsa_kernel _ZN9rocsolver6v33100L18trti2_kernel_smallILi44EdPdEEv13rocblas_fill_17rocblas_diagonal_T1_iil
		.amdhsa_group_segment_fixed_size 704
		.amdhsa_private_segment_fixed_size 368
		.amdhsa_kernarg_size 32
		.amdhsa_user_sgpr_count 15
		.amdhsa_user_sgpr_dispatch_ptr 0
		.amdhsa_user_sgpr_queue_ptr 0
		.amdhsa_user_sgpr_kernarg_segment_ptr 1
		.amdhsa_user_sgpr_dispatch_id 0
		.amdhsa_user_sgpr_private_segment_size 0
		.amdhsa_wavefront_size32 1
		.amdhsa_uses_dynamic_stack 0
		.amdhsa_enable_private_segment 1
		.amdhsa_system_sgpr_workgroup_id_x 1
		.amdhsa_system_sgpr_workgroup_id_y 0
		.amdhsa_system_sgpr_workgroup_id_z 0
		.amdhsa_system_sgpr_workgroup_info 0
		.amdhsa_system_vgpr_workitem_id 0
		.amdhsa_next_free_vgpr 144
		.amdhsa_next_free_sgpr 19
		.amdhsa_reserve_vcc 1
		.amdhsa_float_round_mode_32 0
		.amdhsa_float_round_mode_16_64 0
		.amdhsa_float_denorm_mode_32 3
		.amdhsa_float_denorm_mode_16_64 3
		.amdhsa_dx10_clamp 1
		.amdhsa_ieee_mode 1
		.amdhsa_fp16_overflow 0
		.amdhsa_workgroup_processor_mode 1
		.amdhsa_memory_ordered 1
		.amdhsa_forward_progress 0
		.amdhsa_shared_vgpr_count 0
		.amdhsa_exception_fp_ieee_invalid_op 0
		.amdhsa_exception_fp_denorm_src 0
		.amdhsa_exception_fp_ieee_div_zero 0
		.amdhsa_exception_fp_ieee_overflow 0
		.amdhsa_exception_fp_ieee_underflow 0
		.amdhsa_exception_fp_ieee_inexact 0
		.amdhsa_exception_int_div_zero 0
	.end_amdhsa_kernel
	.section	.text._ZN9rocsolver6v33100L18trti2_kernel_smallILi44EdPdEEv13rocblas_fill_17rocblas_diagonal_T1_iil,"axG",@progbits,_ZN9rocsolver6v33100L18trti2_kernel_smallILi44EdPdEEv13rocblas_fill_17rocblas_diagonal_T1_iil,comdat
.Lfunc_end43:
	.size	_ZN9rocsolver6v33100L18trti2_kernel_smallILi44EdPdEEv13rocblas_fill_17rocblas_diagonal_T1_iil, .Lfunc_end43-_ZN9rocsolver6v33100L18trti2_kernel_smallILi44EdPdEEv13rocblas_fill_17rocblas_diagonal_T1_iil
                                        ; -- End function
	.section	.AMDGPU.csdata,"",@progbits
; Kernel info:
; codeLenInByte = 24024
; NumSgprs: 21
; NumVgprs: 144
; ScratchSize: 368
; MemoryBound: 0
; FloatMode: 240
; IeeeMode: 1
; LDSByteSize: 704 bytes/workgroup (compile time only)
; SGPRBlocks: 2
; VGPRBlocks: 17
; NumSGPRsForWavesPerEU: 21
; NumVGPRsForWavesPerEU: 144
; Occupancy: 10
; WaveLimiterHint : 0
; COMPUTE_PGM_RSRC2:SCRATCH_EN: 1
; COMPUTE_PGM_RSRC2:USER_SGPR: 15
; COMPUTE_PGM_RSRC2:TRAP_HANDLER: 0
; COMPUTE_PGM_RSRC2:TGID_X_EN: 1
; COMPUTE_PGM_RSRC2:TGID_Y_EN: 0
; COMPUTE_PGM_RSRC2:TGID_Z_EN: 0
; COMPUTE_PGM_RSRC2:TIDIG_COMP_CNT: 0
	.section	.text._ZN9rocsolver6v33100L18trti2_kernel_smallILi45EdPdEEv13rocblas_fill_17rocblas_diagonal_T1_iil,"axG",@progbits,_ZN9rocsolver6v33100L18trti2_kernel_smallILi45EdPdEEv13rocblas_fill_17rocblas_diagonal_T1_iil,comdat
	.globl	_ZN9rocsolver6v33100L18trti2_kernel_smallILi45EdPdEEv13rocblas_fill_17rocblas_diagonal_T1_iil ; -- Begin function _ZN9rocsolver6v33100L18trti2_kernel_smallILi45EdPdEEv13rocblas_fill_17rocblas_diagonal_T1_iil
	.p2align	8
	.type	_ZN9rocsolver6v33100L18trti2_kernel_smallILi45EdPdEEv13rocblas_fill_17rocblas_diagonal_T1_iil,@function
_ZN9rocsolver6v33100L18trti2_kernel_smallILi45EdPdEEv13rocblas_fill_17rocblas_diagonal_T1_iil: ; @_ZN9rocsolver6v33100L18trti2_kernel_smallILi45EdPdEEv13rocblas_fill_17rocblas_diagonal_T1_iil
; %bb.0:
	s_mov_b32 s2, exec_lo
	v_cmpx_gt_u32_e32 45, v0
	s_cbranch_execz .LBB44_876
; %bb.1:
	s_load_b256 s[0:7], s[0:1], 0x0
	s_ashr_i32 s10, s15, 31
	v_lshlrev_b32_e32 v135, 3, v0
	s_waitcnt lgkmcnt(0)
	s_ashr_i32 s9, s4, 31
	s_mov_b32 s8, s4
	s_mul_i32 s4, s15, s7
	s_mul_hi_u32 s7, s15, s6
	s_mul_i32 s11, s10, s6
	s_add_i32 s4, s7, s4
	v_add3_u32 v1, s5, s5, v0
	s_mul_i32 s6, s15, s6
	s_add_i32 s7, s4, s11
	s_mov_b32 s10, s5
	s_lshl_b64 s[6:7], s[6:7], 3
	v_add_nc_u32_e32 v3, s5, v1
	s_add_u32 s4, s2, s6
	s_addc_u32 s6, s3, s7
	s_lshl_b64 s[2:3], s[8:9], 3
	v_ashrrev_i32_e32 v2, 31, v1
	s_add_u32 s2, s4, s2
	v_add_nc_u32_e32 v7, s5, v3
	s_addc_u32 s3, s6, s3
	v_add_co_u32 v51, s4, s2, v135
	s_ashr_i32 s11, s5, 31
	v_lshlrev_b64 v[5:6], 3, v[1:2]
	v_add_co_ci_u32_e64 v52, null, s3, 0, s4
	s_lshl_b64 s[6:7], s[10:11], 3
	v_ashrrev_i32_e32 v8, 31, v7
	v_add_co_u32 v49, vcc_lo, v51, s6
	s_delay_alu instid0(VALU_DEP_3)
	v_add_co_ci_u32_e32 v50, vcc_lo, s7, v52, vcc_lo
	v_add_co_u32 v45, vcc_lo, s2, v5
	v_add_co_ci_u32_e32 v46, vcc_lo, s3, v6, vcc_lo
	v_lshlrev_b64 v[5:6], 3, v[7:8]
	v_add_nc_u32_e32 v7, s5, v7
	v_ashrrev_i32_e32 v4, 31, v3
	global_load_b64 v[1:2], v135, s[2:3]
	s_cmpk_lg_i32 s1, 0x84
	v_add_nc_u32_e32 v11, s5, v7
	v_lshlrev_b64 v[3:4], 3, v[3:4]
	v_ashrrev_i32_e32 v8, 31, v7
	s_delay_alu instid0(VALU_DEP_3) | instskip(SKIP_1) | instid1(VALU_DEP_4)
	v_add_nc_u32_e32 v15, s5, v11
	v_ashrrev_i32_e32 v12, 31, v11
	v_add_co_u32 v47, vcc_lo, s2, v3
	s_delay_alu instid0(VALU_DEP_4)
	v_lshlrev_b64 v[13:14], 3, v[7:8]
	v_add_co_ci_u32_e32 v48, vcc_lo, s3, v4, vcc_lo
	v_add_co_u32 v53, vcc_lo, s2, v5
	v_ashrrev_i32_e32 v16, 31, v15
	v_add_nc_u32_e32 v17, s5, v15
	v_add_co_ci_u32_e32 v54, vcc_lo, s3, v6, vcc_lo
	v_add_co_u32 v57, vcc_lo, s2, v13
	v_add_co_ci_u32_e32 v58, vcc_lo, s3, v14, vcc_lo
	v_lshlrev_b64 v[13:14], 3, v[15:16]
	v_add_nc_u32_e32 v15, s5, v17
	v_lshlrev_b64 v[11:12], 3, v[11:12]
	v_ashrrev_i32_e32 v18, 31, v17
	s_clause 0x3
	global_load_b64 v[3:4], v[49:50], off
	global_load_b64 v[5:6], v[45:46], off
	;; [unrolled: 1-line block ×4, first 2 shown]
	v_add_nc_u32_e32 v19, s5, v15
	v_ashrrev_i32_e32 v16, 31, v15
	v_add_co_u32 v55, vcc_lo, s2, v11
	v_add_co_ci_u32_e32 v56, vcc_lo, s3, v12, vcc_lo
	v_lshlrev_b64 v[11:12], 3, v[17:18]
	v_add_nc_u32_e32 v23, s5, v19
	v_add_co_u32 v59, vcc_lo, s2, v13
	v_lshlrev_b64 v[21:22], 3, v[15:16]
	v_add_co_ci_u32_e32 v60, vcc_lo, s3, v14, vcc_lo
	v_add_co_u32 v61, vcc_lo, s2, v11
	v_ashrrev_i32_e32 v24, 31, v23
	v_add_nc_u32_e32 v25, s5, v23
	v_ashrrev_i32_e32 v20, 31, v19
	v_add_co_ci_u32_e32 v62, vcc_lo, s3, v12, vcc_lo
	v_add_co_u32 v65, vcc_lo, s2, v21
	v_add_co_ci_u32_e32 v66, vcc_lo, s3, v22, vcc_lo
	v_lshlrev_b64 v[21:22], 3, v[23:24]
	v_add_nc_u32_e32 v23, s5, v25
	v_lshlrev_b64 v[19:20], 3, v[19:20]
	v_ashrrev_i32_e32 v26, 31, v25
	s_clause 0x3
	global_load_b64 v[11:12], v[57:58], off
	global_load_b64 v[13:14], v[55:56], off
	global_load_b64 v[15:16], v[59:60], off
	global_load_b64 v[17:18], v[61:62], off
	v_add_nc_u32_e32 v27, s5, v23
	v_ashrrev_i32_e32 v24, 31, v23
	v_add_co_u32 v63, vcc_lo, s2, v19
	v_add_co_ci_u32_e32 v64, vcc_lo, s3, v20, vcc_lo
	v_lshlrev_b64 v[19:20], 3, v[25:26]
	v_add_nc_u32_e32 v31, s5, v27
	v_add_co_u32 v67, vcc_lo, s2, v21
	v_lshlrev_b64 v[29:30], 3, v[23:24]
	v_add_co_ci_u32_e32 v68, vcc_lo, s3, v22, vcc_lo
	v_add_co_u32 v69, vcc_lo, s2, v19
	v_ashrrev_i32_e32 v32, 31, v31
	v_add_nc_u32_e32 v33, s5, v31
	v_add_co_ci_u32_e32 v70, vcc_lo, s3, v20, vcc_lo
	v_add_co_u32 v71, vcc_lo, s2, v29
	v_ashrrev_i32_e32 v28, 31, v27
	v_add_co_ci_u32_e32 v72, vcc_lo, s3, v30, vcc_lo
	v_lshlrev_b64 v[29:30], 3, v[31:32]
	v_add_nc_u32_e32 v31, s5, v33
	s_delay_alu instid0(VALU_DEP_4)
	v_lshlrev_b64 v[27:28], 3, v[27:28]
	v_ashrrev_i32_e32 v34, 31, v33
	s_clause 0x3
	global_load_b64 v[19:20], v[65:66], off
	global_load_b64 v[21:22], v[63:64], off
	;; [unrolled: 1-line block ×4, first 2 shown]
	v_add_nc_u32_e32 v35, s5, v31
	v_ashrrev_i32_e32 v32, 31, v31
	v_add_co_u32 v73, vcc_lo, s2, v27
	v_add_co_ci_u32_e32 v74, vcc_lo, s3, v28, vcc_lo
	s_delay_alu instid0(VALU_DEP_4) | instskip(SKIP_3) | instid1(VALU_DEP_4)
	v_add_nc_u32_e32 v37, s5, v35
	v_lshlrev_b64 v[27:28], 3, v[33:34]
	v_add_co_u32 v75, vcc_lo, s2, v29
	v_ashrrev_i32_e32 v36, 31, v35
	v_add_nc_u32_e32 v39, s5, v37
	v_add_co_ci_u32_e32 v76, vcc_lo, s3, v30, vcc_lo
	v_lshlrev_b64 v[29:30], 3, v[31:32]
	v_ashrrev_i32_e32 v38, 31, v37
	v_add_co_u32 v77, vcc_lo, s2, v27
	v_lshlrev_b64 v[41:42], 3, v[35:36]
	v_add_nc_u32_e32 v89, s5, v39
	v_add_co_ci_u32_e32 v78, vcc_lo, s3, v28, vcc_lo
	v_add_co_u32 v79, vcc_lo, s2, v29
	v_lshlrev_b64 v[37:38], 3, v[37:38]
	v_ashrrev_i32_e32 v40, 31, v39
	v_add_co_ci_u32_e32 v80, vcc_lo, s3, v30, vcc_lo
	v_add_co_u32 v81, vcc_lo, s2, v41
	v_ashrrev_i32_e32 v90, 31, v89
	v_add_co_ci_u32_e32 v82, vcc_lo, s3, v42, vcc_lo
	v_lshlrev_b64 v[39:40], 3, v[39:40]
	v_add_co_u32 v83, vcc_lo, s2, v37
	v_add_co_ci_u32_e32 v84, vcc_lo, s3, v38, vcc_lo
	v_lshlrev_b64 v[37:38], 3, v[89:90]
	s_delay_alu instid0(VALU_DEP_4)
	v_add_co_u32 v85, vcc_lo, s2, v39
	s_clause 0x3
	global_load_b64 v[27:28], v[71:72], off
	global_load_b64 v[29:30], v[73:74], off
	;; [unrolled: 1-line block ×4, first 2 shown]
	v_add_co_ci_u32_e32 v86, vcc_lo, s3, v40, vcc_lo
	global_load_b64 v[35:36], v[79:80], off
	v_add_co_u32 v87, vcc_lo, s2, v37
	v_add_co_ci_u32_e32 v88, vcc_lo, s3, v38, vcc_lo
	s_clause 0x3
	global_load_b64 v[37:38], v[81:82], off
	global_load_b64 v[39:40], v[83:84], off
	;; [unrolled: 1-line block ×4, first 2 shown]
	v_add_nc_u32_e32 v89, s5, v89
	s_delay_alu instid0(VALU_DEP_1) | instskip(SKIP_1) | instid1(VALU_DEP_2)
	v_add_nc_u32_e32 v91, s5, v89
	v_ashrrev_i32_e32 v90, 31, v89
	v_add_nc_u32_e32 v93, s5, v91
	v_ashrrev_i32_e32 v92, 31, v91
	s_delay_alu instid0(VALU_DEP_3) | instskip(NEXT) | instid1(VALU_DEP_3)
	v_lshlrev_b64 v[89:90], 3, v[89:90]
	v_add_nc_u32_e32 v95, s5, v93
	v_ashrrev_i32_e32 v94, 31, v93
	s_delay_alu instid0(VALU_DEP_4) | instskip(NEXT) | instid1(VALU_DEP_4)
	v_lshlrev_b64 v[91:92], 3, v[91:92]
	v_add_co_u32 v89, vcc_lo, s2, v89
	s_delay_alu instid0(VALU_DEP_4) | instskip(SKIP_3) | instid1(VALU_DEP_4)
	v_add_nc_u32_e32 v97, s5, v95
	v_ashrrev_i32_e32 v96, 31, v95
	v_lshlrev_b64 v[93:94], 3, v[93:94]
	v_add_co_ci_u32_e32 v90, vcc_lo, s3, v90, vcc_lo
	v_add_nc_u32_e32 v99, s5, v97
	v_ashrrev_i32_e32 v98, 31, v97
	v_add_co_u32 v91, vcc_lo, s2, v91
	v_lshlrev_b64 v[95:96], 3, v[95:96]
	s_delay_alu instid0(VALU_DEP_4) | instskip(SKIP_3) | instid1(VALU_DEP_4)
	v_add_nc_u32_e32 v101, s5, v99
	v_ashrrev_i32_e32 v100, 31, v99
	v_add_co_ci_u32_e32 v92, vcc_lo, s3, v92, vcc_lo
	v_add_co_u32 v93, vcc_lo, s2, v93
	v_add_nc_u32_e32 v103, s5, v101
	v_lshlrev_b64 v[97:98], 3, v[97:98]
	v_ashrrev_i32_e32 v102, 31, v101
	v_add_co_ci_u32_e32 v94, vcc_lo, s3, v94, vcc_lo
	s_delay_alu instid0(VALU_DEP_4) | instskip(SKIP_3) | instid1(VALU_DEP_4)
	v_add_nc_u32_e32 v105, s5, v103
	v_add_co_u32 v95, vcc_lo, s2, v95
	v_lshlrev_b64 v[99:100], 3, v[99:100]
	v_ashrrev_i32_e32 v104, 31, v103
	v_add_nc_u32_e32 v107, s5, v105
	v_add_co_ci_u32_e32 v96, vcc_lo, s3, v96, vcc_lo
	v_add_co_u32 v97, vcc_lo, s2, v97
	s_delay_alu instid0(VALU_DEP_3) | instskip(SKIP_3) | instid1(VALU_DEP_4)
	v_add_nc_u32_e32 v109, s5, v107
	v_lshlrev_b64 v[101:102], 3, v[101:102]
	v_ashrrev_i32_e32 v106, 31, v105
	v_add_co_ci_u32_e32 v98, vcc_lo, s3, v98, vcc_lo
	v_add_nc_u32_e32 v111, s5, v109
	v_add_co_u32 v99, vcc_lo, s2, v99
	v_lshlrev_b64 v[103:104], 3, v[103:104]
	v_ashrrev_i32_e32 v108, 31, v107
	s_delay_alu instid0(VALU_DEP_4) | instskip(SKIP_2) | instid1(VALU_DEP_3)
	v_add_nc_u32_e32 v113, s5, v111
	v_add_co_ci_u32_e32 v100, vcc_lo, s3, v100, vcc_lo
	v_add_co_u32 v101, vcc_lo, s2, v101
	v_add_nc_u32_e32 v115, s5, v113
	v_lshlrev_b64 v[105:106], 3, v[105:106]
	v_ashrrev_i32_e32 v110, 31, v109
	v_add_co_ci_u32_e32 v102, vcc_lo, s3, v102, vcc_lo
	s_delay_alu instid0(VALU_DEP_4) | instskip(SKIP_3) | instid1(VALU_DEP_4)
	v_add_nc_u32_e32 v117, s5, v115
	v_add_co_u32 v103, vcc_lo, s2, v103
	v_lshlrev_b64 v[107:108], 3, v[107:108]
	v_ashrrev_i32_e32 v112, 31, v111
	v_add_nc_u32_e32 v119, s5, v117
	v_add_co_ci_u32_e32 v104, vcc_lo, s3, v104, vcc_lo
	v_add_co_u32 v105, vcc_lo, s2, v105
	s_delay_alu instid0(VALU_DEP_3) | instskip(SKIP_3) | instid1(VALU_DEP_4)
	v_add_nc_u32_e32 v121, s5, v119
	v_lshlrev_b64 v[109:110], 3, v[109:110]
	v_ashrrev_i32_e32 v114, 31, v113
	v_add_co_ci_u32_e32 v106, vcc_lo, s3, v106, vcc_lo
	v_add_nc_u32_e32 v123, s5, v121
	v_add_co_u32 v107, vcc_lo, s2, v107
	v_lshlrev_b64 v[111:112], 3, v[111:112]
	v_ashrrev_i32_e32 v116, 31, v115
	v_add_co_ci_u32_e32 v108, vcc_lo, s3, v108, vcc_lo
	v_add_co_u32 v109, vcc_lo, s2, v109
	v_lshlrev_b64 v[113:114], 3, v[113:114]
	v_add_nc_u32_e32 v125, s5, v123
	v_ashrrev_i32_e32 v118, 31, v117
	v_add_co_ci_u32_e32 v110, vcc_lo, s3, v110, vcc_lo
	v_add_co_u32 v111, vcc_lo, s2, v111
	v_lshlrev_b64 v[115:116], 3, v[115:116]
	v_ashrrev_i32_e32 v120, 31, v119
	v_add_co_ci_u32_e32 v112, vcc_lo, s3, v112, vcc_lo
	v_add_nc_u32_e32 v127, s5, v125
	v_add_co_u32 v113, vcc_lo, s2, v113
	v_lshlrev_b64 v[117:118], 3, v[117:118]
	v_ashrrev_i32_e32 v122, 31, v121
	v_add_co_ci_u32_e32 v114, vcc_lo, s3, v114, vcc_lo
	v_add_co_u32 v115, vcc_lo, s2, v115
	v_lshlrev_b64 v[119:120], 3, v[119:120]
	v_ashrrev_i32_e32 v124, 31, v123
	v_add_nc_u32_e32 v129, s5, v127
	v_add_co_ci_u32_e32 v116, vcc_lo, s3, v116, vcc_lo
	v_add_co_u32 v117, vcc_lo, s2, v117
	v_lshlrev_b64 v[121:122], 3, v[121:122]
	v_ashrrev_i32_e32 v126, 31, v125
	v_add_co_ci_u32_e32 v118, vcc_lo, s3, v118, vcc_lo
	v_add_co_u32 v119, vcc_lo, s2, v119
	v_lshlrev_b64 v[123:124], 3, v[123:124]
	v_add_nc_u32_e32 v131, s5, v129
	v_ashrrev_i32_e32 v128, 31, v127
	v_add_co_ci_u32_e32 v120, vcc_lo, s3, v120, vcc_lo
	v_add_co_u32 v121, vcc_lo, s2, v121
	v_lshlrev_b64 v[125:126], 3, v[125:126]
	v_ashrrev_i32_e32 v130, 31, v129
	v_add_co_ci_u32_e32 v122, vcc_lo, s3, v122, vcc_lo
	v_add_nc_u32_e32 v133, s5, v131
	v_add_co_u32 v123, vcc_lo, s2, v123
	v_lshlrev_b64 v[127:128], 3, v[127:128]
	v_ashrrev_i32_e32 v132, 31, v131
	v_add_co_ci_u32_e32 v124, vcc_lo, s3, v124, vcc_lo
	v_add_co_u32 v125, vcc_lo, s2, v125
	v_lshlrev_b64 v[129:130], 3, v[129:130]
	v_ashrrev_i32_e32 v134, 31, v133
	v_add_co_ci_u32_e32 v126, vcc_lo, s3, v126, vcc_lo
	v_add_co_u32 v127, vcc_lo, s2, v127
	v_lshlrev_b64 v[131:132], 3, v[131:132]
	v_add_co_ci_u32_e32 v128, vcc_lo, s3, v128, vcc_lo
	v_add_co_u32 v129, vcc_lo, s2, v129
	v_lshlrev_b64 v[133:134], 3, v[133:134]
	v_add_co_ci_u32_e32 v130, vcc_lo, s3, v130, vcc_lo
	v_add_co_u32 v131, vcc_lo, s2, v131
	v_add_co_ci_u32_e32 v132, vcc_lo, s3, v132, vcc_lo
	s_delay_alu instid0(VALU_DEP_4)
	v_add_co_u32 v133, vcc_lo, s2, v133
	v_add_co_ci_u32_e32 v134, vcc_lo, s3, v134, vcc_lo
	s_cselect_b32 s3, -1, 0
	s_cmpk_eq_i32 s1, 0x84
	s_waitcnt vmcnt(20)
	scratch_store_b128 off, v[1:4], off
	s_clause 0x2
	global_load_b64 v[1:2], v[89:90], off
	global_load_b64 v[3:4], v[91:92], off
	global_load_b64 v[136:137], v[93:94], off
	s_waitcnt vmcnt(21)
	scratch_store_b128 off, v[5:8], off offset:16
	s_waitcnt vmcnt(19)
	scratch_store_b128 off, v[9:12], off offset:32
	s_clause 0x3
	global_load_b64 v[138:139], v[95:96], off
	global_load_b64 v[5:6], v[97:98], off
	global_load_b64 v[7:8], v[99:100], off
	global_load_b64 v[9:10], v[101:102], off
	s_waitcnt vmcnt(21)
	scratch_store_b128 off, v[13:16], off offset:48
	s_waitcnt vmcnt(19)
	scratch_store_b128 off, v[17:20], off offset:64
	s_clause 0x3
	global_load_b64 v[11:12], v[103:104], off
	;; [unrolled: 9-line block ×5, first 2 shown]
	global_load_b64 v[37:38], v[129:130], off
	global_load_b64 v[39:40], v[131:132], off
	;; [unrolled: 1-line block ×3, first 2 shown]
	s_waitcnt vmcnt(21)
	scratch_store_b128 off, v[1:4], off offset:176
	s_waitcnt vmcnt(19)
	scratch_store_b128 off, v[136:139], off offset:192
	s_waitcnt vmcnt(17)
	scratch_store_b128 off, v[5:8], off offset:208
	s_waitcnt vmcnt(15)
	scratch_store_b128 off, v[9:12], off offset:224
	s_waitcnt vmcnt(13)
	scratch_store_b128 off, v[13:16], off offset:240
	s_waitcnt vmcnt(11)
	scratch_store_b128 off, v[17:20], off offset:256
	s_waitcnt vmcnt(9)
	scratch_store_b128 off, v[21:24], off offset:272
	s_waitcnt vmcnt(7)
	scratch_store_b128 off, v[25:28], off offset:288
	s_waitcnt vmcnt(5)
	scratch_store_b128 off, v[29:32], off offset:304
	v_mov_b32_e32 v1, 0
	v_mov_b32_e32 v2, 0xbff00000
	s_waitcnt vmcnt(3)
	scratch_store_b128 off, v[33:36], off offset:320
	s_waitcnt vmcnt(1)
	scratch_store_b128 off, v[37:40], off offset:336
	s_waitcnt vmcnt(0)
	scratch_store_b64 off, v[41:42], off offset:352
	s_cbranch_scc1 .LBB44_3
; %bb.2:
	scratch_load_b64 v[1:2], v135, off
	s_waitcnt vmcnt(0)
	v_div_scale_f64 v[3:4], null, v[1:2], v[1:2], 1.0
	v_div_scale_f64 v[9:10], vcc_lo, 1.0, v[1:2], 1.0
	s_delay_alu instid0(VALU_DEP_2) | instskip(SKIP_2) | instid1(VALU_DEP_1)
	v_rcp_f64_e32 v[5:6], v[3:4]
	s_waitcnt_depctr 0xfff
	v_fma_f64 v[7:8], -v[3:4], v[5:6], 1.0
	v_fma_f64 v[5:6], v[5:6], v[7:8], v[5:6]
	s_delay_alu instid0(VALU_DEP_1) | instskip(NEXT) | instid1(VALU_DEP_1)
	v_fma_f64 v[7:8], -v[3:4], v[5:6], 1.0
	v_fma_f64 v[5:6], v[5:6], v[7:8], v[5:6]
	s_delay_alu instid0(VALU_DEP_1) | instskip(NEXT) | instid1(VALU_DEP_1)
	v_mul_f64 v[7:8], v[9:10], v[5:6]
	v_fma_f64 v[3:4], -v[3:4], v[7:8], v[9:10]
	s_delay_alu instid0(VALU_DEP_1) | instskip(NEXT) | instid1(VALU_DEP_1)
	v_div_fmas_f64 v[3:4], v[3:4], v[5:6], v[7:8]
	v_div_fixup_f64 v[1:2], v[3:4], v[1:2], 1.0
	scratch_store_b64 v135, v[1:2], off
	v_xor_b32_e32 v2, 0x80000000, v2
.LBB44_3:
	v_add_nc_u32_e32 v3, 0x170, v135
	v_add_nc_u32_e32 v4, 0, v135
	s_cmpk_eq_i32 s0, 0x79
	s_mov_b32 s0, -1
	ds_store_b64 v135, v[1:2]
	s_cbranch_scc1 .LBB44_439
; %bb.4:
	scratch_load_b64 v[1:2], off, off offset:344
	v_cmp_eq_u32_e64 s0, 44, v0
	s_movk_i32 s1, 0x50
	s_movk_i32 s2, 0x60
	s_movk_i32 s4, 0x70
	s_movk_i32 s5, 0x80
	s_movk_i32 s6, 0x90
	s_movk_i32 s7, 0xa0
	s_movk_i32 s8, 0xb0
	s_movk_i32 s9, 0xc0
	s_movk_i32 s10, 0xd0
	s_movk_i32 s11, 0xe0
	s_movk_i32 s12, 0xf0
	s_movk_i32 s13, 0x100
	s_movk_i32 s14, 0x110
	s_movk_i32 s15, 0x120
	s_movk_i32 s16, 0x130
	s_movk_i32 s17, 0x140
	s_movk_i32 s18, 0x150
	s_waitcnt vmcnt(0)
	ds_store_b64 v3, v[1:2]
	s_waitcnt lgkmcnt(0)
	s_waitcnt_vscnt null, 0x0
	s_barrier
	buffer_gl0_inv
	s_and_saveexec_b32 s19, s0
	s_cbranch_execz .LBB44_10
; %bb.5:
	s_and_b32 vcc_lo, exec_lo, s3
	s_cbranch_vccz .LBB44_7
; %bb.6:
	scratch_load_b64 v[1:2], v4, off
	ds_load_b64 v[5:6], v3
	s_waitcnt vmcnt(0) lgkmcnt(0)
	v_mul_f64 v[1:2], v[1:2], v[5:6]
	s_cbranch_execz .LBB44_8
	s_branch .LBB44_9
.LBB44_7:
                                        ; implicit-def: $vgpr1_vgpr2
.LBB44_8:
	ds_load_b64 v[1:2], v3
.LBB44_9:
	v_mov_b32_e32 v5, 0
	ds_load_b64 v[5:6], v5 offset:344
	s_waitcnt lgkmcnt(0)
	v_mul_f64 v[1:2], v[1:2], v[5:6]
	scratch_store_b64 off, v[1:2], off offset:344
.LBB44_10:
	s_or_b32 exec_lo, exec_lo, s19
	scratch_load_b64 v[1:2], off, off offset:336
	v_add_nc_u32_e64 v5, 0, 16
	v_add_nc_u32_e64 v6, 0, 32
	;; [unrolled: 1-line block ×21, first 2 shown]
	v_cmp_lt_u32_e64 s2, 42, v0
	s_waitcnt vmcnt(0)
	ds_store_b64 v3, v[1:2]
	s_waitcnt lgkmcnt(0)
	s_waitcnt_vscnt null, 0x0
	s_barrier
	buffer_gl0_inv
	s_and_saveexec_b32 s1, s2
	s_cbranch_execz .LBB44_18
; %bb.11:
	s_and_not1_b32 vcc_lo, exec_lo, s3
	s_cbranch_vccnz .LBB44_13
; %bb.12:
	scratch_load_b64 v[1:2], v4, off
	ds_load_b64 v[26:27], v3
	s_waitcnt vmcnt(0) lgkmcnt(0)
	v_mul_f64 v[1:2], v[1:2], v[26:27]
	s_cbranch_execz .LBB44_14
	s_branch .LBB44_15
.LBB44_13:
                                        ; implicit-def: $vgpr1_vgpr2
.LBB44_14:
	ds_load_b64 v[1:2], v3
.LBB44_15:
	s_and_saveexec_b32 s4, s0
	s_cbranch_execz .LBB44_17
; %bb.16:
	scratch_load_b64 v[26:27], off, off offset:344
	v_mov_b32_e32 v28, 0
	ds_load_b64 v[28:29], v28 offset:712
	s_waitcnt vmcnt(0) lgkmcnt(0)
	v_fma_f64 v[1:2], v[26:27], v[28:29], v[1:2]
.LBB44_17:
	s_or_b32 exec_lo, exec_lo, s4
	v_mov_b32_e32 v26, 0
	ds_load_b64 v[26:27], v26 offset:336
	s_waitcnt lgkmcnt(0)
	v_mul_f64 v[1:2], v[1:2], v[26:27]
	scratch_store_b64 off, v[1:2], off offset:336
.LBB44_18:
	s_or_b32 exec_lo, exec_lo, s1
	scratch_load_b64 v[1:2], off, off offset:328
	v_cmp_lt_u32_e64 s1, 41, v0
	s_waitcnt vmcnt(0)
	ds_store_b64 v3, v[1:2]
	s_waitcnt lgkmcnt(0)
	s_waitcnt_vscnt null, 0x0
	s_barrier
	buffer_gl0_inv
	s_and_saveexec_b32 s0, s1
	s_cbranch_execz .LBB44_28
; %bb.19:
	s_and_not1_b32 vcc_lo, exec_lo, s3
	s_cbranch_vccnz .LBB44_21
; %bb.20:
	scratch_load_b64 v[1:2], v4, off
	ds_load_b64 v[26:27], v3
	s_waitcnt vmcnt(0) lgkmcnt(0)
	v_mul_f64 v[1:2], v[1:2], v[26:27]
	s_cbranch_execz .LBB44_22
	s_branch .LBB44_23
.LBB44_21:
                                        ; implicit-def: $vgpr1_vgpr2
.LBB44_22:
	ds_load_b64 v[1:2], v3
.LBB44_23:
	s_and_saveexec_b32 s4, s2
	s_cbranch_execz .LBB44_27
; %bb.24:
	v_subrev_nc_u32_e32 v26, 42, v0
	s_movk_i32 s5, 0x2c0
	s_mov_b32 s2, 0
.LBB44_25:                              ; =>This Inner Loop Header: Depth=1
	scratch_load_b64 v[27:28], v25, off
	v_dual_mov_b32 v29, s5 :: v_dual_add_nc_u32 v26, -1, v26
	v_add_nc_u32_e32 v25, 8, v25
	s_add_i32 s5, s5, 8
	ds_load_b64 v[29:30], v29
	v_cmp_eq_u32_e32 vcc_lo, 0, v26
	s_or_b32 s2, vcc_lo, s2
	s_waitcnt vmcnt(0) lgkmcnt(0)
	v_fma_f64 v[1:2], v[27:28], v[29:30], v[1:2]
	s_and_not1_b32 exec_lo, exec_lo, s2
	s_cbranch_execnz .LBB44_25
; %bb.26:
	s_or_b32 exec_lo, exec_lo, s2
.LBB44_27:
	s_delay_alu instid0(SALU_CYCLE_1)
	s_or_b32 exec_lo, exec_lo, s4
	v_mov_b32_e32 v25, 0
	ds_load_b64 v[25:26], v25 offset:328
	s_waitcnt lgkmcnt(0)
	v_mul_f64 v[1:2], v[1:2], v[25:26]
	scratch_store_b64 off, v[1:2], off offset:328
.LBB44_28:
	s_or_b32 exec_lo, exec_lo, s0
	scratch_load_b64 v[1:2], off, off offset:320
	v_cmp_lt_u32_e64 s0, 40, v0
	s_waitcnt vmcnt(0)
	ds_store_b64 v3, v[1:2]
	s_waitcnt lgkmcnt(0)
	s_waitcnt_vscnt null, 0x0
	s_barrier
	buffer_gl0_inv
	s_and_saveexec_b32 s2, s0
	s_cbranch_execz .LBB44_38
; %bb.29:
	s_and_not1_b32 vcc_lo, exec_lo, s3
	s_cbranch_vccnz .LBB44_31
; %bb.30:
	scratch_load_b64 v[1:2], v4, off
	ds_load_b64 v[25:26], v3
	s_waitcnt vmcnt(0) lgkmcnt(0)
	v_mul_f64 v[1:2], v[1:2], v[25:26]
	s_cbranch_execz .LBB44_32
	s_branch .LBB44_33
.LBB44_31:
                                        ; implicit-def: $vgpr1_vgpr2
.LBB44_32:
	ds_load_b64 v[1:2], v3
.LBB44_33:
	s_and_saveexec_b32 s4, s1
	s_cbranch_execz .LBB44_37
; %bb.34:
	v_mov_b32_e32 v25, 0
	v_subrev_nc_u32_e32 v26, 41, v0
	s_movk_i32 s5, 0x2b8
	s_mov_b32 s1, 0
	s_delay_alu instid0(VALU_DEP_2)
	v_add_nc_u32_e32 v25, 0x148, v25
.LBB44_35:                              ; =>This Inner Loop Header: Depth=1
	scratch_load_b64 v[27:28], v25, off
	v_dual_mov_b32 v29, s5 :: v_dual_add_nc_u32 v26, -1, v26
	v_add_nc_u32_e32 v25, 8, v25
	s_add_i32 s5, s5, 8
	ds_load_b64 v[29:30], v29
	v_cmp_eq_u32_e32 vcc_lo, 0, v26
	s_or_b32 s1, vcc_lo, s1
	s_waitcnt vmcnt(0) lgkmcnt(0)
	v_fma_f64 v[1:2], v[27:28], v[29:30], v[1:2]
	s_and_not1_b32 exec_lo, exec_lo, s1
	s_cbranch_execnz .LBB44_35
; %bb.36:
	s_or_b32 exec_lo, exec_lo, s1
.LBB44_37:
	s_delay_alu instid0(SALU_CYCLE_1)
	s_or_b32 exec_lo, exec_lo, s4
	v_mov_b32_e32 v25, 0
	ds_load_b64 v[25:26], v25 offset:320
	s_waitcnt lgkmcnt(0)
	v_mul_f64 v[1:2], v[1:2], v[25:26]
	scratch_store_b64 off, v[1:2], off offset:320
.LBB44_38:
	s_or_b32 exec_lo, exec_lo, s2
	scratch_load_b64 v[1:2], off, off offset:312
	v_cmp_lt_u32_e64 s1, 39, v0
	s_waitcnt vmcnt(0)
	ds_store_b64 v3, v[1:2]
	s_waitcnt lgkmcnt(0)
	s_waitcnt_vscnt null, 0x0
	s_barrier
	buffer_gl0_inv
	s_and_saveexec_b32 s2, s1
	s_cbranch_execz .LBB44_48
; %bb.39:
	s_and_not1_b32 vcc_lo, exec_lo, s3
	s_cbranch_vccnz .LBB44_41
; %bb.40:
	scratch_load_b64 v[1:2], v4, off
	ds_load_b64 v[25:26], v3
	s_waitcnt vmcnt(0) lgkmcnt(0)
	v_mul_f64 v[1:2], v[1:2], v[25:26]
	s_cbranch_execz .LBB44_42
	s_branch .LBB44_43
.LBB44_41:
                                        ; implicit-def: $vgpr1_vgpr2
.LBB44_42:
	ds_load_b64 v[1:2], v3
.LBB44_43:
	s_and_saveexec_b32 s4, s0
	s_cbranch_execz .LBB44_47
; %bb.44:
	v_subrev_nc_u32_e32 v25, 40, v0
	s_movk_i32 s5, 0x2b0
	s_mov_b32 s0, 0
.LBB44_45:                              ; =>This Inner Loop Header: Depth=1
	scratch_load_b64 v[26:27], v24, off
	v_dual_mov_b32 v28, s5 :: v_dual_add_nc_u32 v25, -1, v25
	v_add_nc_u32_e32 v24, 8, v24
	s_add_i32 s5, s5, 8
	ds_load_b64 v[28:29], v28
	v_cmp_eq_u32_e32 vcc_lo, 0, v25
	s_or_b32 s0, vcc_lo, s0
	s_waitcnt vmcnt(0) lgkmcnt(0)
	v_fma_f64 v[1:2], v[26:27], v[28:29], v[1:2]
	s_and_not1_b32 exec_lo, exec_lo, s0
	s_cbranch_execnz .LBB44_45
; %bb.46:
	s_or_b32 exec_lo, exec_lo, s0
.LBB44_47:
	s_delay_alu instid0(SALU_CYCLE_1)
	s_or_b32 exec_lo, exec_lo, s4
	v_mov_b32_e32 v24, 0
	ds_load_b64 v[24:25], v24 offset:312
	s_waitcnt lgkmcnt(0)
	v_mul_f64 v[1:2], v[1:2], v[24:25]
	scratch_store_b64 off, v[1:2], off offset:312
.LBB44_48:
	s_or_b32 exec_lo, exec_lo, s2
	scratch_load_b64 v[1:2], off, off offset:304
	v_cmp_lt_u32_e64 s0, 38, v0
	s_waitcnt vmcnt(0)
	ds_store_b64 v3, v[1:2]
	s_waitcnt lgkmcnt(0)
	s_waitcnt_vscnt null, 0x0
	s_barrier
	buffer_gl0_inv
	s_and_saveexec_b32 s2, s0
	s_cbranch_execz .LBB44_58
; %bb.49:
	s_and_not1_b32 vcc_lo, exec_lo, s3
	s_cbranch_vccnz .LBB44_51
; %bb.50:
	scratch_load_b64 v[1:2], v4, off
	ds_load_b64 v[24:25], v3
	s_waitcnt vmcnt(0) lgkmcnt(0)
	v_mul_f64 v[1:2], v[1:2], v[24:25]
	s_cbranch_execz .LBB44_52
	s_branch .LBB44_53
.LBB44_51:
                                        ; implicit-def: $vgpr1_vgpr2
.LBB44_52:
	ds_load_b64 v[1:2], v3
.LBB44_53:
	s_and_saveexec_b32 s4, s1
	s_cbranch_execz .LBB44_57
; %bb.54:
	v_mov_b32_e32 v24, 0
	v_subrev_nc_u32_e32 v25, 39, v0
	s_movk_i32 s5, 0x2a8
	s_mov_b32 s1, 0
	s_delay_alu instid0(VALU_DEP_2)
	v_add_nc_u32_e32 v24, 0x138, v24
.LBB44_55:                              ; =>This Inner Loop Header: Depth=1
	scratch_load_b64 v[26:27], v24, off
	v_dual_mov_b32 v28, s5 :: v_dual_add_nc_u32 v25, -1, v25
	v_add_nc_u32_e32 v24, 8, v24
	s_add_i32 s5, s5, 8
	ds_load_b64 v[28:29], v28
	v_cmp_eq_u32_e32 vcc_lo, 0, v25
	s_or_b32 s1, vcc_lo, s1
	s_waitcnt vmcnt(0) lgkmcnt(0)
	v_fma_f64 v[1:2], v[26:27], v[28:29], v[1:2]
	s_and_not1_b32 exec_lo, exec_lo, s1
	s_cbranch_execnz .LBB44_55
; %bb.56:
	s_or_b32 exec_lo, exec_lo, s1
.LBB44_57:
	s_delay_alu instid0(SALU_CYCLE_1)
	s_or_b32 exec_lo, exec_lo, s4
	v_mov_b32_e32 v24, 0
	ds_load_b64 v[24:25], v24 offset:304
	s_waitcnt lgkmcnt(0)
	v_mul_f64 v[1:2], v[1:2], v[24:25]
	scratch_store_b64 off, v[1:2], off offset:304
.LBB44_58:
	s_or_b32 exec_lo, exec_lo, s2
	scratch_load_b64 v[1:2], off, off offset:296
	v_cmp_lt_u32_e64 s1, 37, v0
	s_waitcnt vmcnt(0)
	ds_store_b64 v3, v[1:2]
	s_waitcnt lgkmcnt(0)
	s_waitcnt_vscnt null, 0x0
	s_barrier
	buffer_gl0_inv
	s_and_saveexec_b32 s2, s1
	s_cbranch_execz .LBB44_68
; %bb.59:
	s_and_not1_b32 vcc_lo, exec_lo, s3
	s_cbranch_vccnz .LBB44_61
; %bb.60:
	scratch_load_b64 v[1:2], v4, off
	ds_load_b64 v[24:25], v3
	s_waitcnt vmcnt(0) lgkmcnt(0)
	v_mul_f64 v[1:2], v[1:2], v[24:25]
	s_cbranch_execz .LBB44_62
	s_branch .LBB44_63
.LBB44_61:
                                        ; implicit-def: $vgpr1_vgpr2
.LBB44_62:
	ds_load_b64 v[1:2], v3
.LBB44_63:
	s_and_saveexec_b32 s4, s0
	s_cbranch_execz .LBB44_67
; %bb.64:
	v_subrev_nc_u32_e32 v24, 38, v0
	s_movk_i32 s5, 0x2a0
	s_mov_b32 s0, 0
.LBB44_65:                              ; =>This Inner Loop Header: Depth=1
	scratch_load_b64 v[25:26], v23, off
	v_dual_mov_b32 v27, s5 :: v_dual_add_nc_u32 v24, -1, v24
	v_add_nc_u32_e32 v23, 8, v23
	s_add_i32 s5, s5, 8
	ds_load_b64 v[27:28], v27
	v_cmp_eq_u32_e32 vcc_lo, 0, v24
	s_or_b32 s0, vcc_lo, s0
	s_waitcnt vmcnt(0) lgkmcnt(0)
	v_fma_f64 v[1:2], v[25:26], v[27:28], v[1:2]
	s_and_not1_b32 exec_lo, exec_lo, s0
	s_cbranch_execnz .LBB44_65
; %bb.66:
	s_or_b32 exec_lo, exec_lo, s0
.LBB44_67:
	s_delay_alu instid0(SALU_CYCLE_1)
	s_or_b32 exec_lo, exec_lo, s4
	v_mov_b32_e32 v23, 0
	ds_load_b64 v[23:24], v23 offset:296
	s_waitcnt lgkmcnt(0)
	v_mul_f64 v[1:2], v[1:2], v[23:24]
	scratch_store_b64 off, v[1:2], off offset:296
.LBB44_68:
	s_or_b32 exec_lo, exec_lo, s2
	scratch_load_b64 v[1:2], off, off offset:288
	v_cmp_lt_u32_e64 s0, 36, v0
	s_waitcnt vmcnt(0)
	ds_store_b64 v3, v[1:2]
	s_waitcnt lgkmcnt(0)
	s_waitcnt_vscnt null, 0x0
	s_barrier
	buffer_gl0_inv
	s_and_saveexec_b32 s2, s0
	s_cbranch_execz .LBB44_78
; %bb.69:
	s_and_not1_b32 vcc_lo, exec_lo, s3
	s_cbranch_vccnz .LBB44_71
; %bb.70:
	scratch_load_b64 v[1:2], v4, off
	ds_load_b64 v[23:24], v3
	s_waitcnt vmcnt(0) lgkmcnt(0)
	v_mul_f64 v[1:2], v[1:2], v[23:24]
	s_cbranch_execz .LBB44_72
	s_branch .LBB44_73
.LBB44_71:
                                        ; implicit-def: $vgpr1_vgpr2
.LBB44_72:
	ds_load_b64 v[1:2], v3
.LBB44_73:
	s_and_saveexec_b32 s4, s1
	s_cbranch_execz .LBB44_77
; %bb.74:
	v_mov_b32_e32 v23, 0
	v_subrev_nc_u32_e32 v24, 37, v0
	s_movk_i32 s5, 0x298
	s_mov_b32 s1, 0
	s_delay_alu instid0(VALU_DEP_2)
	v_add_nc_u32_e32 v23, 0x128, v23
.LBB44_75:                              ; =>This Inner Loop Header: Depth=1
	scratch_load_b64 v[25:26], v23, off
	v_dual_mov_b32 v27, s5 :: v_dual_add_nc_u32 v24, -1, v24
	v_add_nc_u32_e32 v23, 8, v23
	s_add_i32 s5, s5, 8
	ds_load_b64 v[27:28], v27
	v_cmp_eq_u32_e32 vcc_lo, 0, v24
	s_or_b32 s1, vcc_lo, s1
	s_waitcnt vmcnt(0) lgkmcnt(0)
	v_fma_f64 v[1:2], v[25:26], v[27:28], v[1:2]
	s_and_not1_b32 exec_lo, exec_lo, s1
	s_cbranch_execnz .LBB44_75
; %bb.76:
	s_or_b32 exec_lo, exec_lo, s1
.LBB44_77:
	s_delay_alu instid0(SALU_CYCLE_1)
	s_or_b32 exec_lo, exec_lo, s4
	v_mov_b32_e32 v23, 0
	ds_load_b64 v[23:24], v23 offset:288
	s_waitcnt lgkmcnt(0)
	v_mul_f64 v[1:2], v[1:2], v[23:24]
	scratch_store_b64 off, v[1:2], off offset:288
.LBB44_78:
	s_or_b32 exec_lo, exec_lo, s2
	scratch_load_b64 v[1:2], off, off offset:280
	v_cmp_lt_u32_e64 s1, 35, v0
	s_waitcnt vmcnt(0)
	ds_store_b64 v3, v[1:2]
	s_waitcnt lgkmcnt(0)
	s_waitcnt_vscnt null, 0x0
	s_barrier
	buffer_gl0_inv
	s_and_saveexec_b32 s2, s1
	s_cbranch_execz .LBB44_88
; %bb.79:
	s_and_not1_b32 vcc_lo, exec_lo, s3
	s_cbranch_vccnz .LBB44_81
; %bb.80:
	scratch_load_b64 v[1:2], v4, off
	ds_load_b64 v[23:24], v3
	s_waitcnt vmcnt(0) lgkmcnt(0)
	v_mul_f64 v[1:2], v[1:2], v[23:24]
	s_cbranch_execz .LBB44_82
	s_branch .LBB44_83
.LBB44_81:
                                        ; implicit-def: $vgpr1_vgpr2
.LBB44_82:
	ds_load_b64 v[1:2], v3
.LBB44_83:
	s_and_saveexec_b32 s4, s0
	s_cbranch_execz .LBB44_87
; %bb.84:
	v_subrev_nc_u32_e32 v23, 36, v0
	s_movk_i32 s5, 0x290
	s_mov_b32 s0, 0
.LBB44_85:                              ; =>This Inner Loop Header: Depth=1
	scratch_load_b64 v[24:25], v22, off
	v_dual_mov_b32 v26, s5 :: v_dual_add_nc_u32 v23, -1, v23
	v_add_nc_u32_e32 v22, 8, v22
	s_add_i32 s5, s5, 8
	ds_load_b64 v[26:27], v26
	v_cmp_eq_u32_e32 vcc_lo, 0, v23
	s_or_b32 s0, vcc_lo, s0
	s_waitcnt vmcnt(0) lgkmcnt(0)
	v_fma_f64 v[1:2], v[24:25], v[26:27], v[1:2]
	s_and_not1_b32 exec_lo, exec_lo, s0
	s_cbranch_execnz .LBB44_85
; %bb.86:
	s_or_b32 exec_lo, exec_lo, s0
.LBB44_87:
	s_delay_alu instid0(SALU_CYCLE_1)
	s_or_b32 exec_lo, exec_lo, s4
	v_mov_b32_e32 v22, 0
	ds_load_b64 v[22:23], v22 offset:280
	s_waitcnt lgkmcnt(0)
	v_mul_f64 v[1:2], v[1:2], v[22:23]
	scratch_store_b64 off, v[1:2], off offset:280
.LBB44_88:
	s_or_b32 exec_lo, exec_lo, s2
	scratch_load_b64 v[1:2], off, off offset:272
	v_cmp_lt_u32_e64 s0, 34, v0
	s_waitcnt vmcnt(0)
	ds_store_b64 v3, v[1:2]
	s_waitcnt lgkmcnt(0)
	s_waitcnt_vscnt null, 0x0
	s_barrier
	buffer_gl0_inv
	s_and_saveexec_b32 s2, s0
	s_cbranch_execz .LBB44_98
; %bb.89:
	s_and_not1_b32 vcc_lo, exec_lo, s3
	s_cbranch_vccnz .LBB44_91
; %bb.90:
	scratch_load_b64 v[1:2], v4, off
	ds_load_b64 v[22:23], v3
	s_waitcnt vmcnt(0) lgkmcnt(0)
	v_mul_f64 v[1:2], v[1:2], v[22:23]
	s_cbranch_execz .LBB44_92
	s_branch .LBB44_93
.LBB44_91:
                                        ; implicit-def: $vgpr1_vgpr2
.LBB44_92:
	ds_load_b64 v[1:2], v3
.LBB44_93:
	s_and_saveexec_b32 s4, s1
	s_cbranch_execz .LBB44_97
; %bb.94:
	v_mov_b32_e32 v22, 0
	v_subrev_nc_u32_e32 v23, 35, v0
	s_movk_i32 s5, 0x288
	s_mov_b32 s1, 0
	s_delay_alu instid0(VALU_DEP_2)
	v_add_nc_u32_e32 v22, 0x118, v22
.LBB44_95:                              ; =>This Inner Loop Header: Depth=1
	scratch_load_b64 v[24:25], v22, off
	v_dual_mov_b32 v26, s5 :: v_dual_add_nc_u32 v23, -1, v23
	v_add_nc_u32_e32 v22, 8, v22
	s_add_i32 s5, s5, 8
	ds_load_b64 v[26:27], v26
	v_cmp_eq_u32_e32 vcc_lo, 0, v23
	s_or_b32 s1, vcc_lo, s1
	s_waitcnt vmcnt(0) lgkmcnt(0)
	v_fma_f64 v[1:2], v[24:25], v[26:27], v[1:2]
	s_and_not1_b32 exec_lo, exec_lo, s1
	s_cbranch_execnz .LBB44_95
; %bb.96:
	s_or_b32 exec_lo, exec_lo, s1
.LBB44_97:
	s_delay_alu instid0(SALU_CYCLE_1)
	s_or_b32 exec_lo, exec_lo, s4
	v_mov_b32_e32 v22, 0
	ds_load_b64 v[22:23], v22 offset:272
	s_waitcnt lgkmcnt(0)
	v_mul_f64 v[1:2], v[1:2], v[22:23]
	scratch_store_b64 off, v[1:2], off offset:272
.LBB44_98:
	s_or_b32 exec_lo, exec_lo, s2
	scratch_load_b64 v[1:2], off, off offset:264
	v_cmp_lt_u32_e64 s1, 33, v0
	s_waitcnt vmcnt(0)
	ds_store_b64 v3, v[1:2]
	s_waitcnt lgkmcnt(0)
	s_waitcnt_vscnt null, 0x0
	s_barrier
	buffer_gl0_inv
	s_and_saveexec_b32 s2, s1
	s_cbranch_execz .LBB44_108
; %bb.99:
	s_and_not1_b32 vcc_lo, exec_lo, s3
	s_cbranch_vccnz .LBB44_101
; %bb.100:
	scratch_load_b64 v[1:2], v4, off
	ds_load_b64 v[22:23], v3
	s_waitcnt vmcnt(0) lgkmcnt(0)
	v_mul_f64 v[1:2], v[1:2], v[22:23]
	s_cbranch_execz .LBB44_102
	s_branch .LBB44_103
.LBB44_101:
                                        ; implicit-def: $vgpr1_vgpr2
.LBB44_102:
	ds_load_b64 v[1:2], v3
.LBB44_103:
	s_and_saveexec_b32 s4, s0
	s_cbranch_execz .LBB44_107
; %bb.104:
	v_subrev_nc_u32_e32 v22, 34, v0
	s_movk_i32 s5, 0x280
	s_mov_b32 s0, 0
.LBB44_105:                             ; =>This Inner Loop Header: Depth=1
	scratch_load_b64 v[23:24], v21, off
	v_dual_mov_b32 v25, s5 :: v_dual_add_nc_u32 v22, -1, v22
	v_add_nc_u32_e32 v21, 8, v21
	s_add_i32 s5, s5, 8
	ds_load_b64 v[25:26], v25
	v_cmp_eq_u32_e32 vcc_lo, 0, v22
	s_or_b32 s0, vcc_lo, s0
	s_waitcnt vmcnt(0) lgkmcnt(0)
	v_fma_f64 v[1:2], v[23:24], v[25:26], v[1:2]
	s_and_not1_b32 exec_lo, exec_lo, s0
	s_cbranch_execnz .LBB44_105
; %bb.106:
	s_or_b32 exec_lo, exec_lo, s0
.LBB44_107:
	s_delay_alu instid0(SALU_CYCLE_1)
	s_or_b32 exec_lo, exec_lo, s4
	v_mov_b32_e32 v21, 0
	ds_load_b64 v[21:22], v21 offset:264
	s_waitcnt lgkmcnt(0)
	v_mul_f64 v[1:2], v[1:2], v[21:22]
	scratch_store_b64 off, v[1:2], off offset:264
.LBB44_108:
	s_or_b32 exec_lo, exec_lo, s2
	scratch_load_b64 v[1:2], off, off offset:256
	v_cmp_lt_u32_e64 s0, 32, v0
	s_waitcnt vmcnt(0)
	ds_store_b64 v3, v[1:2]
	s_waitcnt lgkmcnt(0)
	s_waitcnt_vscnt null, 0x0
	s_barrier
	buffer_gl0_inv
	s_and_saveexec_b32 s2, s0
	s_cbranch_execz .LBB44_118
; %bb.109:
	s_and_not1_b32 vcc_lo, exec_lo, s3
	s_cbranch_vccnz .LBB44_111
; %bb.110:
	scratch_load_b64 v[1:2], v4, off
	ds_load_b64 v[21:22], v3
	s_waitcnt vmcnt(0) lgkmcnt(0)
	v_mul_f64 v[1:2], v[1:2], v[21:22]
	s_cbranch_execz .LBB44_112
	s_branch .LBB44_113
.LBB44_111:
                                        ; implicit-def: $vgpr1_vgpr2
.LBB44_112:
	ds_load_b64 v[1:2], v3
.LBB44_113:
	s_and_saveexec_b32 s4, s1
	s_cbranch_execz .LBB44_117
; %bb.114:
	v_mov_b32_e32 v21, 0
	v_subrev_nc_u32_e32 v22, 33, v0
	s_movk_i32 s5, 0x278
	s_mov_b32 s1, 0
	s_delay_alu instid0(VALU_DEP_2)
	v_add_nc_u32_e32 v21, 0x108, v21
.LBB44_115:                             ; =>This Inner Loop Header: Depth=1
	scratch_load_b64 v[23:24], v21, off
	v_dual_mov_b32 v25, s5 :: v_dual_add_nc_u32 v22, -1, v22
	v_add_nc_u32_e32 v21, 8, v21
	s_add_i32 s5, s5, 8
	ds_load_b64 v[25:26], v25
	v_cmp_eq_u32_e32 vcc_lo, 0, v22
	s_or_b32 s1, vcc_lo, s1
	s_waitcnt vmcnt(0) lgkmcnt(0)
	v_fma_f64 v[1:2], v[23:24], v[25:26], v[1:2]
	s_and_not1_b32 exec_lo, exec_lo, s1
	s_cbranch_execnz .LBB44_115
; %bb.116:
	s_or_b32 exec_lo, exec_lo, s1
.LBB44_117:
	s_delay_alu instid0(SALU_CYCLE_1)
	s_or_b32 exec_lo, exec_lo, s4
	v_mov_b32_e32 v21, 0
	ds_load_b64 v[21:22], v21 offset:256
	s_waitcnt lgkmcnt(0)
	v_mul_f64 v[1:2], v[1:2], v[21:22]
	scratch_store_b64 off, v[1:2], off offset:256
.LBB44_118:
	s_or_b32 exec_lo, exec_lo, s2
	scratch_load_b64 v[1:2], off, off offset:248
	v_cmp_lt_u32_e64 s1, 31, v0
	s_waitcnt vmcnt(0)
	ds_store_b64 v3, v[1:2]
	s_waitcnt lgkmcnt(0)
	s_waitcnt_vscnt null, 0x0
	s_barrier
	buffer_gl0_inv
	s_and_saveexec_b32 s2, s1
	s_cbranch_execz .LBB44_128
; %bb.119:
	s_and_not1_b32 vcc_lo, exec_lo, s3
	s_cbranch_vccnz .LBB44_121
; %bb.120:
	scratch_load_b64 v[1:2], v4, off
	ds_load_b64 v[21:22], v3
	s_waitcnt vmcnt(0) lgkmcnt(0)
	v_mul_f64 v[1:2], v[1:2], v[21:22]
	s_cbranch_execz .LBB44_122
	s_branch .LBB44_123
.LBB44_121:
                                        ; implicit-def: $vgpr1_vgpr2
.LBB44_122:
	ds_load_b64 v[1:2], v3
.LBB44_123:
	s_and_saveexec_b32 s4, s0
	s_cbranch_execz .LBB44_127
; %bb.124:
	v_subrev_nc_u32_e32 v21, 32, v0
	s_movk_i32 s5, 0x270
	s_mov_b32 s0, 0
.LBB44_125:                             ; =>This Inner Loop Header: Depth=1
	scratch_load_b64 v[22:23], v20, off
	v_dual_mov_b32 v24, s5 :: v_dual_add_nc_u32 v21, -1, v21
	v_add_nc_u32_e32 v20, 8, v20
	s_add_i32 s5, s5, 8
	ds_load_b64 v[24:25], v24
	v_cmp_eq_u32_e32 vcc_lo, 0, v21
	s_or_b32 s0, vcc_lo, s0
	s_waitcnt vmcnt(0) lgkmcnt(0)
	v_fma_f64 v[1:2], v[22:23], v[24:25], v[1:2]
	s_and_not1_b32 exec_lo, exec_lo, s0
	s_cbranch_execnz .LBB44_125
; %bb.126:
	s_or_b32 exec_lo, exec_lo, s0
.LBB44_127:
	s_delay_alu instid0(SALU_CYCLE_1)
	s_or_b32 exec_lo, exec_lo, s4
	v_mov_b32_e32 v20, 0
	ds_load_b64 v[20:21], v20 offset:248
	s_waitcnt lgkmcnt(0)
	v_mul_f64 v[1:2], v[1:2], v[20:21]
	scratch_store_b64 off, v[1:2], off offset:248
.LBB44_128:
	s_or_b32 exec_lo, exec_lo, s2
	scratch_load_b64 v[1:2], off, off offset:240
	v_cmp_lt_u32_e64 s0, 30, v0
	s_waitcnt vmcnt(0)
	ds_store_b64 v3, v[1:2]
	s_waitcnt lgkmcnt(0)
	s_waitcnt_vscnt null, 0x0
	s_barrier
	buffer_gl0_inv
	s_and_saveexec_b32 s2, s0
	s_cbranch_execz .LBB44_138
; %bb.129:
	s_and_not1_b32 vcc_lo, exec_lo, s3
	s_cbranch_vccnz .LBB44_131
; %bb.130:
	scratch_load_b64 v[1:2], v4, off
	ds_load_b64 v[20:21], v3
	s_waitcnt vmcnt(0) lgkmcnt(0)
	v_mul_f64 v[1:2], v[1:2], v[20:21]
	s_cbranch_execz .LBB44_132
	s_branch .LBB44_133
.LBB44_131:
                                        ; implicit-def: $vgpr1_vgpr2
.LBB44_132:
	ds_load_b64 v[1:2], v3
.LBB44_133:
	s_and_saveexec_b32 s4, s1
	s_cbranch_execz .LBB44_137
; %bb.134:
	v_mov_b32_e32 v20, 0
	v_subrev_nc_u32_e32 v21, 31, v0
	s_movk_i32 s5, 0x268
	s_mov_b32 s1, 0
	s_delay_alu instid0(VALU_DEP_2)
	v_add_nc_u32_e32 v20, 0xf8, v20
.LBB44_135:                             ; =>This Inner Loop Header: Depth=1
	scratch_load_b64 v[22:23], v20, off
	v_dual_mov_b32 v24, s5 :: v_dual_add_nc_u32 v21, -1, v21
	v_add_nc_u32_e32 v20, 8, v20
	s_add_i32 s5, s5, 8
	ds_load_b64 v[24:25], v24
	v_cmp_eq_u32_e32 vcc_lo, 0, v21
	s_or_b32 s1, vcc_lo, s1
	s_waitcnt vmcnt(0) lgkmcnt(0)
	v_fma_f64 v[1:2], v[22:23], v[24:25], v[1:2]
	s_and_not1_b32 exec_lo, exec_lo, s1
	s_cbranch_execnz .LBB44_135
; %bb.136:
	s_or_b32 exec_lo, exec_lo, s1
.LBB44_137:
	s_delay_alu instid0(SALU_CYCLE_1)
	s_or_b32 exec_lo, exec_lo, s4
	v_mov_b32_e32 v20, 0
	ds_load_b64 v[20:21], v20 offset:240
	s_waitcnt lgkmcnt(0)
	v_mul_f64 v[1:2], v[1:2], v[20:21]
	scratch_store_b64 off, v[1:2], off offset:240
.LBB44_138:
	s_or_b32 exec_lo, exec_lo, s2
	scratch_load_b64 v[1:2], off, off offset:232
	v_cmp_lt_u32_e64 s1, 29, v0
	s_waitcnt vmcnt(0)
	ds_store_b64 v3, v[1:2]
	s_waitcnt lgkmcnt(0)
	s_waitcnt_vscnt null, 0x0
	s_barrier
	buffer_gl0_inv
	s_and_saveexec_b32 s2, s1
	s_cbranch_execz .LBB44_148
; %bb.139:
	s_and_not1_b32 vcc_lo, exec_lo, s3
	s_cbranch_vccnz .LBB44_141
; %bb.140:
	scratch_load_b64 v[1:2], v4, off
	ds_load_b64 v[20:21], v3
	s_waitcnt vmcnt(0) lgkmcnt(0)
	v_mul_f64 v[1:2], v[1:2], v[20:21]
	s_cbranch_execz .LBB44_142
	s_branch .LBB44_143
.LBB44_141:
                                        ; implicit-def: $vgpr1_vgpr2
.LBB44_142:
	ds_load_b64 v[1:2], v3
.LBB44_143:
	s_and_saveexec_b32 s4, s0
	s_cbranch_execz .LBB44_147
; %bb.144:
	v_subrev_nc_u32_e32 v20, 30, v0
	s_movk_i32 s5, 0x260
	s_mov_b32 s0, 0
.LBB44_145:                             ; =>This Inner Loop Header: Depth=1
	scratch_load_b64 v[21:22], v19, off
	v_dual_mov_b32 v23, s5 :: v_dual_add_nc_u32 v20, -1, v20
	v_add_nc_u32_e32 v19, 8, v19
	s_add_i32 s5, s5, 8
	ds_load_b64 v[23:24], v23
	v_cmp_eq_u32_e32 vcc_lo, 0, v20
	s_or_b32 s0, vcc_lo, s0
	s_waitcnt vmcnt(0) lgkmcnt(0)
	v_fma_f64 v[1:2], v[21:22], v[23:24], v[1:2]
	s_and_not1_b32 exec_lo, exec_lo, s0
	s_cbranch_execnz .LBB44_145
; %bb.146:
	s_or_b32 exec_lo, exec_lo, s0
.LBB44_147:
	s_delay_alu instid0(SALU_CYCLE_1)
	s_or_b32 exec_lo, exec_lo, s4
	v_mov_b32_e32 v19, 0
	ds_load_b64 v[19:20], v19 offset:232
	s_waitcnt lgkmcnt(0)
	v_mul_f64 v[1:2], v[1:2], v[19:20]
	scratch_store_b64 off, v[1:2], off offset:232
.LBB44_148:
	s_or_b32 exec_lo, exec_lo, s2
	scratch_load_b64 v[1:2], off, off offset:224
	v_cmp_lt_u32_e64 s0, 28, v0
	s_waitcnt vmcnt(0)
	ds_store_b64 v3, v[1:2]
	s_waitcnt lgkmcnt(0)
	s_waitcnt_vscnt null, 0x0
	s_barrier
	buffer_gl0_inv
	s_and_saveexec_b32 s2, s0
	s_cbranch_execz .LBB44_158
; %bb.149:
	s_and_not1_b32 vcc_lo, exec_lo, s3
	s_cbranch_vccnz .LBB44_151
; %bb.150:
	scratch_load_b64 v[1:2], v4, off
	ds_load_b64 v[19:20], v3
	s_waitcnt vmcnt(0) lgkmcnt(0)
	v_mul_f64 v[1:2], v[1:2], v[19:20]
	s_cbranch_execz .LBB44_152
	s_branch .LBB44_153
.LBB44_151:
                                        ; implicit-def: $vgpr1_vgpr2
.LBB44_152:
	ds_load_b64 v[1:2], v3
.LBB44_153:
	s_and_saveexec_b32 s4, s1
	s_cbranch_execz .LBB44_157
; %bb.154:
	v_mov_b32_e32 v19, 0
	v_subrev_nc_u32_e32 v20, 29, v0
	s_movk_i32 s5, 0x258
	s_mov_b32 s1, 0
	s_delay_alu instid0(VALU_DEP_2)
	v_add_nc_u32_e32 v19, 0xe8, v19
.LBB44_155:                             ; =>This Inner Loop Header: Depth=1
	scratch_load_b64 v[21:22], v19, off
	v_dual_mov_b32 v23, s5 :: v_dual_add_nc_u32 v20, -1, v20
	v_add_nc_u32_e32 v19, 8, v19
	s_add_i32 s5, s5, 8
	ds_load_b64 v[23:24], v23
	v_cmp_eq_u32_e32 vcc_lo, 0, v20
	s_or_b32 s1, vcc_lo, s1
	s_waitcnt vmcnt(0) lgkmcnt(0)
	v_fma_f64 v[1:2], v[21:22], v[23:24], v[1:2]
	s_and_not1_b32 exec_lo, exec_lo, s1
	s_cbranch_execnz .LBB44_155
; %bb.156:
	s_or_b32 exec_lo, exec_lo, s1
.LBB44_157:
	s_delay_alu instid0(SALU_CYCLE_1)
	s_or_b32 exec_lo, exec_lo, s4
	v_mov_b32_e32 v19, 0
	ds_load_b64 v[19:20], v19 offset:224
	s_waitcnt lgkmcnt(0)
	v_mul_f64 v[1:2], v[1:2], v[19:20]
	scratch_store_b64 off, v[1:2], off offset:224
.LBB44_158:
	s_or_b32 exec_lo, exec_lo, s2
	scratch_load_b64 v[1:2], off, off offset:216
	v_cmp_lt_u32_e64 s1, 27, v0
	s_waitcnt vmcnt(0)
	ds_store_b64 v3, v[1:2]
	s_waitcnt lgkmcnt(0)
	s_waitcnt_vscnt null, 0x0
	s_barrier
	buffer_gl0_inv
	s_and_saveexec_b32 s2, s1
	s_cbranch_execz .LBB44_168
; %bb.159:
	s_and_not1_b32 vcc_lo, exec_lo, s3
	s_cbranch_vccnz .LBB44_161
; %bb.160:
	scratch_load_b64 v[1:2], v4, off
	ds_load_b64 v[19:20], v3
	s_waitcnt vmcnt(0) lgkmcnt(0)
	v_mul_f64 v[1:2], v[1:2], v[19:20]
	s_cbranch_execz .LBB44_162
	s_branch .LBB44_163
.LBB44_161:
                                        ; implicit-def: $vgpr1_vgpr2
.LBB44_162:
	ds_load_b64 v[1:2], v3
.LBB44_163:
	s_and_saveexec_b32 s4, s0
	s_cbranch_execz .LBB44_167
; %bb.164:
	v_subrev_nc_u32_e32 v19, 28, v0
	s_movk_i32 s5, 0x250
	s_mov_b32 s0, 0
.LBB44_165:                             ; =>This Inner Loop Header: Depth=1
	scratch_load_b64 v[20:21], v18, off
	v_dual_mov_b32 v22, s5 :: v_dual_add_nc_u32 v19, -1, v19
	v_add_nc_u32_e32 v18, 8, v18
	s_add_i32 s5, s5, 8
	ds_load_b64 v[22:23], v22
	v_cmp_eq_u32_e32 vcc_lo, 0, v19
	s_or_b32 s0, vcc_lo, s0
	s_waitcnt vmcnt(0) lgkmcnt(0)
	v_fma_f64 v[1:2], v[20:21], v[22:23], v[1:2]
	s_and_not1_b32 exec_lo, exec_lo, s0
	s_cbranch_execnz .LBB44_165
; %bb.166:
	s_or_b32 exec_lo, exec_lo, s0
.LBB44_167:
	s_delay_alu instid0(SALU_CYCLE_1)
	s_or_b32 exec_lo, exec_lo, s4
	v_mov_b32_e32 v18, 0
	ds_load_b64 v[18:19], v18 offset:216
	s_waitcnt lgkmcnt(0)
	v_mul_f64 v[1:2], v[1:2], v[18:19]
	scratch_store_b64 off, v[1:2], off offset:216
.LBB44_168:
	s_or_b32 exec_lo, exec_lo, s2
	scratch_load_b64 v[1:2], off, off offset:208
	v_cmp_lt_u32_e64 s0, 26, v0
	s_waitcnt vmcnt(0)
	ds_store_b64 v3, v[1:2]
	s_waitcnt lgkmcnt(0)
	s_waitcnt_vscnt null, 0x0
	s_barrier
	buffer_gl0_inv
	s_and_saveexec_b32 s2, s0
	s_cbranch_execz .LBB44_178
; %bb.169:
	s_and_not1_b32 vcc_lo, exec_lo, s3
	s_cbranch_vccnz .LBB44_171
; %bb.170:
	scratch_load_b64 v[1:2], v4, off
	ds_load_b64 v[18:19], v3
	s_waitcnt vmcnt(0) lgkmcnt(0)
	v_mul_f64 v[1:2], v[1:2], v[18:19]
	s_cbranch_execz .LBB44_172
	s_branch .LBB44_173
.LBB44_171:
                                        ; implicit-def: $vgpr1_vgpr2
.LBB44_172:
	ds_load_b64 v[1:2], v3
.LBB44_173:
	s_and_saveexec_b32 s4, s1
	s_cbranch_execz .LBB44_177
; %bb.174:
	v_mov_b32_e32 v18, 0
	v_subrev_nc_u32_e32 v19, 27, v0
	s_movk_i32 s5, 0x248
	s_mov_b32 s1, 0
	s_delay_alu instid0(VALU_DEP_2)
	v_add_nc_u32_e32 v18, 0xd8, v18
.LBB44_175:                             ; =>This Inner Loop Header: Depth=1
	scratch_load_b64 v[20:21], v18, off
	v_dual_mov_b32 v22, s5 :: v_dual_add_nc_u32 v19, -1, v19
	v_add_nc_u32_e32 v18, 8, v18
	s_add_i32 s5, s5, 8
	ds_load_b64 v[22:23], v22
	v_cmp_eq_u32_e32 vcc_lo, 0, v19
	s_or_b32 s1, vcc_lo, s1
	s_waitcnt vmcnt(0) lgkmcnt(0)
	v_fma_f64 v[1:2], v[20:21], v[22:23], v[1:2]
	s_and_not1_b32 exec_lo, exec_lo, s1
	s_cbranch_execnz .LBB44_175
; %bb.176:
	s_or_b32 exec_lo, exec_lo, s1
.LBB44_177:
	s_delay_alu instid0(SALU_CYCLE_1)
	s_or_b32 exec_lo, exec_lo, s4
	v_mov_b32_e32 v18, 0
	ds_load_b64 v[18:19], v18 offset:208
	s_waitcnt lgkmcnt(0)
	v_mul_f64 v[1:2], v[1:2], v[18:19]
	scratch_store_b64 off, v[1:2], off offset:208
.LBB44_178:
	s_or_b32 exec_lo, exec_lo, s2
	scratch_load_b64 v[1:2], off, off offset:200
	v_cmp_lt_u32_e64 s1, 25, v0
	s_waitcnt vmcnt(0)
	ds_store_b64 v3, v[1:2]
	s_waitcnt lgkmcnt(0)
	s_waitcnt_vscnt null, 0x0
	s_barrier
	buffer_gl0_inv
	s_and_saveexec_b32 s2, s1
	s_cbranch_execz .LBB44_188
; %bb.179:
	s_and_not1_b32 vcc_lo, exec_lo, s3
	s_cbranch_vccnz .LBB44_181
; %bb.180:
	scratch_load_b64 v[1:2], v4, off
	ds_load_b64 v[18:19], v3
	s_waitcnt vmcnt(0) lgkmcnt(0)
	v_mul_f64 v[1:2], v[1:2], v[18:19]
	s_cbranch_execz .LBB44_182
	s_branch .LBB44_183
.LBB44_181:
                                        ; implicit-def: $vgpr1_vgpr2
.LBB44_182:
	ds_load_b64 v[1:2], v3
.LBB44_183:
	s_and_saveexec_b32 s4, s0
	s_cbranch_execz .LBB44_187
; %bb.184:
	v_subrev_nc_u32_e32 v18, 26, v0
	s_movk_i32 s5, 0x240
	s_mov_b32 s0, 0
.LBB44_185:                             ; =>This Inner Loop Header: Depth=1
	scratch_load_b64 v[19:20], v17, off
	v_dual_mov_b32 v21, s5 :: v_dual_add_nc_u32 v18, -1, v18
	v_add_nc_u32_e32 v17, 8, v17
	s_add_i32 s5, s5, 8
	ds_load_b64 v[21:22], v21
	v_cmp_eq_u32_e32 vcc_lo, 0, v18
	s_or_b32 s0, vcc_lo, s0
	s_waitcnt vmcnt(0) lgkmcnt(0)
	v_fma_f64 v[1:2], v[19:20], v[21:22], v[1:2]
	s_and_not1_b32 exec_lo, exec_lo, s0
	s_cbranch_execnz .LBB44_185
; %bb.186:
	s_or_b32 exec_lo, exec_lo, s0
.LBB44_187:
	s_delay_alu instid0(SALU_CYCLE_1)
	s_or_b32 exec_lo, exec_lo, s4
	v_mov_b32_e32 v17, 0
	ds_load_b64 v[17:18], v17 offset:200
	s_waitcnt lgkmcnt(0)
	v_mul_f64 v[1:2], v[1:2], v[17:18]
	scratch_store_b64 off, v[1:2], off offset:200
.LBB44_188:
	s_or_b32 exec_lo, exec_lo, s2
	scratch_load_b64 v[1:2], off, off offset:192
	v_cmp_lt_u32_e64 s0, 24, v0
	s_waitcnt vmcnt(0)
	ds_store_b64 v3, v[1:2]
	s_waitcnt lgkmcnt(0)
	s_waitcnt_vscnt null, 0x0
	s_barrier
	buffer_gl0_inv
	s_and_saveexec_b32 s2, s0
	s_cbranch_execz .LBB44_198
; %bb.189:
	s_and_not1_b32 vcc_lo, exec_lo, s3
	s_cbranch_vccnz .LBB44_191
; %bb.190:
	scratch_load_b64 v[1:2], v4, off
	ds_load_b64 v[17:18], v3
	s_waitcnt vmcnt(0) lgkmcnt(0)
	v_mul_f64 v[1:2], v[1:2], v[17:18]
	s_cbranch_execz .LBB44_192
	s_branch .LBB44_193
.LBB44_191:
                                        ; implicit-def: $vgpr1_vgpr2
.LBB44_192:
	ds_load_b64 v[1:2], v3
.LBB44_193:
	s_and_saveexec_b32 s4, s1
	s_cbranch_execz .LBB44_197
; %bb.194:
	v_mov_b32_e32 v17, 0
	v_subrev_nc_u32_e32 v18, 25, v0
	s_movk_i32 s5, 0x238
	s_mov_b32 s1, 0
	s_delay_alu instid0(VALU_DEP_2)
	v_add_nc_u32_e32 v17, 0xc8, v17
.LBB44_195:                             ; =>This Inner Loop Header: Depth=1
	scratch_load_b64 v[19:20], v17, off
	v_dual_mov_b32 v21, s5 :: v_dual_add_nc_u32 v18, -1, v18
	v_add_nc_u32_e32 v17, 8, v17
	s_add_i32 s5, s5, 8
	ds_load_b64 v[21:22], v21
	v_cmp_eq_u32_e32 vcc_lo, 0, v18
	s_or_b32 s1, vcc_lo, s1
	s_waitcnt vmcnt(0) lgkmcnt(0)
	v_fma_f64 v[1:2], v[19:20], v[21:22], v[1:2]
	s_and_not1_b32 exec_lo, exec_lo, s1
	s_cbranch_execnz .LBB44_195
; %bb.196:
	s_or_b32 exec_lo, exec_lo, s1
.LBB44_197:
	s_delay_alu instid0(SALU_CYCLE_1)
	s_or_b32 exec_lo, exec_lo, s4
	v_mov_b32_e32 v17, 0
	ds_load_b64 v[17:18], v17 offset:192
	s_waitcnt lgkmcnt(0)
	v_mul_f64 v[1:2], v[1:2], v[17:18]
	scratch_store_b64 off, v[1:2], off offset:192
.LBB44_198:
	s_or_b32 exec_lo, exec_lo, s2
	scratch_load_b64 v[1:2], off, off offset:184
	v_cmp_lt_u32_e64 s1, 23, v0
	s_waitcnt vmcnt(0)
	ds_store_b64 v3, v[1:2]
	s_waitcnt lgkmcnt(0)
	s_waitcnt_vscnt null, 0x0
	s_barrier
	buffer_gl0_inv
	s_and_saveexec_b32 s2, s1
	s_cbranch_execz .LBB44_208
; %bb.199:
	s_and_not1_b32 vcc_lo, exec_lo, s3
	s_cbranch_vccnz .LBB44_201
; %bb.200:
	scratch_load_b64 v[1:2], v4, off
	ds_load_b64 v[17:18], v3
	s_waitcnt vmcnt(0) lgkmcnt(0)
	v_mul_f64 v[1:2], v[1:2], v[17:18]
	s_cbranch_execz .LBB44_202
	s_branch .LBB44_203
.LBB44_201:
                                        ; implicit-def: $vgpr1_vgpr2
.LBB44_202:
	ds_load_b64 v[1:2], v3
.LBB44_203:
	s_and_saveexec_b32 s4, s0
	s_cbranch_execz .LBB44_207
; %bb.204:
	v_subrev_nc_u32_e32 v17, 24, v0
	s_movk_i32 s5, 0x230
	s_mov_b32 s0, 0
.LBB44_205:                             ; =>This Inner Loop Header: Depth=1
	scratch_load_b64 v[18:19], v16, off
	v_dual_mov_b32 v20, s5 :: v_dual_add_nc_u32 v17, -1, v17
	v_add_nc_u32_e32 v16, 8, v16
	s_add_i32 s5, s5, 8
	ds_load_b64 v[20:21], v20
	v_cmp_eq_u32_e32 vcc_lo, 0, v17
	s_or_b32 s0, vcc_lo, s0
	s_waitcnt vmcnt(0) lgkmcnt(0)
	v_fma_f64 v[1:2], v[18:19], v[20:21], v[1:2]
	s_and_not1_b32 exec_lo, exec_lo, s0
	s_cbranch_execnz .LBB44_205
; %bb.206:
	s_or_b32 exec_lo, exec_lo, s0
.LBB44_207:
	s_delay_alu instid0(SALU_CYCLE_1)
	s_or_b32 exec_lo, exec_lo, s4
	v_mov_b32_e32 v16, 0
	ds_load_b64 v[16:17], v16 offset:184
	s_waitcnt lgkmcnt(0)
	v_mul_f64 v[1:2], v[1:2], v[16:17]
	scratch_store_b64 off, v[1:2], off offset:184
.LBB44_208:
	s_or_b32 exec_lo, exec_lo, s2
	scratch_load_b64 v[1:2], off, off offset:176
	v_cmp_lt_u32_e64 s0, 22, v0
	s_waitcnt vmcnt(0)
	ds_store_b64 v3, v[1:2]
	s_waitcnt lgkmcnt(0)
	s_waitcnt_vscnt null, 0x0
	s_barrier
	buffer_gl0_inv
	s_and_saveexec_b32 s2, s0
	s_cbranch_execz .LBB44_218
; %bb.209:
	s_and_not1_b32 vcc_lo, exec_lo, s3
	s_cbranch_vccnz .LBB44_211
; %bb.210:
	scratch_load_b64 v[1:2], v4, off
	ds_load_b64 v[16:17], v3
	s_waitcnt vmcnt(0) lgkmcnt(0)
	v_mul_f64 v[1:2], v[1:2], v[16:17]
	s_cbranch_execz .LBB44_212
	s_branch .LBB44_213
.LBB44_211:
                                        ; implicit-def: $vgpr1_vgpr2
.LBB44_212:
	ds_load_b64 v[1:2], v3
.LBB44_213:
	s_and_saveexec_b32 s4, s1
	s_cbranch_execz .LBB44_217
; %bb.214:
	v_mov_b32_e32 v16, 0
	v_subrev_nc_u32_e32 v17, 23, v0
	s_movk_i32 s5, 0x228
	s_mov_b32 s1, 0
	s_delay_alu instid0(VALU_DEP_2)
	v_add_nc_u32_e32 v16, 0xb8, v16
.LBB44_215:                             ; =>This Inner Loop Header: Depth=1
	scratch_load_b64 v[18:19], v16, off
	v_dual_mov_b32 v20, s5 :: v_dual_add_nc_u32 v17, -1, v17
	v_add_nc_u32_e32 v16, 8, v16
	s_add_i32 s5, s5, 8
	ds_load_b64 v[20:21], v20
	v_cmp_eq_u32_e32 vcc_lo, 0, v17
	s_or_b32 s1, vcc_lo, s1
	s_waitcnt vmcnt(0) lgkmcnt(0)
	v_fma_f64 v[1:2], v[18:19], v[20:21], v[1:2]
	s_and_not1_b32 exec_lo, exec_lo, s1
	s_cbranch_execnz .LBB44_215
; %bb.216:
	s_or_b32 exec_lo, exec_lo, s1
.LBB44_217:
	s_delay_alu instid0(SALU_CYCLE_1)
	s_or_b32 exec_lo, exec_lo, s4
	v_mov_b32_e32 v16, 0
	ds_load_b64 v[16:17], v16 offset:176
	s_waitcnt lgkmcnt(0)
	v_mul_f64 v[1:2], v[1:2], v[16:17]
	scratch_store_b64 off, v[1:2], off offset:176
.LBB44_218:
	s_or_b32 exec_lo, exec_lo, s2
	scratch_load_b64 v[1:2], off, off offset:168
	v_cmp_lt_u32_e64 s1, 21, v0
	s_waitcnt vmcnt(0)
	ds_store_b64 v3, v[1:2]
	s_waitcnt lgkmcnt(0)
	s_waitcnt_vscnt null, 0x0
	s_barrier
	buffer_gl0_inv
	s_and_saveexec_b32 s2, s1
	s_cbranch_execz .LBB44_228
; %bb.219:
	s_and_not1_b32 vcc_lo, exec_lo, s3
	s_cbranch_vccnz .LBB44_221
; %bb.220:
	scratch_load_b64 v[1:2], v4, off
	ds_load_b64 v[16:17], v3
	s_waitcnt vmcnt(0) lgkmcnt(0)
	v_mul_f64 v[1:2], v[1:2], v[16:17]
	s_cbranch_execz .LBB44_222
	s_branch .LBB44_223
.LBB44_221:
                                        ; implicit-def: $vgpr1_vgpr2
.LBB44_222:
	ds_load_b64 v[1:2], v3
.LBB44_223:
	s_and_saveexec_b32 s4, s0
	s_cbranch_execz .LBB44_227
; %bb.224:
	v_subrev_nc_u32_e32 v16, 22, v0
	s_movk_i32 s5, 0x220
	s_mov_b32 s0, 0
.LBB44_225:                             ; =>This Inner Loop Header: Depth=1
	scratch_load_b64 v[17:18], v15, off
	v_dual_mov_b32 v19, s5 :: v_dual_add_nc_u32 v16, -1, v16
	v_add_nc_u32_e32 v15, 8, v15
	s_add_i32 s5, s5, 8
	ds_load_b64 v[19:20], v19
	v_cmp_eq_u32_e32 vcc_lo, 0, v16
	s_or_b32 s0, vcc_lo, s0
	s_waitcnt vmcnt(0) lgkmcnt(0)
	v_fma_f64 v[1:2], v[17:18], v[19:20], v[1:2]
	s_and_not1_b32 exec_lo, exec_lo, s0
	s_cbranch_execnz .LBB44_225
; %bb.226:
	s_or_b32 exec_lo, exec_lo, s0
.LBB44_227:
	s_delay_alu instid0(SALU_CYCLE_1)
	s_or_b32 exec_lo, exec_lo, s4
	v_mov_b32_e32 v15, 0
	ds_load_b64 v[15:16], v15 offset:168
	s_waitcnt lgkmcnt(0)
	v_mul_f64 v[1:2], v[1:2], v[15:16]
	scratch_store_b64 off, v[1:2], off offset:168
.LBB44_228:
	s_or_b32 exec_lo, exec_lo, s2
	scratch_load_b64 v[1:2], off, off offset:160
	v_cmp_lt_u32_e64 s0, 20, v0
	s_waitcnt vmcnt(0)
	ds_store_b64 v3, v[1:2]
	s_waitcnt lgkmcnt(0)
	s_waitcnt_vscnt null, 0x0
	s_barrier
	buffer_gl0_inv
	s_and_saveexec_b32 s2, s0
	s_cbranch_execz .LBB44_238
; %bb.229:
	s_and_not1_b32 vcc_lo, exec_lo, s3
	s_cbranch_vccnz .LBB44_231
; %bb.230:
	scratch_load_b64 v[1:2], v4, off
	ds_load_b64 v[15:16], v3
	s_waitcnt vmcnt(0) lgkmcnt(0)
	v_mul_f64 v[1:2], v[1:2], v[15:16]
	s_cbranch_execz .LBB44_232
	s_branch .LBB44_233
.LBB44_231:
                                        ; implicit-def: $vgpr1_vgpr2
.LBB44_232:
	ds_load_b64 v[1:2], v3
.LBB44_233:
	s_and_saveexec_b32 s4, s1
	s_cbranch_execz .LBB44_237
; %bb.234:
	v_mov_b32_e32 v15, 0
	v_subrev_nc_u32_e32 v16, 21, v0
	s_movk_i32 s5, 0x218
	s_mov_b32 s1, 0
	s_delay_alu instid0(VALU_DEP_2)
	v_add_nc_u32_e32 v15, 0xa8, v15
.LBB44_235:                             ; =>This Inner Loop Header: Depth=1
	scratch_load_b64 v[17:18], v15, off
	v_dual_mov_b32 v19, s5 :: v_dual_add_nc_u32 v16, -1, v16
	v_add_nc_u32_e32 v15, 8, v15
	s_add_i32 s5, s5, 8
	ds_load_b64 v[19:20], v19
	v_cmp_eq_u32_e32 vcc_lo, 0, v16
	s_or_b32 s1, vcc_lo, s1
	s_waitcnt vmcnt(0) lgkmcnt(0)
	v_fma_f64 v[1:2], v[17:18], v[19:20], v[1:2]
	s_and_not1_b32 exec_lo, exec_lo, s1
	s_cbranch_execnz .LBB44_235
; %bb.236:
	s_or_b32 exec_lo, exec_lo, s1
.LBB44_237:
	s_delay_alu instid0(SALU_CYCLE_1)
	s_or_b32 exec_lo, exec_lo, s4
	v_mov_b32_e32 v15, 0
	ds_load_b64 v[15:16], v15 offset:160
	s_waitcnt lgkmcnt(0)
	v_mul_f64 v[1:2], v[1:2], v[15:16]
	scratch_store_b64 off, v[1:2], off offset:160
.LBB44_238:
	s_or_b32 exec_lo, exec_lo, s2
	scratch_load_b64 v[1:2], off, off offset:152
	v_cmp_lt_u32_e64 s1, 19, v0
	s_waitcnt vmcnt(0)
	ds_store_b64 v3, v[1:2]
	s_waitcnt lgkmcnt(0)
	s_waitcnt_vscnt null, 0x0
	s_barrier
	buffer_gl0_inv
	s_and_saveexec_b32 s2, s1
	s_cbranch_execz .LBB44_248
; %bb.239:
	s_and_not1_b32 vcc_lo, exec_lo, s3
	s_cbranch_vccnz .LBB44_241
; %bb.240:
	scratch_load_b64 v[1:2], v4, off
	ds_load_b64 v[15:16], v3
	s_waitcnt vmcnt(0) lgkmcnt(0)
	v_mul_f64 v[1:2], v[1:2], v[15:16]
	s_cbranch_execz .LBB44_242
	s_branch .LBB44_243
.LBB44_241:
                                        ; implicit-def: $vgpr1_vgpr2
.LBB44_242:
	ds_load_b64 v[1:2], v3
.LBB44_243:
	s_and_saveexec_b32 s4, s0
	s_cbranch_execz .LBB44_247
; %bb.244:
	v_subrev_nc_u32_e32 v15, 20, v0
	s_movk_i32 s5, 0x210
	s_mov_b32 s0, 0
.LBB44_245:                             ; =>This Inner Loop Header: Depth=1
	scratch_load_b64 v[16:17], v14, off
	v_dual_mov_b32 v18, s5 :: v_dual_add_nc_u32 v15, -1, v15
	v_add_nc_u32_e32 v14, 8, v14
	s_add_i32 s5, s5, 8
	ds_load_b64 v[18:19], v18
	v_cmp_eq_u32_e32 vcc_lo, 0, v15
	s_or_b32 s0, vcc_lo, s0
	s_waitcnt vmcnt(0) lgkmcnt(0)
	v_fma_f64 v[1:2], v[16:17], v[18:19], v[1:2]
	s_and_not1_b32 exec_lo, exec_lo, s0
	s_cbranch_execnz .LBB44_245
; %bb.246:
	s_or_b32 exec_lo, exec_lo, s0
.LBB44_247:
	s_delay_alu instid0(SALU_CYCLE_1)
	s_or_b32 exec_lo, exec_lo, s4
	v_mov_b32_e32 v14, 0
	ds_load_b64 v[14:15], v14 offset:152
	s_waitcnt lgkmcnt(0)
	v_mul_f64 v[1:2], v[1:2], v[14:15]
	scratch_store_b64 off, v[1:2], off offset:152
.LBB44_248:
	s_or_b32 exec_lo, exec_lo, s2
	scratch_load_b64 v[1:2], off, off offset:144
	v_cmp_lt_u32_e64 s0, 18, v0
	s_waitcnt vmcnt(0)
	ds_store_b64 v3, v[1:2]
	s_waitcnt lgkmcnt(0)
	s_waitcnt_vscnt null, 0x0
	s_barrier
	buffer_gl0_inv
	s_and_saveexec_b32 s2, s0
	s_cbranch_execz .LBB44_258
; %bb.249:
	s_and_not1_b32 vcc_lo, exec_lo, s3
	s_cbranch_vccnz .LBB44_251
; %bb.250:
	scratch_load_b64 v[1:2], v4, off
	ds_load_b64 v[14:15], v3
	s_waitcnt vmcnt(0) lgkmcnt(0)
	v_mul_f64 v[1:2], v[1:2], v[14:15]
	s_cbranch_execz .LBB44_252
	s_branch .LBB44_253
.LBB44_251:
                                        ; implicit-def: $vgpr1_vgpr2
.LBB44_252:
	ds_load_b64 v[1:2], v3
.LBB44_253:
	s_and_saveexec_b32 s4, s1
	s_cbranch_execz .LBB44_257
; %bb.254:
	v_mov_b32_e32 v14, 0
	v_subrev_nc_u32_e32 v15, 19, v0
	s_movk_i32 s5, 0x208
	s_mov_b32 s1, 0
	s_delay_alu instid0(VALU_DEP_2)
	v_add_nc_u32_e32 v14, 0x98, v14
.LBB44_255:                             ; =>This Inner Loop Header: Depth=1
	scratch_load_b64 v[16:17], v14, off
	v_dual_mov_b32 v18, s5 :: v_dual_add_nc_u32 v15, -1, v15
	v_add_nc_u32_e32 v14, 8, v14
	s_add_i32 s5, s5, 8
	ds_load_b64 v[18:19], v18
	v_cmp_eq_u32_e32 vcc_lo, 0, v15
	s_or_b32 s1, vcc_lo, s1
	s_waitcnt vmcnt(0) lgkmcnt(0)
	v_fma_f64 v[1:2], v[16:17], v[18:19], v[1:2]
	s_and_not1_b32 exec_lo, exec_lo, s1
	s_cbranch_execnz .LBB44_255
; %bb.256:
	s_or_b32 exec_lo, exec_lo, s1
.LBB44_257:
	s_delay_alu instid0(SALU_CYCLE_1)
	s_or_b32 exec_lo, exec_lo, s4
	v_mov_b32_e32 v14, 0
	ds_load_b64 v[14:15], v14 offset:144
	s_waitcnt lgkmcnt(0)
	v_mul_f64 v[1:2], v[1:2], v[14:15]
	scratch_store_b64 off, v[1:2], off offset:144
.LBB44_258:
	s_or_b32 exec_lo, exec_lo, s2
	scratch_load_b64 v[1:2], off, off offset:136
	v_cmp_lt_u32_e64 s1, 17, v0
	s_waitcnt vmcnt(0)
	ds_store_b64 v3, v[1:2]
	s_waitcnt lgkmcnt(0)
	s_waitcnt_vscnt null, 0x0
	s_barrier
	buffer_gl0_inv
	s_and_saveexec_b32 s2, s1
	s_cbranch_execz .LBB44_268
; %bb.259:
	s_and_not1_b32 vcc_lo, exec_lo, s3
	s_cbranch_vccnz .LBB44_261
; %bb.260:
	scratch_load_b64 v[1:2], v4, off
	ds_load_b64 v[14:15], v3
	s_waitcnt vmcnt(0) lgkmcnt(0)
	v_mul_f64 v[1:2], v[1:2], v[14:15]
	s_cbranch_execz .LBB44_262
	s_branch .LBB44_263
.LBB44_261:
                                        ; implicit-def: $vgpr1_vgpr2
.LBB44_262:
	ds_load_b64 v[1:2], v3
.LBB44_263:
	s_and_saveexec_b32 s4, s0
	s_cbranch_execz .LBB44_267
; %bb.264:
	v_subrev_nc_u32_e32 v14, 18, v0
	s_movk_i32 s5, 0x200
	s_mov_b32 s0, 0
.LBB44_265:                             ; =>This Inner Loop Header: Depth=1
	scratch_load_b64 v[15:16], v13, off
	v_dual_mov_b32 v17, s5 :: v_dual_add_nc_u32 v14, -1, v14
	v_add_nc_u32_e32 v13, 8, v13
	s_add_i32 s5, s5, 8
	ds_load_b64 v[17:18], v17
	v_cmp_eq_u32_e32 vcc_lo, 0, v14
	s_or_b32 s0, vcc_lo, s0
	s_waitcnt vmcnt(0) lgkmcnt(0)
	v_fma_f64 v[1:2], v[15:16], v[17:18], v[1:2]
	s_and_not1_b32 exec_lo, exec_lo, s0
	s_cbranch_execnz .LBB44_265
; %bb.266:
	s_or_b32 exec_lo, exec_lo, s0
.LBB44_267:
	s_delay_alu instid0(SALU_CYCLE_1)
	s_or_b32 exec_lo, exec_lo, s4
	v_mov_b32_e32 v13, 0
	ds_load_b64 v[13:14], v13 offset:136
	s_waitcnt lgkmcnt(0)
	v_mul_f64 v[1:2], v[1:2], v[13:14]
	scratch_store_b64 off, v[1:2], off offset:136
.LBB44_268:
	s_or_b32 exec_lo, exec_lo, s2
	scratch_load_b64 v[1:2], off, off offset:128
	v_cmp_lt_u32_e64 s0, 16, v0
	s_waitcnt vmcnt(0)
	ds_store_b64 v3, v[1:2]
	s_waitcnt lgkmcnt(0)
	s_waitcnt_vscnt null, 0x0
	s_barrier
	buffer_gl0_inv
	s_and_saveexec_b32 s2, s0
	s_cbranch_execz .LBB44_278
; %bb.269:
	s_and_not1_b32 vcc_lo, exec_lo, s3
	s_cbranch_vccnz .LBB44_271
; %bb.270:
	scratch_load_b64 v[1:2], v4, off
	ds_load_b64 v[13:14], v3
	s_waitcnt vmcnt(0) lgkmcnt(0)
	v_mul_f64 v[1:2], v[1:2], v[13:14]
	s_cbranch_execz .LBB44_272
	s_branch .LBB44_273
.LBB44_271:
                                        ; implicit-def: $vgpr1_vgpr2
.LBB44_272:
	ds_load_b64 v[1:2], v3
.LBB44_273:
	s_and_saveexec_b32 s4, s1
	s_cbranch_execz .LBB44_277
; %bb.274:
	v_mov_b32_e32 v13, 0
	v_subrev_nc_u32_e32 v14, 17, v0
	s_movk_i32 s5, 0x1f8
	s_mov_b32 s1, 0
	s_delay_alu instid0(VALU_DEP_2)
	v_add_nc_u32_e32 v13, 0x88, v13
.LBB44_275:                             ; =>This Inner Loop Header: Depth=1
	scratch_load_b64 v[15:16], v13, off
	v_dual_mov_b32 v17, s5 :: v_dual_add_nc_u32 v14, -1, v14
	v_add_nc_u32_e32 v13, 8, v13
	s_add_i32 s5, s5, 8
	ds_load_b64 v[17:18], v17
	v_cmp_eq_u32_e32 vcc_lo, 0, v14
	s_or_b32 s1, vcc_lo, s1
	s_waitcnt vmcnt(0) lgkmcnt(0)
	v_fma_f64 v[1:2], v[15:16], v[17:18], v[1:2]
	s_and_not1_b32 exec_lo, exec_lo, s1
	s_cbranch_execnz .LBB44_275
; %bb.276:
	s_or_b32 exec_lo, exec_lo, s1
.LBB44_277:
	s_delay_alu instid0(SALU_CYCLE_1)
	s_or_b32 exec_lo, exec_lo, s4
	v_mov_b32_e32 v13, 0
	ds_load_b64 v[13:14], v13 offset:128
	s_waitcnt lgkmcnt(0)
	v_mul_f64 v[1:2], v[1:2], v[13:14]
	scratch_store_b64 off, v[1:2], off offset:128
.LBB44_278:
	s_or_b32 exec_lo, exec_lo, s2
	scratch_load_b64 v[1:2], off, off offset:120
	v_cmp_lt_u32_e64 s1, 15, v0
	s_waitcnt vmcnt(0)
	ds_store_b64 v3, v[1:2]
	s_waitcnt lgkmcnt(0)
	s_waitcnt_vscnt null, 0x0
	s_barrier
	buffer_gl0_inv
	s_and_saveexec_b32 s2, s1
	s_cbranch_execz .LBB44_288
; %bb.279:
	s_and_not1_b32 vcc_lo, exec_lo, s3
	s_cbranch_vccnz .LBB44_281
; %bb.280:
	scratch_load_b64 v[1:2], v4, off
	ds_load_b64 v[13:14], v3
	s_waitcnt vmcnt(0) lgkmcnt(0)
	v_mul_f64 v[1:2], v[1:2], v[13:14]
	s_cbranch_execz .LBB44_282
	s_branch .LBB44_283
.LBB44_281:
                                        ; implicit-def: $vgpr1_vgpr2
.LBB44_282:
	ds_load_b64 v[1:2], v3
.LBB44_283:
	s_and_saveexec_b32 s4, s0
	s_cbranch_execz .LBB44_287
; %bb.284:
	v_add_nc_u32_e32 v13, -16, v0
	s_movk_i32 s5, 0x1f0
	s_mov_b32 s0, 0
.LBB44_285:                             ; =>This Inner Loop Header: Depth=1
	scratch_load_b64 v[14:15], v12, off
	v_dual_mov_b32 v16, s5 :: v_dual_add_nc_u32 v13, -1, v13
	v_add_nc_u32_e32 v12, 8, v12
	s_add_i32 s5, s5, 8
	ds_load_b64 v[16:17], v16
	v_cmp_eq_u32_e32 vcc_lo, 0, v13
	s_or_b32 s0, vcc_lo, s0
	s_waitcnt vmcnt(0) lgkmcnt(0)
	v_fma_f64 v[1:2], v[14:15], v[16:17], v[1:2]
	s_and_not1_b32 exec_lo, exec_lo, s0
	s_cbranch_execnz .LBB44_285
; %bb.286:
	s_or_b32 exec_lo, exec_lo, s0
.LBB44_287:
	s_delay_alu instid0(SALU_CYCLE_1)
	s_or_b32 exec_lo, exec_lo, s4
	v_mov_b32_e32 v12, 0
	ds_load_b64 v[12:13], v12 offset:120
	s_waitcnt lgkmcnt(0)
	v_mul_f64 v[1:2], v[1:2], v[12:13]
	scratch_store_b64 off, v[1:2], off offset:120
.LBB44_288:
	s_or_b32 exec_lo, exec_lo, s2
	scratch_load_b64 v[1:2], off, off offset:112
	v_cmp_lt_u32_e64 s0, 14, v0
	s_waitcnt vmcnt(0)
	ds_store_b64 v3, v[1:2]
	s_waitcnt lgkmcnt(0)
	s_waitcnt_vscnt null, 0x0
	s_barrier
	buffer_gl0_inv
	s_and_saveexec_b32 s2, s0
	s_cbranch_execz .LBB44_298
; %bb.289:
	s_and_not1_b32 vcc_lo, exec_lo, s3
	s_cbranch_vccnz .LBB44_291
; %bb.290:
	scratch_load_b64 v[1:2], v4, off
	ds_load_b64 v[12:13], v3
	s_waitcnt vmcnt(0) lgkmcnt(0)
	v_mul_f64 v[1:2], v[1:2], v[12:13]
	s_cbranch_execz .LBB44_292
	s_branch .LBB44_293
.LBB44_291:
                                        ; implicit-def: $vgpr1_vgpr2
.LBB44_292:
	ds_load_b64 v[1:2], v3
.LBB44_293:
	s_and_saveexec_b32 s4, s1
	s_cbranch_execz .LBB44_297
; %bb.294:
	v_dual_mov_b32 v12, 0 :: v_dual_add_nc_u32 v13, -15, v0
	s_movk_i32 s5, 0x1e8
	s_mov_b32 s1, 0
	s_delay_alu instid0(VALU_DEP_1)
	v_add_nc_u32_e32 v12, 0x78, v12
.LBB44_295:                             ; =>This Inner Loop Header: Depth=1
	scratch_load_b64 v[14:15], v12, off
	v_dual_mov_b32 v16, s5 :: v_dual_add_nc_u32 v13, -1, v13
	v_add_nc_u32_e32 v12, 8, v12
	s_add_i32 s5, s5, 8
	ds_load_b64 v[16:17], v16
	v_cmp_eq_u32_e32 vcc_lo, 0, v13
	s_or_b32 s1, vcc_lo, s1
	s_waitcnt vmcnt(0) lgkmcnt(0)
	v_fma_f64 v[1:2], v[14:15], v[16:17], v[1:2]
	s_and_not1_b32 exec_lo, exec_lo, s1
	s_cbranch_execnz .LBB44_295
; %bb.296:
	s_or_b32 exec_lo, exec_lo, s1
.LBB44_297:
	s_delay_alu instid0(SALU_CYCLE_1)
	s_or_b32 exec_lo, exec_lo, s4
	v_mov_b32_e32 v12, 0
	ds_load_b64 v[12:13], v12 offset:112
	s_waitcnt lgkmcnt(0)
	v_mul_f64 v[1:2], v[1:2], v[12:13]
	scratch_store_b64 off, v[1:2], off offset:112
.LBB44_298:
	s_or_b32 exec_lo, exec_lo, s2
	scratch_load_b64 v[1:2], off, off offset:104
	v_cmp_lt_u32_e64 s1, 13, v0
	s_waitcnt vmcnt(0)
	ds_store_b64 v3, v[1:2]
	s_waitcnt lgkmcnt(0)
	s_waitcnt_vscnt null, 0x0
	s_barrier
	buffer_gl0_inv
	s_and_saveexec_b32 s2, s1
	s_cbranch_execz .LBB44_308
; %bb.299:
	s_and_not1_b32 vcc_lo, exec_lo, s3
	s_cbranch_vccnz .LBB44_301
; %bb.300:
	scratch_load_b64 v[1:2], v4, off
	ds_load_b64 v[12:13], v3
	s_waitcnt vmcnt(0) lgkmcnt(0)
	v_mul_f64 v[1:2], v[1:2], v[12:13]
	s_cbranch_execz .LBB44_302
	s_branch .LBB44_303
.LBB44_301:
                                        ; implicit-def: $vgpr1_vgpr2
.LBB44_302:
	ds_load_b64 v[1:2], v3
.LBB44_303:
	s_and_saveexec_b32 s4, s0
	s_cbranch_execz .LBB44_307
; %bb.304:
	v_add_nc_u32_e32 v12, -14, v0
	s_movk_i32 s5, 0x1e0
	s_mov_b32 s0, 0
.LBB44_305:                             ; =>This Inner Loop Header: Depth=1
	scratch_load_b64 v[13:14], v11, off
	v_dual_mov_b32 v15, s5 :: v_dual_add_nc_u32 v12, -1, v12
	v_add_nc_u32_e32 v11, 8, v11
	s_add_i32 s5, s5, 8
	ds_load_b64 v[15:16], v15
	v_cmp_eq_u32_e32 vcc_lo, 0, v12
	s_or_b32 s0, vcc_lo, s0
	s_waitcnt vmcnt(0) lgkmcnt(0)
	v_fma_f64 v[1:2], v[13:14], v[15:16], v[1:2]
	s_and_not1_b32 exec_lo, exec_lo, s0
	s_cbranch_execnz .LBB44_305
; %bb.306:
	s_or_b32 exec_lo, exec_lo, s0
.LBB44_307:
	s_delay_alu instid0(SALU_CYCLE_1)
	s_or_b32 exec_lo, exec_lo, s4
	v_mov_b32_e32 v11, 0
	ds_load_b64 v[11:12], v11 offset:104
	s_waitcnt lgkmcnt(0)
	v_mul_f64 v[1:2], v[1:2], v[11:12]
	scratch_store_b64 off, v[1:2], off offset:104
.LBB44_308:
	s_or_b32 exec_lo, exec_lo, s2
	scratch_load_b64 v[1:2], off, off offset:96
	v_cmp_lt_u32_e64 s0, 12, v0
	s_waitcnt vmcnt(0)
	ds_store_b64 v3, v[1:2]
	s_waitcnt lgkmcnt(0)
	s_waitcnt_vscnt null, 0x0
	s_barrier
	buffer_gl0_inv
	s_and_saveexec_b32 s2, s0
	s_cbranch_execz .LBB44_318
; %bb.309:
	s_and_not1_b32 vcc_lo, exec_lo, s3
	s_cbranch_vccnz .LBB44_311
; %bb.310:
	scratch_load_b64 v[1:2], v4, off
	ds_load_b64 v[11:12], v3
	s_waitcnt vmcnt(0) lgkmcnt(0)
	v_mul_f64 v[1:2], v[1:2], v[11:12]
	s_cbranch_execz .LBB44_312
	s_branch .LBB44_313
.LBB44_311:
                                        ; implicit-def: $vgpr1_vgpr2
.LBB44_312:
	ds_load_b64 v[1:2], v3
.LBB44_313:
	s_and_saveexec_b32 s4, s1
	s_cbranch_execz .LBB44_317
; %bb.314:
	v_dual_mov_b32 v11, 0 :: v_dual_add_nc_u32 v12, -13, v0
	s_movk_i32 s5, 0x1d8
	s_mov_b32 s1, 0
	s_delay_alu instid0(VALU_DEP_1)
	v_add_nc_u32_e32 v11, 0x68, v11
.LBB44_315:                             ; =>This Inner Loop Header: Depth=1
	scratch_load_b64 v[13:14], v11, off
	v_dual_mov_b32 v15, s5 :: v_dual_add_nc_u32 v12, -1, v12
	v_add_nc_u32_e32 v11, 8, v11
	s_add_i32 s5, s5, 8
	ds_load_b64 v[15:16], v15
	v_cmp_eq_u32_e32 vcc_lo, 0, v12
	s_or_b32 s1, vcc_lo, s1
	s_waitcnt vmcnt(0) lgkmcnt(0)
	v_fma_f64 v[1:2], v[13:14], v[15:16], v[1:2]
	s_and_not1_b32 exec_lo, exec_lo, s1
	s_cbranch_execnz .LBB44_315
; %bb.316:
	s_or_b32 exec_lo, exec_lo, s1
.LBB44_317:
	s_delay_alu instid0(SALU_CYCLE_1)
	s_or_b32 exec_lo, exec_lo, s4
	v_mov_b32_e32 v11, 0
	ds_load_b64 v[11:12], v11 offset:96
	s_waitcnt lgkmcnt(0)
	v_mul_f64 v[1:2], v[1:2], v[11:12]
	scratch_store_b64 off, v[1:2], off offset:96
.LBB44_318:
	s_or_b32 exec_lo, exec_lo, s2
	scratch_load_b64 v[1:2], off, off offset:88
	v_cmp_lt_u32_e64 s1, 11, v0
	s_waitcnt vmcnt(0)
	ds_store_b64 v3, v[1:2]
	s_waitcnt lgkmcnt(0)
	s_waitcnt_vscnt null, 0x0
	s_barrier
	buffer_gl0_inv
	s_and_saveexec_b32 s2, s1
	s_cbranch_execz .LBB44_328
; %bb.319:
	s_and_not1_b32 vcc_lo, exec_lo, s3
	s_cbranch_vccnz .LBB44_321
; %bb.320:
	scratch_load_b64 v[1:2], v4, off
	ds_load_b64 v[11:12], v3
	s_waitcnt vmcnt(0) lgkmcnt(0)
	v_mul_f64 v[1:2], v[1:2], v[11:12]
	s_cbranch_execz .LBB44_322
	s_branch .LBB44_323
.LBB44_321:
                                        ; implicit-def: $vgpr1_vgpr2
.LBB44_322:
	ds_load_b64 v[1:2], v3
.LBB44_323:
	s_and_saveexec_b32 s4, s0
	s_cbranch_execz .LBB44_327
; %bb.324:
	v_add_nc_u32_e32 v11, -12, v0
	s_movk_i32 s5, 0x1d0
	s_mov_b32 s0, 0
.LBB44_325:                             ; =>This Inner Loop Header: Depth=1
	scratch_load_b64 v[12:13], v10, off
	v_dual_mov_b32 v14, s5 :: v_dual_add_nc_u32 v11, -1, v11
	v_add_nc_u32_e32 v10, 8, v10
	s_add_i32 s5, s5, 8
	ds_load_b64 v[14:15], v14
	v_cmp_eq_u32_e32 vcc_lo, 0, v11
	s_or_b32 s0, vcc_lo, s0
	s_waitcnt vmcnt(0) lgkmcnt(0)
	v_fma_f64 v[1:2], v[12:13], v[14:15], v[1:2]
	s_and_not1_b32 exec_lo, exec_lo, s0
	s_cbranch_execnz .LBB44_325
; %bb.326:
	s_or_b32 exec_lo, exec_lo, s0
.LBB44_327:
	s_delay_alu instid0(SALU_CYCLE_1)
	s_or_b32 exec_lo, exec_lo, s4
	v_mov_b32_e32 v10, 0
	ds_load_b64 v[10:11], v10 offset:88
	s_waitcnt lgkmcnt(0)
	v_mul_f64 v[1:2], v[1:2], v[10:11]
	scratch_store_b64 off, v[1:2], off offset:88
.LBB44_328:
	s_or_b32 exec_lo, exec_lo, s2
	scratch_load_b64 v[1:2], off, off offset:80
	v_cmp_lt_u32_e64 s0, 10, v0
	s_waitcnt vmcnt(0)
	ds_store_b64 v3, v[1:2]
	s_waitcnt lgkmcnt(0)
	s_waitcnt_vscnt null, 0x0
	s_barrier
	buffer_gl0_inv
	s_and_saveexec_b32 s2, s0
	s_cbranch_execz .LBB44_338
; %bb.329:
	s_and_not1_b32 vcc_lo, exec_lo, s3
	s_cbranch_vccnz .LBB44_331
; %bb.330:
	scratch_load_b64 v[1:2], v4, off
	ds_load_b64 v[10:11], v3
	s_waitcnt vmcnt(0) lgkmcnt(0)
	v_mul_f64 v[1:2], v[1:2], v[10:11]
	s_cbranch_execz .LBB44_332
	s_branch .LBB44_333
.LBB44_331:
                                        ; implicit-def: $vgpr1_vgpr2
.LBB44_332:
	ds_load_b64 v[1:2], v3
.LBB44_333:
	s_and_saveexec_b32 s4, s1
	s_cbranch_execz .LBB44_337
; %bb.334:
	v_dual_mov_b32 v10, 0 :: v_dual_add_nc_u32 v11, -11, v0
	s_movk_i32 s5, 0x1c8
	s_mov_b32 s1, 0
	s_delay_alu instid0(VALU_DEP_1)
	v_add_nc_u32_e32 v10, 0x58, v10
.LBB44_335:                             ; =>This Inner Loop Header: Depth=1
	scratch_load_b64 v[12:13], v10, off
	v_dual_mov_b32 v14, s5 :: v_dual_add_nc_u32 v11, -1, v11
	v_add_nc_u32_e32 v10, 8, v10
	s_add_i32 s5, s5, 8
	ds_load_b64 v[14:15], v14
	v_cmp_eq_u32_e32 vcc_lo, 0, v11
	s_or_b32 s1, vcc_lo, s1
	s_waitcnt vmcnt(0) lgkmcnt(0)
	v_fma_f64 v[1:2], v[12:13], v[14:15], v[1:2]
	s_and_not1_b32 exec_lo, exec_lo, s1
	s_cbranch_execnz .LBB44_335
; %bb.336:
	s_or_b32 exec_lo, exec_lo, s1
.LBB44_337:
	s_delay_alu instid0(SALU_CYCLE_1)
	s_or_b32 exec_lo, exec_lo, s4
	v_mov_b32_e32 v10, 0
	ds_load_b64 v[10:11], v10 offset:80
	s_waitcnt lgkmcnt(0)
	v_mul_f64 v[1:2], v[1:2], v[10:11]
	scratch_store_b64 off, v[1:2], off offset:80
.LBB44_338:
	s_or_b32 exec_lo, exec_lo, s2
	scratch_load_b64 v[1:2], off, off offset:72
	v_cmp_lt_u32_e64 s1, 9, v0
	s_waitcnt vmcnt(0)
	ds_store_b64 v3, v[1:2]
	s_waitcnt lgkmcnt(0)
	s_waitcnt_vscnt null, 0x0
	s_barrier
	buffer_gl0_inv
	s_and_saveexec_b32 s2, s1
	s_cbranch_execz .LBB44_348
; %bb.339:
	s_and_not1_b32 vcc_lo, exec_lo, s3
	s_cbranch_vccnz .LBB44_341
; %bb.340:
	scratch_load_b64 v[1:2], v4, off
	ds_load_b64 v[10:11], v3
	s_waitcnt vmcnt(0) lgkmcnt(0)
	v_mul_f64 v[1:2], v[1:2], v[10:11]
	s_cbranch_execz .LBB44_342
	s_branch .LBB44_343
.LBB44_341:
                                        ; implicit-def: $vgpr1_vgpr2
.LBB44_342:
	ds_load_b64 v[1:2], v3
.LBB44_343:
	s_and_saveexec_b32 s4, s0
	s_cbranch_execz .LBB44_347
; %bb.344:
	v_add_nc_u32_e32 v10, -10, v0
	s_movk_i32 s5, 0x1c0
	s_mov_b32 s0, 0
.LBB44_345:                             ; =>This Inner Loop Header: Depth=1
	scratch_load_b64 v[11:12], v9, off
	v_dual_mov_b32 v13, s5 :: v_dual_add_nc_u32 v10, -1, v10
	v_add_nc_u32_e32 v9, 8, v9
	s_add_i32 s5, s5, 8
	ds_load_b64 v[13:14], v13
	v_cmp_eq_u32_e32 vcc_lo, 0, v10
	s_or_b32 s0, vcc_lo, s0
	s_waitcnt vmcnt(0) lgkmcnt(0)
	v_fma_f64 v[1:2], v[11:12], v[13:14], v[1:2]
	s_and_not1_b32 exec_lo, exec_lo, s0
	s_cbranch_execnz .LBB44_345
; %bb.346:
	s_or_b32 exec_lo, exec_lo, s0
.LBB44_347:
	s_delay_alu instid0(SALU_CYCLE_1)
	s_or_b32 exec_lo, exec_lo, s4
	v_mov_b32_e32 v9, 0
	ds_load_b64 v[9:10], v9 offset:72
	s_waitcnt lgkmcnt(0)
	v_mul_f64 v[1:2], v[1:2], v[9:10]
	scratch_store_b64 off, v[1:2], off offset:72
.LBB44_348:
	s_or_b32 exec_lo, exec_lo, s2
	scratch_load_b64 v[1:2], off, off offset:64
	v_cmp_lt_u32_e64 s0, 8, v0
	s_waitcnt vmcnt(0)
	ds_store_b64 v3, v[1:2]
	s_waitcnt lgkmcnt(0)
	s_waitcnt_vscnt null, 0x0
	s_barrier
	buffer_gl0_inv
	s_and_saveexec_b32 s2, s0
	s_cbranch_execz .LBB44_358
; %bb.349:
	s_and_not1_b32 vcc_lo, exec_lo, s3
	s_cbranch_vccnz .LBB44_351
; %bb.350:
	scratch_load_b64 v[1:2], v4, off
	ds_load_b64 v[9:10], v3
	s_waitcnt vmcnt(0) lgkmcnt(0)
	v_mul_f64 v[1:2], v[1:2], v[9:10]
	s_cbranch_execz .LBB44_352
	s_branch .LBB44_353
.LBB44_351:
                                        ; implicit-def: $vgpr1_vgpr2
.LBB44_352:
	ds_load_b64 v[1:2], v3
.LBB44_353:
	s_and_saveexec_b32 s4, s1
	s_cbranch_execz .LBB44_357
; %bb.354:
	v_dual_mov_b32 v9, 0 :: v_dual_add_nc_u32 v10, -9, v0
	s_movk_i32 s5, 0x1b8
	s_mov_b32 s1, 0
	s_delay_alu instid0(VALU_DEP_1)
	v_add_nc_u32_e32 v9, 0x48, v9
.LBB44_355:                             ; =>This Inner Loop Header: Depth=1
	scratch_load_b64 v[11:12], v9, off
	v_dual_mov_b32 v13, s5 :: v_dual_add_nc_u32 v10, -1, v10
	v_add_nc_u32_e32 v9, 8, v9
	s_add_i32 s5, s5, 8
	ds_load_b64 v[13:14], v13
	v_cmp_eq_u32_e32 vcc_lo, 0, v10
	s_or_b32 s1, vcc_lo, s1
	s_waitcnt vmcnt(0) lgkmcnt(0)
	v_fma_f64 v[1:2], v[11:12], v[13:14], v[1:2]
	s_and_not1_b32 exec_lo, exec_lo, s1
	s_cbranch_execnz .LBB44_355
; %bb.356:
	s_or_b32 exec_lo, exec_lo, s1
.LBB44_357:
	s_delay_alu instid0(SALU_CYCLE_1)
	s_or_b32 exec_lo, exec_lo, s4
	v_mov_b32_e32 v9, 0
	ds_load_b64 v[9:10], v9 offset:64
	s_waitcnt lgkmcnt(0)
	v_mul_f64 v[1:2], v[1:2], v[9:10]
	scratch_store_b64 off, v[1:2], off offset:64
.LBB44_358:
	s_or_b32 exec_lo, exec_lo, s2
	scratch_load_b64 v[1:2], off, off offset:56
	v_cmp_lt_u32_e64 s1, 7, v0
	s_waitcnt vmcnt(0)
	ds_store_b64 v3, v[1:2]
	s_waitcnt lgkmcnt(0)
	s_waitcnt_vscnt null, 0x0
	s_barrier
	buffer_gl0_inv
	s_and_saveexec_b32 s2, s1
	s_cbranch_execz .LBB44_368
; %bb.359:
	s_and_not1_b32 vcc_lo, exec_lo, s3
	s_cbranch_vccnz .LBB44_361
; %bb.360:
	scratch_load_b64 v[1:2], v4, off
	ds_load_b64 v[9:10], v3
	s_waitcnt vmcnt(0) lgkmcnt(0)
	v_mul_f64 v[1:2], v[1:2], v[9:10]
	s_cbranch_execz .LBB44_362
	s_branch .LBB44_363
.LBB44_361:
                                        ; implicit-def: $vgpr1_vgpr2
.LBB44_362:
	ds_load_b64 v[1:2], v3
.LBB44_363:
	s_and_saveexec_b32 s4, s0
	s_cbranch_execz .LBB44_367
; %bb.364:
	v_add_nc_u32_e32 v9, -8, v0
	s_movk_i32 s5, 0x1b0
	s_mov_b32 s0, 0
.LBB44_365:                             ; =>This Inner Loop Header: Depth=1
	scratch_load_b64 v[10:11], v8, off
	v_dual_mov_b32 v12, s5 :: v_dual_add_nc_u32 v9, -1, v9
	v_add_nc_u32_e32 v8, 8, v8
	s_add_i32 s5, s5, 8
	ds_load_b64 v[12:13], v12
	v_cmp_eq_u32_e32 vcc_lo, 0, v9
	s_or_b32 s0, vcc_lo, s0
	s_waitcnt vmcnt(0) lgkmcnt(0)
	v_fma_f64 v[1:2], v[10:11], v[12:13], v[1:2]
	s_and_not1_b32 exec_lo, exec_lo, s0
	s_cbranch_execnz .LBB44_365
; %bb.366:
	s_or_b32 exec_lo, exec_lo, s0
.LBB44_367:
	s_delay_alu instid0(SALU_CYCLE_1)
	s_or_b32 exec_lo, exec_lo, s4
	v_mov_b32_e32 v8, 0
	ds_load_b64 v[8:9], v8 offset:56
	s_waitcnt lgkmcnt(0)
	v_mul_f64 v[1:2], v[1:2], v[8:9]
	scratch_store_b64 off, v[1:2], off offset:56
.LBB44_368:
	s_or_b32 exec_lo, exec_lo, s2
	scratch_load_b64 v[1:2], off, off offset:48
	v_cmp_lt_u32_e64 s0, 6, v0
	s_waitcnt vmcnt(0)
	ds_store_b64 v3, v[1:2]
	s_waitcnt lgkmcnt(0)
	s_waitcnt_vscnt null, 0x0
	s_barrier
	buffer_gl0_inv
	s_and_saveexec_b32 s2, s0
	s_cbranch_execz .LBB44_378
; %bb.369:
	s_and_not1_b32 vcc_lo, exec_lo, s3
	s_cbranch_vccnz .LBB44_371
; %bb.370:
	scratch_load_b64 v[1:2], v4, off
	ds_load_b64 v[8:9], v3
	s_waitcnt vmcnt(0) lgkmcnt(0)
	v_mul_f64 v[1:2], v[1:2], v[8:9]
	s_cbranch_execz .LBB44_372
	s_branch .LBB44_373
.LBB44_371:
                                        ; implicit-def: $vgpr1_vgpr2
.LBB44_372:
	ds_load_b64 v[1:2], v3
.LBB44_373:
	s_and_saveexec_b32 s4, s1
	s_cbranch_execz .LBB44_377
; %bb.374:
	v_add_nc_u32_e64 v8, 0, 56
	v_add_nc_u32_e32 v9, -7, v0
	s_movk_i32 s5, 0x1a8
	s_mov_b32 s1, 0
.LBB44_375:                             ; =>This Inner Loop Header: Depth=1
	scratch_load_b64 v[10:11], v8, off
	v_dual_mov_b32 v12, s5 :: v_dual_add_nc_u32 v9, -1, v9
	v_add_nc_u32_e32 v8, 8, v8
	s_add_i32 s5, s5, 8
	ds_load_b64 v[12:13], v12
	v_cmp_eq_u32_e32 vcc_lo, 0, v9
	s_or_b32 s1, vcc_lo, s1
	s_waitcnt vmcnt(0) lgkmcnt(0)
	v_fma_f64 v[1:2], v[10:11], v[12:13], v[1:2]
	s_and_not1_b32 exec_lo, exec_lo, s1
	s_cbranch_execnz .LBB44_375
; %bb.376:
	s_or_b32 exec_lo, exec_lo, s1
.LBB44_377:
	s_delay_alu instid0(SALU_CYCLE_1)
	s_or_b32 exec_lo, exec_lo, s4
	v_mov_b32_e32 v8, 0
	ds_load_b64 v[8:9], v8 offset:48
	s_waitcnt lgkmcnt(0)
	v_mul_f64 v[1:2], v[1:2], v[8:9]
	scratch_store_b64 off, v[1:2], off offset:48
.LBB44_378:
	s_or_b32 exec_lo, exec_lo, s2
	scratch_load_b64 v[1:2], off, off offset:40
	v_cmp_lt_u32_e64 s1, 5, v0
	s_waitcnt vmcnt(0)
	ds_store_b64 v3, v[1:2]
	s_waitcnt lgkmcnt(0)
	s_waitcnt_vscnt null, 0x0
	s_barrier
	buffer_gl0_inv
	s_and_saveexec_b32 s2, s1
	s_cbranch_execz .LBB44_388
; %bb.379:
	s_and_not1_b32 vcc_lo, exec_lo, s3
	s_cbranch_vccnz .LBB44_381
; %bb.380:
	scratch_load_b64 v[1:2], v4, off
	ds_load_b64 v[8:9], v3
	s_waitcnt vmcnt(0) lgkmcnt(0)
	v_mul_f64 v[1:2], v[1:2], v[8:9]
	s_cbranch_execz .LBB44_382
	s_branch .LBB44_383
.LBB44_381:
                                        ; implicit-def: $vgpr1_vgpr2
.LBB44_382:
	ds_load_b64 v[1:2], v3
.LBB44_383:
	s_and_saveexec_b32 s4, s0
	s_cbranch_execz .LBB44_387
; %bb.384:
	v_add_nc_u32_e32 v8, -6, v0
	s_movk_i32 s5, 0x1a0
	s_mov_b32 s0, 0
.LBB44_385:                             ; =>This Inner Loop Header: Depth=1
	scratch_load_b64 v[9:10], v7, off
	v_dual_mov_b32 v11, s5 :: v_dual_add_nc_u32 v8, -1, v8
	v_add_nc_u32_e32 v7, 8, v7
	s_add_i32 s5, s5, 8
	ds_load_b64 v[11:12], v11
	v_cmp_eq_u32_e32 vcc_lo, 0, v8
	s_or_b32 s0, vcc_lo, s0
	s_waitcnt vmcnt(0) lgkmcnt(0)
	v_fma_f64 v[1:2], v[9:10], v[11:12], v[1:2]
	s_and_not1_b32 exec_lo, exec_lo, s0
	s_cbranch_execnz .LBB44_385
; %bb.386:
	s_or_b32 exec_lo, exec_lo, s0
.LBB44_387:
	s_delay_alu instid0(SALU_CYCLE_1)
	s_or_b32 exec_lo, exec_lo, s4
	v_mov_b32_e32 v7, 0
	ds_load_b64 v[7:8], v7 offset:40
	s_waitcnt lgkmcnt(0)
	v_mul_f64 v[1:2], v[1:2], v[7:8]
	scratch_store_b64 off, v[1:2], off offset:40
.LBB44_388:
	s_or_b32 exec_lo, exec_lo, s2
	scratch_load_b64 v[1:2], off, off offset:32
	v_cmp_lt_u32_e64 s0, 4, v0
	s_waitcnt vmcnt(0)
	ds_store_b64 v3, v[1:2]
	s_waitcnt lgkmcnt(0)
	s_waitcnt_vscnt null, 0x0
	s_barrier
	buffer_gl0_inv
	s_and_saveexec_b32 s2, s0
	s_cbranch_execz .LBB44_398
; %bb.389:
	s_and_not1_b32 vcc_lo, exec_lo, s3
	s_cbranch_vccnz .LBB44_391
; %bb.390:
	scratch_load_b64 v[1:2], v4, off
	ds_load_b64 v[7:8], v3
	s_waitcnt vmcnt(0) lgkmcnt(0)
	v_mul_f64 v[1:2], v[1:2], v[7:8]
	s_cbranch_execz .LBB44_392
	s_branch .LBB44_393
.LBB44_391:
                                        ; implicit-def: $vgpr1_vgpr2
.LBB44_392:
	ds_load_b64 v[1:2], v3
.LBB44_393:
	s_and_saveexec_b32 s4, s1
	s_cbranch_execz .LBB44_397
; %bb.394:
	v_add_nc_u32_e64 v7, 0, 40
	v_add_nc_u32_e32 v8, -5, v0
	s_movk_i32 s5, 0x198
	s_mov_b32 s1, 0
.LBB44_395:                             ; =>This Inner Loop Header: Depth=1
	scratch_load_b64 v[9:10], v7, off
	v_dual_mov_b32 v11, s5 :: v_dual_add_nc_u32 v8, -1, v8
	v_add_nc_u32_e32 v7, 8, v7
	s_add_i32 s5, s5, 8
	ds_load_b64 v[11:12], v11
	v_cmp_eq_u32_e32 vcc_lo, 0, v8
	s_or_b32 s1, vcc_lo, s1
	s_waitcnt vmcnt(0) lgkmcnt(0)
	v_fma_f64 v[1:2], v[9:10], v[11:12], v[1:2]
	s_and_not1_b32 exec_lo, exec_lo, s1
	s_cbranch_execnz .LBB44_395
; %bb.396:
	s_or_b32 exec_lo, exec_lo, s1
.LBB44_397:
	s_delay_alu instid0(SALU_CYCLE_1)
	s_or_b32 exec_lo, exec_lo, s4
	v_mov_b32_e32 v7, 0
	ds_load_b64 v[7:8], v7 offset:32
	s_waitcnt lgkmcnt(0)
	v_mul_f64 v[1:2], v[1:2], v[7:8]
	scratch_store_b64 off, v[1:2], off offset:32
.LBB44_398:
	s_or_b32 exec_lo, exec_lo, s2
	scratch_load_b64 v[1:2], off, off offset:24
	v_cmp_lt_u32_e64 s1, 3, v0
	s_waitcnt vmcnt(0)
	ds_store_b64 v3, v[1:2]
	s_waitcnt lgkmcnt(0)
	s_waitcnt_vscnt null, 0x0
	s_barrier
	buffer_gl0_inv
	s_and_saveexec_b32 s2, s1
	s_cbranch_execz .LBB44_408
; %bb.399:
	s_and_not1_b32 vcc_lo, exec_lo, s3
	s_cbranch_vccnz .LBB44_401
; %bb.400:
	scratch_load_b64 v[1:2], v4, off
	ds_load_b64 v[7:8], v3
	s_waitcnt vmcnt(0) lgkmcnt(0)
	v_mul_f64 v[1:2], v[1:2], v[7:8]
	s_cbranch_execz .LBB44_402
	s_branch .LBB44_403
.LBB44_401:
                                        ; implicit-def: $vgpr1_vgpr2
.LBB44_402:
	ds_load_b64 v[1:2], v3
.LBB44_403:
	s_and_saveexec_b32 s4, s0
	s_cbranch_execz .LBB44_407
; %bb.404:
	v_add_nc_u32_e32 v7, -4, v0
	s_movk_i32 s5, 0x190
	s_mov_b32 s0, 0
.LBB44_405:                             ; =>This Inner Loop Header: Depth=1
	scratch_load_b64 v[8:9], v6, off
	v_dual_mov_b32 v10, s5 :: v_dual_add_nc_u32 v7, -1, v7
	v_add_nc_u32_e32 v6, 8, v6
	s_add_i32 s5, s5, 8
	ds_load_b64 v[10:11], v10
	v_cmp_eq_u32_e32 vcc_lo, 0, v7
	s_or_b32 s0, vcc_lo, s0
	s_waitcnt vmcnt(0) lgkmcnt(0)
	v_fma_f64 v[1:2], v[8:9], v[10:11], v[1:2]
	s_and_not1_b32 exec_lo, exec_lo, s0
	s_cbranch_execnz .LBB44_405
; %bb.406:
	s_or_b32 exec_lo, exec_lo, s0
.LBB44_407:
	s_delay_alu instid0(SALU_CYCLE_1)
	s_or_b32 exec_lo, exec_lo, s4
	v_mov_b32_e32 v6, 0
	ds_load_b64 v[6:7], v6 offset:24
	s_waitcnt lgkmcnt(0)
	v_mul_f64 v[1:2], v[1:2], v[6:7]
	scratch_store_b64 off, v[1:2], off offset:24
.LBB44_408:
	s_or_b32 exec_lo, exec_lo, s2
	scratch_load_b64 v[1:2], off, off offset:16
	v_cmp_lt_u32_e64 s0, 2, v0
	s_waitcnt vmcnt(0)
	ds_store_b64 v3, v[1:2]
	s_waitcnt lgkmcnt(0)
	s_waitcnt_vscnt null, 0x0
	s_barrier
	buffer_gl0_inv
	s_and_saveexec_b32 s2, s0
	s_cbranch_execz .LBB44_418
; %bb.409:
	s_and_not1_b32 vcc_lo, exec_lo, s3
	s_cbranch_vccnz .LBB44_411
; %bb.410:
	scratch_load_b64 v[1:2], v4, off
	ds_load_b64 v[6:7], v3
	s_waitcnt vmcnt(0) lgkmcnt(0)
	v_mul_f64 v[1:2], v[1:2], v[6:7]
	s_cbranch_execz .LBB44_412
	s_branch .LBB44_413
.LBB44_411:
                                        ; implicit-def: $vgpr1_vgpr2
.LBB44_412:
	ds_load_b64 v[1:2], v3
.LBB44_413:
	s_and_saveexec_b32 s4, s1
	s_cbranch_execz .LBB44_417
; %bb.414:
	v_add_nc_u32_e64 v6, 0, 24
	v_add_nc_u32_e32 v7, -3, v0
	s_movk_i32 s5, 0x188
	s_mov_b32 s1, 0
.LBB44_415:                             ; =>This Inner Loop Header: Depth=1
	scratch_load_b64 v[8:9], v6, off
	v_dual_mov_b32 v10, s5 :: v_dual_add_nc_u32 v7, -1, v7
	v_add_nc_u32_e32 v6, 8, v6
	s_add_i32 s5, s5, 8
	ds_load_b64 v[10:11], v10
	v_cmp_eq_u32_e32 vcc_lo, 0, v7
	s_or_b32 s1, vcc_lo, s1
	s_waitcnt vmcnt(0) lgkmcnt(0)
	v_fma_f64 v[1:2], v[8:9], v[10:11], v[1:2]
	s_and_not1_b32 exec_lo, exec_lo, s1
	s_cbranch_execnz .LBB44_415
; %bb.416:
	s_or_b32 exec_lo, exec_lo, s1
.LBB44_417:
	s_delay_alu instid0(SALU_CYCLE_1)
	s_or_b32 exec_lo, exec_lo, s4
	v_mov_b32_e32 v6, 0
	ds_load_b64 v[6:7], v6 offset:16
	s_waitcnt lgkmcnt(0)
	v_mul_f64 v[1:2], v[1:2], v[6:7]
	scratch_store_b64 off, v[1:2], off offset:16
.LBB44_418:
	s_or_b32 exec_lo, exec_lo, s2
	scratch_load_b64 v[1:2], off, off offset:8
	v_cmp_lt_u32_e64 s1, 1, v0
	s_waitcnt vmcnt(0)
	ds_store_b64 v3, v[1:2]
	s_waitcnt lgkmcnt(0)
	s_waitcnt_vscnt null, 0x0
	s_barrier
	buffer_gl0_inv
	s_and_saveexec_b32 s2, s1
	s_cbranch_execz .LBB44_428
; %bb.419:
	s_and_not1_b32 vcc_lo, exec_lo, s3
	s_cbranch_vccnz .LBB44_421
; %bb.420:
	scratch_load_b64 v[1:2], v4, off
	ds_load_b64 v[6:7], v3
	s_waitcnt vmcnt(0) lgkmcnt(0)
	v_mul_f64 v[1:2], v[1:2], v[6:7]
	s_cbranch_execz .LBB44_422
	s_branch .LBB44_423
.LBB44_421:
                                        ; implicit-def: $vgpr1_vgpr2
.LBB44_422:
	ds_load_b64 v[1:2], v3
.LBB44_423:
	s_and_saveexec_b32 s4, s0
	s_cbranch_execz .LBB44_427
; %bb.424:
	v_add_nc_u32_e32 v6, -2, v0
	s_movk_i32 s5, 0x180
	s_mov_b32 s0, 0
.LBB44_425:                             ; =>This Inner Loop Header: Depth=1
	scratch_load_b64 v[7:8], v5, off
	v_dual_mov_b32 v9, s5 :: v_dual_add_nc_u32 v6, -1, v6
	v_add_nc_u32_e32 v5, 8, v5
	s_add_i32 s5, s5, 8
	ds_load_b64 v[9:10], v9
	v_cmp_eq_u32_e32 vcc_lo, 0, v6
	s_or_b32 s0, vcc_lo, s0
	s_waitcnt vmcnt(0) lgkmcnt(0)
	v_fma_f64 v[1:2], v[7:8], v[9:10], v[1:2]
	s_and_not1_b32 exec_lo, exec_lo, s0
	s_cbranch_execnz .LBB44_425
; %bb.426:
	s_or_b32 exec_lo, exec_lo, s0
.LBB44_427:
	s_delay_alu instid0(SALU_CYCLE_1)
	s_or_b32 exec_lo, exec_lo, s4
	v_mov_b32_e32 v5, 0
	ds_load_b64 v[5:6], v5 offset:8
	s_waitcnt lgkmcnt(0)
	v_mul_f64 v[1:2], v[1:2], v[5:6]
	scratch_store_b64 off, v[1:2], off offset:8
.LBB44_428:
	s_or_b32 exec_lo, exec_lo, s2
	scratch_load_b64 v[1:2], off, off
	s_mov_b32 s0, 0
	s_mov_b32 s2, exec_lo
	s_waitcnt vmcnt(0)
	ds_store_b64 v3, v[1:2]
	s_waitcnt lgkmcnt(0)
	s_waitcnt_vscnt null, 0x0
	s_barrier
	buffer_gl0_inv
	v_cmpx_ne_u32_e32 0, v0
	s_cbranch_execz .LBB44_438
; %bb.429:
	s_and_not1_b32 vcc_lo, exec_lo, s3
	s_cbranch_vccnz .LBB44_431
; %bb.430:
	scratch_load_b64 v[1:2], v4, off
	ds_load_b64 v[5:6], v3
	s_waitcnt vmcnt(0) lgkmcnt(0)
	v_mul_f64 v[1:2], v[1:2], v[5:6]
	s_cbranch_execz .LBB44_432
	s_branch .LBB44_433
.LBB44_431:
                                        ; implicit-def: $vgpr1_vgpr2
.LBB44_432:
	ds_load_b64 v[1:2], v3
.LBB44_433:
	s_and_saveexec_b32 s4, s1
	s_cbranch_execz .LBB44_437
; %bb.434:
	v_or_b32_e64 v5, 0, 8
	v_add_nc_u32_e32 v6, -1, v0
	s_movk_i32 s5, 0x178
	s_mov_b32 s1, 0
.LBB44_435:                             ; =>This Inner Loop Header: Depth=1
	scratch_load_b64 v[7:8], v5, off
	v_dual_mov_b32 v9, s5 :: v_dual_add_nc_u32 v6, -1, v6
	v_add_nc_u32_e32 v5, 8, v5
	s_add_i32 s5, s5, 8
	ds_load_b64 v[9:10], v9
	v_cmp_eq_u32_e32 vcc_lo, 0, v6
	s_or_b32 s1, vcc_lo, s1
	s_waitcnt vmcnt(0) lgkmcnt(0)
	v_fma_f64 v[1:2], v[7:8], v[9:10], v[1:2]
	s_and_not1_b32 exec_lo, exec_lo, s1
	s_cbranch_execnz .LBB44_435
; %bb.436:
	s_or_b32 exec_lo, exec_lo, s1
.LBB44_437:
	s_delay_alu instid0(SALU_CYCLE_1)
	s_or_b32 exec_lo, exec_lo, s4
	v_mov_b32_e32 v5, 0
	ds_load_b64 v[5:6], v5
	s_waitcnt lgkmcnt(0)
	v_mul_f64 v[1:2], v[1:2], v[5:6]
	scratch_store_b64 off, v[1:2], off
.LBB44_438:
	s_or_b32 exec_lo, exec_lo, s2
.LBB44_439:
	s_delay_alu instid0(SALU_CYCLE_1)
	s_and_b32 vcc_lo, exec_lo, s0
	s_cbranch_vccz .LBB44_875
; %bb.440:
	scratch_load_b64 v[1:2], off, off offset:8
	v_cmp_eq_u32_e64 s0, 0, v0
	s_waitcnt vmcnt(0)
	ds_store_b64 v3, v[1:2]
	s_waitcnt lgkmcnt(0)
	s_waitcnt_vscnt null, 0x0
	s_barrier
	buffer_gl0_inv
	s_and_saveexec_b32 s1, s0
	s_cbranch_execz .LBB44_446
; %bb.441:
	s_and_b32 vcc_lo, exec_lo, s3
	s_cbranch_vccz .LBB44_443
; %bb.442:
	scratch_load_b64 v[1:2], v4, off
	ds_load_b64 v[5:6], v3
	s_waitcnt vmcnt(0) lgkmcnt(0)
	v_mul_f64 v[1:2], v[1:2], v[5:6]
	s_cbranch_execz .LBB44_444
	s_branch .LBB44_445
.LBB44_443:
                                        ; implicit-def: $vgpr1_vgpr2
.LBB44_444:
	ds_load_b64 v[1:2], v3
.LBB44_445:
	v_mov_b32_e32 v5, 0
	ds_load_b64 v[5:6], v5 offset:8
	s_waitcnt lgkmcnt(0)
	v_mul_f64 v[1:2], v[1:2], v[5:6]
	scratch_store_b64 off, v[1:2], off offset:8
.LBB44_446:
	s_or_b32 exec_lo, exec_lo, s1
	scratch_load_b64 v[1:2], off, off offset:16
	v_cndmask_b32_e64 v5, 0, 1, s3
	s_mov_b32 s1, exec_lo
	s_waitcnt vmcnt(0)
	ds_store_b64 v3, v[1:2]
	s_waitcnt lgkmcnt(0)
	s_waitcnt_vscnt null, 0x0
	s_barrier
	buffer_gl0_inv
	v_cmpx_gt_u32_e32 2, v0
	s_cbranch_execz .LBB44_454
; %bb.447:
	s_and_not1_b32 vcc_lo, exec_lo, s3
	s_cbranch_vccnz .LBB44_449
; %bb.448:
	scratch_load_b64 v[1:2], v4, off
	ds_load_b64 v[6:7], v3
	s_waitcnt vmcnt(0) lgkmcnt(0)
	v_mul_f64 v[1:2], v[1:2], v[6:7]
	s_cbranch_execz .LBB44_450
	s_branch .LBB44_451
.LBB44_449:
                                        ; implicit-def: $vgpr1_vgpr2
.LBB44_450:
	ds_load_b64 v[1:2], v3
.LBB44_451:
	s_and_saveexec_b32 s2, s0
	s_cbranch_execz .LBB44_453
; %bb.452:
	scratch_load_b64 v[6:7], v4, off offset:8
	ds_load_b64 v[8:9], v3 offset:8
	s_waitcnt vmcnt(0) lgkmcnt(0)
	v_fma_f64 v[1:2], v[6:7], v[8:9], v[1:2]
.LBB44_453:
	s_or_b32 exec_lo, exec_lo, s2
	v_mov_b32_e32 v6, 0
	ds_load_b64 v[6:7], v6 offset:16
	s_waitcnt lgkmcnt(0)
	v_mul_f64 v[1:2], v[1:2], v[6:7]
	scratch_store_b64 off, v[1:2], off offset:16
.LBB44_454:
	s_or_b32 exec_lo, exec_lo, s1
	scratch_load_b64 v[1:2], off, off offset:24
	s_mov_b32 s1, exec_lo
	s_waitcnt vmcnt(0)
	ds_store_b64 v3, v[1:2]
	s_waitcnt lgkmcnt(0)
	s_waitcnt_vscnt null, 0x0
	s_barrier
	buffer_gl0_inv
	v_cmpx_gt_u32_e32 3, v0
	s_cbranch_execz .LBB44_464
; %bb.455:
	v_cmp_ne_u32_e32 vcc_lo, 1, v5
	s_cbranch_vccnz .LBB44_457
; %bb.456:
	scratch_load_b64 v[1:2], v4, off
	ds_load_b64 v[6:7], v3
	s_waitcnt vmcnt(0) lgkmcnt(0)
	v_mul_f64 v[1:2], v[1:2], v[6:7]
	s_cbranch_execz .LBB44_458
	s_branch .LBB44_459
.LBB44_457:
                                        ; implicit-def: $vgpr1_vgpr2
.LBB44_458:
	ds_load_b64 v[1:2], v3
.LBB44_459:
	s_mov_b32 s2, exec_lo
	v_cmpx_ne_u32_e32 2, v0
	s_cbranch_execz .LBB44_463
; %bb.460:
	scratch_load_b64 v[6:7], v4, off offset:8
	ds_load_b64 v[8:9], v3 offset:8
	s_waitcnt vmcnt(0) lgkmcnt(0)
	v_fma_f64 v[1:2], v[6:7], v[8:9], v[1:2]
	s_and_saveexec_b32 s3, s0
	s_cbranch_execz .LBB44_462
; %bb.461:
	scratch_load_b64 v[6:7], off, off offset:16
	v_mov_b32_e32 v8, 0
	ds_load_b64 v[8:9], v8 offset:384
	s_waitcnt vmcnt(0) lgkmcnt(0)
	v_fma_f64 v[1:2], v[6:7], v[8:9], v[1:2]
.LBB44_462:
	s_or_b32 exec_lo, exec_lo, s3
.LBB44_463:
	s_delay_alu instid0(SALU_CYCLE_1)
	s_or_b32 exec_lo, exec_lo, s2
	v_mov_b32_e32 v6, 0
	ds_load_b64 v[6:7], v6 offset:24
	s_waitcnt lgkmcnt(0)
	v_mul_f64 v[1:2], v[1:2], v[6:7]
	scratch_store_b64 off, v[1:2], off offset:24
.LBB44_464:
	s_or_b32 exec_lo, exec_lo, s1
	scratch_load_b64 v[1:2], off, off offset:32
	s_mov_b32 s0, exec_lo
	s_waitcnt vmcnt(0)
	ds_store_b64 v3, v[1:2]
	s_waitcnt lgkmcnt(0)
	s_waitcnt_vscnt null, 0x0
	s_barrier
	buffer_gl0_inv
	v_cmpx_gt_u32_e32 4, v0
	s_cbranch_execz .LBB44_474
; %bb.465:
	v_cmp_ne_u32_e32 vcc_lo, 1, v5
	s_cbranch_vccnz .LBB44_467
; %bb.466:
	scratch_load_b64 v[1:2], v4, off
	ds_load_b64 v[6:7], v3
	s_waitcnt vmcnt(0) lgkmcnt(0)
	v_mul_f64 v[1:2], v[1:2], v[6:7]
	s_cbranch_execz .LBB44_468
	s_branch .LBB44_469
.LBB44_467:
                                        ; implicit-def: $vgpr1_vgpr2
.LBB44_468:
	ds_load_b64 v[1:2], v3
.LBB44_469:
	s_mov_b32 s1, exec_lo
	v_cmpx_ne_u32_e32 3, v0
	s_cbranch_execz .LBB44_473
; %bb.470:
	v_add_nc_u32_e32 v6, 0x178, v135
	v_add3_u32 v7, 0, v135, 8
	v_mov_b32_e32 v8, v0
	s_mov_b32 s2, 0
.LBB44_471:                             ; =>This Inner Loop Header: Depth=1
	scratch_load_b64 v[9:10], v7, off
	ds_load_b64 v[11:12], v6
	v_add_nc_u32_e32 v8, 1, v8
	v_add_nc_u32_e32 v6, 8, v6
	v_add_nc_u32_e32 v7, 8, v7
	s_delay_alu instid0(VALU_DEP_3)
	v_cmp_lt_u32_e32 vcc_lo, 2, v8
	s_or_b32 s2, vcc_lo, s2
	s_waitcnt vmcnt(0) lgkmcnt(0)
	v_fma_f64 v[1:2], v[9:10], v[11:12], v[1:2]
	s_and_not1_b32 exec_lo, exec_lo, s2
	s_cbranch_execnz .LBB44_471
; %bb.472:
	s_or_b32 exec_lo, exec_lo, s2
.LBB44_473:
	s_delay_alu instid0(SALU_CYCLE_1)
	s_or_b32 exec_lo, exec_lo, s1
	v_mov_b32_e32 v6, 0
	ds_load_b64 v[6:7], v6 offset:32
	s_waitcnt lgkmcnt(0)
	v_mul_f64 v[1:2], v[1:2], v[6:7]
	scratch_store_b64 off, v[1:2], off offset:32
.LBB44_474:
	s_or_b32 exec_lo, exec_lo, s0
	scratch_load_b64 v[1:2], off, off offset:40
	s_mov_b32 s0, exec_lo
	s_waitcnt vmcnt(0)
	ds_store_b64 v3, v[1:2]
	s_waitcnt lgkmcnt(0)
	s_waitcnt_vscnt null, 0x0
	s_barrier
	buffer_gl0_inv
	v_cmpx_gt_u32_e32 5, v0
	s_cbranch_execz .LBB44_484
; %bb.475:
	v_cmp_ne_u32_e32 vcc_lo, 1, v5
	s_cbranch_vccnz .LBB44_477
; %bb.476:
	scratch_load_b64 v[1:2], v4, off
	ds_load_b64 v[6:7], v3
	s_waitcnt vmcnt(0) lgkmcnt(0)
	v_mul_f64 v[1:2], v[1:2], v[6:7]
	s_cbranch_execz .LBB44_478
	s_branch .LBB44_479
.LBB44_477:
                                        ; implicit-def: $vgpr1_vgpr2
.LBB44_478:
	ds_load_b64 v[1:2], v3
.LBB44_479:
	s_mov_b32 s1, exec_lo
	v_cmpx_ne_u32_e32 4, v0
	s_cbranch_execz .LBB44_483
; %bb.480:
	v_add_nc_u32_e32 v6, 0x178, v135
	v_add3_u32 v7, 0, v135, 8
	v_mov_b32_e32 v8, v0
	s_mov_b32 s2, 0
.LBB44_481:                             ; =>This Inner Loop Header: Depth=1
	scratch_load_b64 v[9:10], v7, off
	ds_load_b64 v[11:12], v6
	v_add_nc_u32_e32 v8, 1, v8
	v_add_nc_u32_e32 v6, 8, v6
	v_add_nc_u32_e32 v7, 8, v7
	s_delay_alu instid0(VALU_DEP_3)
	v_cmp_lt_u32_e32 vcc_lo, 3, v8
	s_or_b32 s2, vcc_lo, s2
	s_waitcnt vmcnt(0) lgkmcnt(0)
	v_fma_f64 v[1:2], v[9:10], v[11:12], v[1:2]
	s_and_not1_b32 exec_lo, exec_lo, s2
	s_cbranch_execnz .LBB44_481
; %bb.482:
	s_or_b32 exec_lo, exec_lo, s2
.LBB44_483:
	s_delay_alu instid0(SALU_CYCLE_1)
	s_or_b32 exec_lo, exec_lo, s1
	v_mov_b32_e32 v6, 0
	ds_load_b64 v[6:7], v6 offset:40
	s_waitcnt lgkmcnt(0)
	v_mul_f64 v[1:2], v[1:2], v[6:7]
	scratch_store_b64 off, v[1:2], off offset:40
.LBB44_484:
	s_or_b32 exec_lo, exec_lo, s0
	scratch_load_b64 v[1:2], off, off offset:48
	s_mov_b32 s0, exec_lo
	s_waitcnt vmcnt(0)
	ds_store_b64 v3, v[1:2]
	s_waitcnt lgkmcnt(0)
	s_waitcnt_vscnt null, 0x0
	s_barrier
	buffer_gl0_inv
	v_cmpx_gt_u32_e32 6, v0
	s_cbranch_execz .LBB44_494
; %bb.485:
	v_cmp_ne_u32_e32 vcc_lo, 1, v5
	s_cbranch_vccnz .LBB44_487
; %bb.486:
	scratch_load_b64 v[1:2], v4, off
	ds_load_b64 v[6:7], v3
	s_waitcnt vmcnt(0) lgkmcnt(0)
	v_mul_f64 v[1:2], v[1:2], v[6:7]
	s_cbranch_execz .LBB44_488
	s_branch .LBB44_489
.LBB44_487:
                                        ; implicit-def: $vgpr1_vgpr2
.LBB44_488:
	ds_load_b64 v[1:2], v3
.LBB44_489:
	s_mov_b32 s1, exec_lo
	v_cmpx_ne_u32_e32 5, v0
	s_cbranch_execz .LBB44_493
; %bb.490:
	v_add_nc_u32_e32 v6, 0x178, v135
	v_add3_u32 v7, 0, v135, 8
	v_mov_b32_e32 v8, v0
	s_mov_b32 s2, 0
.LBB44_491:                             ; =>This Inner Loop Header: Depth=1
	scratch_load_b64 v[9:10], v7, off
	ds_load_b64 v[11:12], v6
	v_add_nc_u32_e32 v8, 1, v8
	v_add_nc_u32_e32 v6, 8, v6
	v_add_nc_u32_e32 v7, 8, v7
	s_delay_alu instid0(VALU_DEP_3)
	v_cmp_lt_u32_e32 vcc_lo, 4, v8
	s_or_b32 s2, vcc_lo, s2
	s_waitcnt vmcnt(0) lgkmcnt(0)
	v_fma_f64 v[1:2], v[9:10], v[11:12], v[1:2]
	s_and_not1_b32 exec_lo, exec_lo, s2
	s_cbranch_execnz .LBB44_491
; %bb.492:
	s_or_b32 exec_lo, exec_lo, s2
.LBB44_493:
	s_delay_alu instid0(SALU_CYCLE_1)
	s_or_b32 exec_lo, exec_lo, s1
	v_mov_b32_e32 v6, 0
	ds_load_b64 v[6:7], v6 offset:48
	s_waitcnt lgkmcnt(0)
	v_mul_f64 v[1:2], v[1:2], v[6:7]
	scratch_store_b64 off, v[1:2], off offset:48
.LBB44_494:
	s_or_b32 exec_lo, exec_lo, s0
	scratch_load_b64 v[1:2], off, off offset:56
	s_mov_b32 s0, exec_lo
	s_waitcnt vmcnt(0)
	ds_store_b64 v3, v[1:2]
	s_waitcnt lgkmcnt(0)
	s_waitcnt_vscnt null, 0x0
	s_barrier
	buffer_gl0_inv
	v_cmpx_gt_u32_e32 7, v0
	s_cbranch_execz .LBB44_504
; %bb.495:
	v_cmp_ne_u32_e32 vcc_lo, 1, v5
	s_cbranch_vccnz .LBB44_497
; %bb.496:
	scratch_load_b64 v[1:2], v4, off
	ds_load_b64 v[6:7], v3
	s_waitcnt vmcnt(0) lgkmcnt(0)
	v_mul_f64 v[1:2], v[1:2], v[6:7]
	s_cbranch_execz .LBB44_498
	s_branch .LBB44_499
.LBB44_497:
                                        ; implicit-def: $vgpr1_vgpr2
.LBB44_498:
	ds_load_b64 v[1:2], v3
.LBB44_499:
	s_mov_b32 s1, exec_lo
	v_cmpx_ne_u32_e32 6, v0
	s_cbranch_execz .LBB44_503
; %bb.500:
	v_add_nc_u32_e32 v6, 0x178, v135
	v_add3_u32 v7, 0, v135, 8
	v_mov_b32_e32 v8, v0
	s_mov_b32 s2, 0
.LBB44_501:                             ; =>This Inner Loop Header: Depth=1
	scratch_load_b64 v[9:10], v7, off
	ds_load_b64 v[11:12], v6
	v_add_nc_u32_e32 v8, 1, v8
	v_add_nc_u32_e32 v6, 8, v6
	v_add_nc_u32_e32 v7, 8, v7
	s_delay_alu instid0(VALU_DEP_3)
	v_cmp_lt_u32_e32 vcc_lo, 5, v8
	s_or_b32 s2, vcc_lo, s2
	s_waitcnt vmcnt(0) lgkmcnt(0)
	v_fma_f64 v[1:2], v[9:10], v[11:12], v[1:2]
	s_and_not1_b32 exec_lo, exec_lo, s2
	s_cbranch_execnz .LBB44_501
; %bb.502:
	s_or_b32 exec_lo, exec_lo, s2
.LBB44_503:
	s_delay_alu instid0(SALU_CYCLE_1)
	s_or_b32 exec_lo, exec_lo, s1
	v_mov_b32_e32 v6, 0
	ds_load_b64 v[6:7], v6 offset:56
	s_waitcnt lgkmcnt(0)
	v_mul_f64 v[1:2], v[1:2], v[6:7]
	scratch_store_b64 off, v[1:2], off offset:56
.LBB44_504:
	s_or_b32 exec_lo, exec_lo, s0
	scratch_load_b64 v[1:2], off, off offset:64
	s_mov_b32 s0, exec_lo
	s_waitcnt vmcnt(0)
	ds_store_b64 v3, v[1:2]
	s_waitcnt lgkmcnt(0)
	s_waitcnt_vscnt null, 0x0
	s_barrier
	buffer_gl0_inv
	v_cmpx_gt_u32_e32 8, v0
	s_cbranch_execz .LBB44_514
; %bb.505:
	v_cmp_ne_u32_e32 vcc_lo, 1, v5
	s_cbranch_vccnz .LBB44_507
; %bb.506:
	scratch_load_b64 v[1:2], v4, off
	ds_load_b64 v[6:7], v3
	s_waitcnt vmcnt(0) lgkmcnt(0)
	v_mul_f64 v[1:2], v[1:2], v[6:7]
	s_cbranch_execz .LBB44_508
	s_branch .LBB44_509
.LBB44_507:
                                        ; implicit-def: $vgpr1_vgpr2
.LBB44_508:
	ds_load_b64 v[1:2], v3
.LBB44_509:
	s_mov_b32 s1, exec_lo
	v_cmpx_ne_u32_e32 7, v0
	s_cbranch_execz .LBB44_513
; %bb.510:
	v_add_nc_u32_e32 v6, 0x178, v135
	v_add3_u32 v7, 0, v135, 8
	v_mov_b32_e32 v8, v0
	s_mov_b32 s2, 0
.LBB44_511:                             ; =>This Inner Loop Header: Depth=1
	scratch_load_b64 v[9:10], v7, off
	ds_load_b64 v[11:12], v6
	v_add_nc_u32_e32 v8, 1, v8
	v_add_nc_u32_e32 v6, 8, v6
	v_add_nc_u32_e32 v7, 8, v7
	s_delay_alu instid0(VALU_DEP_3)
	v_cmp_lt_u32_e32 vcc_lo, 6, v8
	s_or_b32 s2, vcc_lo, s2
	s_waitcnt vmcnt(0) lgkmcnt(0)
	v_fma_f64 v[1:2], v[9:10], v[11:12], v[1:2]
	s_and_not1_b32 exec_lo, exec_lo, s2
	s_cbranch_execnz .LBB44_511
; %bb.512:
	s_or_b32 exec_lo, exec_lo, s2
.LBB44_513:
	s_delay_alu instid0(SALU_CYCLE_1)
	s_or_b32 exec_lo, exec_lo, s1
	v_mov_b32_e32 v6, 0
	ds_load_b64 v[6:7], v6 offset:64
	s_waitcnt lgkmcnt(0)
	v_mul_f64 v[1:2], v[1:2], v[6:7]
	scratch_store_b64 off, v[1:2], off offset:64
.LBB44_514:
	s_or_b32 exec_lo, exec_lo, s0
	scratch_load_b64 v[1:2], off, off offset:72
	s_mov_b32 s0, exec_lo
	s_waitcnt vmcnt(0)
	ds_store_b64 v3, v[1:2]
	s_waitcnt lgkmcnt(0)
	s_waitcnt_vscnt null, 0x0
	s_barrier
	buffer_gl0_inv
	v_cmpx_gt_u32_e32 9, v0
	s_cbranch_execz .LBB44_524
; %bb.515:
	v_cmp_ne_u32_e32 vcc_lo, 1, v5
	s_cbranch_vccnz .LBB44_517
; %bb.516:
	scratch_load_b64 v[1:2], v4, off
	ds_load_b64 v[6:7], v3
	s_waitcnt vmcnt(0) lgkmcnt(0)
	v_mul_f64 v[1:2], v[1:2], v[6:7]
	s_cbranch_execz .LBB44_518
	s_branch .LBB44_519
.LBB44_517:
                                        ; implicit-def: $vgpr1_vgpr2
.LBB44_518:
	ds_load_b64 v[1:2], v3
.LBB44_519:
	s_mov_b32 s1, exec_lo
	v_cmpx_ne_u32_e32 8, v0
	s_cbranch_execz .LBB44_523
; %bb.520:
	v_add_nc_u32_e32 v6, 0x178, v135
	v_add3_u32 v7, 0, v135, 8
	v_mov_b32_e32 v8, v0
	s_mov_b32 s2, 0
.LBB44_521:                             ; =>This Inner Loop Header: Depth=1
	scratch_load_b64 v[9:10], v7, off
	ds_load_b64 v[11:12], v6
	v_add_nc_u32_e32 v8, 1, v8
	v_add_nc_u32_e32 v6, 8, v6
	v_add_nc_u32_e32 v7, 8, v7
	s_delay_alu instid0(VALU_DEP_3)
	v_cmp_lt_u32_e32 vcc_lo, 7, v8
	s_or_b32 s2, vcc_lo, s2
	s_waitcnt vmcnt(0) lgkmcnt(0)
	v_fma_f64 v[1:2], v[9:10], v[11:12], v[1:2]
	s_and_not1_b32 exec_lo, exec_lo, s2
	s_cbranch_execnz .LBB44_521
; %bb.522:
	s_or_b32 exec_lo, exec_lo, s2
.LBB44_523:
	s_delay_alu instid0(SALU_CYCLE_1)
	s_or_b32 exec_lo, exec_lo, s1
	v_mov_b32_e32 v6, 0
	ds_load_b64 v[6:7], v6 offset:72
	s_waitcnt lgkmcnt(0)
	v_mul_f64 v[1:2], v[1:2], v[6:7]
	scratch_store_b64 off, v[1:2], off offset:72
.LBB44_524:
	s_or_b32 exec_lo, exec_lo, s0
	scratch_load_b64 v[1:2], off, off offset:80
	s_mov_b32 s0, exec_lo
	s_waitcnt vmcnt(0)
	ds_store_b64 v3, v[1:2]
	s_waitcnt lgkmcnt(0)
	s_waitcnt_vscnt null, 0x0
	s_barrier
	buffer_gl0_inv
	v_cmpx_gt_u32_e32 10, v0
	s_cbranch_execz .LBB44_534
; %bb.525:
	v_cmp_ne_u32_e32 vcc_lo, 1, v5
	s_cbranch_vccnz .LBB44_527
; %bb.526:
	scratch_load_b64 v[1:2], v4, off
	ds_load_b64 v[6:7], v3
	s_waitcnt vmcnt(0) lgkmcnt(0)
	v_mul_f64 v[1:2], v[1:2], v[6:7]
	s_cbranch_execz .LBB44_528
	s_branch .LBB44_529
.LBB44_527:
                                        ; implicit-def: $vgpr1_vgpr2
.LBB44_528:
	ds_load_b64 v[1:2], v3
.LBB44_529:
	s_mov_b32 s1, exec_lo
	v_cmpx_ne_u32_e32 9, v0
	s_cbranch_execz .LBB44_533
; %bb.530:
	v_add_nc_u32_e32 v6, 0x178, v135
	v_add3_u32 v7, 0, v135, 8
	v_mov_b32_e32 v8, v0
	s_mov_b32 s2, 0
.LBB44_531:                             ; =>This Inner Loop Header: Depth=1
	scratch_load_b64 v[9:10], v7, off
	ds_load_b64 v[11:12], v6
	v_add_nc_u32_e32 v8, 1, v8
	v_add_nc_u32_e32 v6, 8, v6
	v_add_nc_u32_e32 v7, 8, v7
	s_delay_alu instid0(VALU_DEP_3)
	v_cmp_lt_u32_e32 vcc_lo, 8, v8
	s_or_b32 s2, vcc_lo, s2
	s_waitcnt vmcnt(0) lgkmcnt(0)
	v_fma_f64 v[1:2], v[9:10], v[11:12], v[1:2]
	s_and_not1_b32 exec_lo, exec_lo, s2
	s_cbranch_execnz .LBB44_531
; %bb.532:
	s_or_b32 exec_lo, exec_lo, s2
.LBB44_533:
	s_delay_alu instid0(SALU_CYCLE_1)
	s_or_b32 exec_lo, exec_lo, s1
	v_mov_b32_e32 v6, 0
	ds_load_b64 v[6:7], v6 offset:80
	s_waitcnt lgkmcnt(0)
	v_mul_f64 v[1:2], v[1:2], v[6:7]
	scratch_store_b64 off, v[1:2], off offset:80
.LBB44_534:
	s_or_b32 exec_lo, exec_lo, s0
	scratch_load_b64 v[1:2], off, off offset:88
	s_mov_b32 s0, exec_lo
	s_waitcnt vmcnt(0)
	ds_store_b64 v3, v[1:2]
	s_waitcnt lgkmcnt(0)
	s_waitcnt_vscnt null, 0x0
	s_barrier
	buffer_gl0_inv
	v_cmpx_gt_u32_e32 11, v0
	s_cbranch_execz .LBB44_544
; %bb.535:
	v_cmp_ne_u32_e32 vcc_lo, 1, v5
	s_cbranch_vccnz .LBB44_537
; %bb.536:
	scratch_load_b64 v[1:2], v4, off
	ds_load_b64 v[6:7], v3
	s_waitcnt vmcnt(0) lgkmcnt(0)
	v_mul_f64 v[1:2], v[1:2], v[6:7]
	s_cbranch_execz .LBB44_538
	s_branch .LBB44_539
.LBB44_537:
                                        ; implicit-def: $vgpr1_vgpr2
.LBB44_538:
	ds_load_b64 v[1:2], v3
.LBB44_539:
	s_mov_b32 s1, exec_lo
	v_cmpx_ne_u32_e32 10, v0
	s_cbranch_execz .LBB44_543
; %bb.540:
	v_add_nc_u32_e32 v6, 0x178, v135
	v_add3_u32 v7, 0, v135, 8
	v_mov_b32_e32 v8, v0
	s_mov_b32 s2, 0
.LBB44_541:                             ; =>This Inner Loop Header: Depth=1
	scratch_load_b64 v[9:10], v7, off
	ds_load_b64 v[11:12], v6
	v_add_nc_u32_e32 v8, 1, v8
	v_add_nc_u32_e32 v6, 8, v6
	v_add_nc_u32_e32 v7, 8, v7
	s_delay_alu instid0(VALU_DEP_3)
	v_cmp_lt_u32_e32 vcc_lo, 9, v8
	s_or_b32 s2, vcc_lo, s2
	s_waitcnt vmcnt(0) lgkmcnt(0)
	v_fma_f64 v[1:2], v[9:10], v[11:12], v[1:2]
	s_and_not1_b32 exec_lo, exec_lo, s2
	s_cbranch_execnz .LBB44_541
; %bb.542:
	s_or_b32 exec_lo, exec_lo, s2
.LBB44_543:
	s_delay_alu instid0(SALU_CYCLE_1)
	s_or_b32 exec_lo, exec_lo, s1
	v_mov_b32_e32 v6, 0
	ds_load_b64 v[6:7], v6 offset:88
	s_waitcnt lgkmcnt(0)
	v_mul_f64 v[1:2], v[1:2], v[6:7]
	scratch_store_b64 off, v[1:2], off offset:88
.LBB44_544:
	s_or_b32 exec_lo, exec_lo, s0
	scratch_load_b64 v[1:2], off, off offset:96
	s_mov_b32 s0, exec_lo
	s_waitcnt vmcnt(0)
	ds_store_b64 v3, v[1:2]
	s_waitcnt lgkmcnt(0)
	s_waitcnt_vscnt null, 0x0
	s_barrier
	buffer_gl0_inv
	v_cmpx_gt_u32_e32 12, v0
	s_cbranch_execz .LBB44_554
; %bb.545:
	v_cmp_ne_u32_e32 vcc_lo, 1, v5
	s_cbranch_vccnz .LBB44_547
; %bb.546:
	scratch_load_b64 v[1:2], v4, off
	ds_load_b64 v[6:7], v3
	s_waitcnt vmcnt(0) lgkmcnt(0)
	v_mul_f64 v[1:2], v[1:2], v[6:7]
	s_cbranch_execz .LBB44_548
	s_branch .LBB44_549
.LBB44_547:
                                        ; implicit-def: $vgpr1_vgpr2
.LBB44_548:
	ds_load_b64 v[1:2], v3
.LBB44_549:
	s_mov_b32 s1, exec_lo
	v_cmpx_ne_u32_e32 11, v0
	s_cbranch_execz .LBB44_553
; %bb.550:
	v_add_nc_u32_e32 v6, 0x178, v135
	v_add3_u32 v7, 0, v135, 8
	v_mov_b32_e32 v8, v0
	s_mov_b32 s2, 0
.LBB44_551:                             ; =>This Inner Loop Header: Depth=1
	scratch_load_b64 v[9:10], v7, off
	ds_load_b64 v[11:12], v6
	v_add_nc_u32_e32 v8, 1, v8
	v_add_nc_u32_e32 v6, 8, v6
	v_add_nc_u32_e32 v7, 8, v7
	s_delay_alu instid0(VALU_DEP_3)
	v_cmp_lt_u32_e32 vcc_lo, 10, v8
	s_or_b32 s2, vcc_lo, s2
	s_waitcnt vmcnt(0) lgkmcnt(0)
	v_fma_f64 v[1:2], v[9:10], v[11:12], v[1:2]
	s_and_not1_b32 exec_lo, exec_lo, s2
	s_cbranch_execnz .LBB44_551
; %bb.552:
	s_or_b32 exec_lo, exec_lo, s2
.LBB44_553:
	s_delay_alu instid0(SALU_CYCLE_1)
	s_or_b32 exec_lo, exec_lo, s1
	v_mov_b32_e32 v6, 0
	ds_load_b64 v[6:7], v6 offset:96
	s_waitcnt lgkmcnt(0)
	v_mul_f64 v[1:2], v[1:2], v[6:7]
	scratch_store_b64 off, v[1:2], off offset:96
.LBB44_554:
	s_or_b32 exec_lo, exec_lo, s0
	scratch_load_b64 v[1:2], off, off offset:104
	s_mov_b32 s0, exec_lo
	s_waitcnt vmcnt(0)
	ds_store_b64 v3, v[1:2]
	s_waitcnt lgkmcnt(0)
	s_waitcnt_vscnt null, 0x0
	s_barrier
	buffer_gl0_inv
	v_cmpx_gt_u32_e32 13, v0
	s_cbranch_execz .LBB44_564
; %bb.555:
	v_cmp_ne_u32_e32 vcc_lo, 1, v5
	s_cbranch_vccnz .LBB44_557
; %bb.556:
	scratch_load_b64 v[1:2], v4, off
	ds_load_b64 v[6:7], v3
	s_waitcnt vmcnt(0) lgkmcnt(0)
	v_mul_f64 v[1:2], v[1:2], v[6:7]
	s_cbranch_execz .LBB44_558
	s_branch .LBB44_559
.LBB44_557:
                                        ; implicit-def: $vgpr1_vgpr2
.LBB44_558:
	ds_load_b64 v[1:2], v3
.LBB44_559:
	s_mov_b32 s1, exec_lo
	v_cmpx_ne_u32_e32 12, v0
	s_cbranch_execz .LBB44_563
; %bb.560:
	v_add_nc_u32_e32 v6, 0x178, v135
	v_add3_u32 v7, 0, v135, 8
	v_mov_b32_e32 v8, v0
	s_mov_b32 s2, 0
.LBB44_561:                             ; =>This Inner Loop Header: Depth=1
	scratch_load_b64 v[9:10], v7, off
	ds_load_b64 v[11:12], v6
	v_add_nc_u32_e32 v8, 1, v8
	v_add_nc_u32_e32 v6, 8, v6
	v_add_nc_u32_e32 v7, 8, v7
	s_delay_alu instid0(VALU_DEP_3)
	v_cmp_lt_u32_e32 vcc_lo, 11, v8
	s_or_b32 s2, vcc_lo, s2
	s_waitcnt vmcnt(0) lgkmcnt(0)
	v_fma_f64 v[1:2], v[9:10], v[11:12], v[1:2]
	s_and_not1_b32 exec_lo, exec_lo, s2
	s_cbranch_execnz .LBB44_561
; %bb.562:
	s_or_b32 exec_lo, exec_lo, s2
.LBB44_563:
	s_delay_alu instid0(SALU_CYCLE_1)
	s_or_b32 exec_lo, exec_lo, s1
	v_mov_b32_e32 v6, 0
	ds_load_b64 v[6:7], v6 offset:104
	s_waitcnt lgkmcnt(0)
	v_mul_f64 v[1:2], v[1:2], v[6:7]
	scratch_store_b64 off, v[1:2], off offset:104
.LBB44_564:
	s_or_b32 exec_lo, exec_lo, s0
	scratch_load_b64 v[1:2], off, off offset:112
	s_mov_b32 s0, exec_lo
	s_waitcnt vmcnt(0)
	ds_store_b64 v3, v[1:2]
	s_waitcnt lgkmcnt(0)
	s_waitcnt_vscnt null, 0x0
	s_barrier
	buffer_gl0_inv
	v_cmpx_gt_u32_e32 14, v0
	s_cbranch_execz .LBB44_574
; %bb.565:
	v_cmp_ne_u32_e32 vcc_lo, 1, v5
	s_cbranch_vccnz .LBB44_567
; %bb.566:
	scratch_load_b64 v[1:2], v4, off
	ds_load_b64 v[6:7], v3
	s_waitcnt vmcnt(0) lgkmcnt(0)
	v_mul_f64 v[1:2], v[1:2], v[6:7]
	s_cbranch_execz .LBB44_568
	s_branch .LBB44_569
.LBB44_567:
                                        ; implicit-def: $vgpr1_vgpr2
.LBB44_568:
	ds_load_b64 v[1:2], v3
.LBB44_569:
	s_mov_b32 s1, exec_lo
	v_cmpx_ne_u32_e32 13, v0
	s_cbranch_execz .LBB44_573
; %bb.570:
	v_add_nc_u32_e32 v6, 0x178, v135
	v_add3_u32 v7, 0, v135, 8
	v_mov_b32_e32 v8, v0
	s_mov_b32 s2, 0
.LBB44_571:                             ; =>This Inner Loop Header: Depth=1
	scratch_load_b64 v[9:10], v7, off
	ds_load_b64 v[11:12], v6
	v_add_nc_u32_e32 v8, 1, v8
	v_add_nc_u32_e32 v6, 8, v6
	v_add_nc_u32_e32 v7, 8, v7
	s_delay_alu instid0(VALU_DEP_3)
	v_cmp_lt_u32_e32 vcc_lo, 12, v8
	s_or_b32 s2, vcc_lo, s2
	s_waitcnt vmcnt(0) lgkmcnt(0)
	v_fma_f64 v[1:2], v[9:10], v[11:12], v[1:2]
	s_and_not1_b32 exec_lo, exec_lo, s2
	s_cbranch_execnz .LBB44_571
; %bb.572:
	s_or_b32 exec_lo, exec_lo, s2
.LBB44_573:
	s_delay_alu instid0(SALU_CYCLE_1)
	s_or_b32 exec_lo, exec_lo, s1
	v_mov_b32_e32 v6, 0
	ds_load_b64 v[6:7], v6 offset:112
	s_waitcnt lgkmcnt(0)
	v_mul_f64 v[1:2], v[1:2], v[6:7]
	scratch_store_b64 off, v[1:2], off offset:112
.LBB44_574:
	s_or_b32 exec_lo, exec_lo, s0
	scratch_load_b64 v[1:2], off, off offset:120
	s_mov_b32 s0, exec_lo
	s_waitcnt vmcnt(0)
	ds_store_b64 v3, v[1:2]
	s_waitcnt lgkmcnt(0)
	s_waitcnt_vscnt null, 0x0
	s_barrier
	buffer_gl0_inv
	v_cmpx_gt_u32_e32 15, v0
	s_cbranch_execz .LBB44_584
; %bb.575:
	v_cmp_ne_u32_e32 vcc_lo, 1, v5
	s_cbranch_vccnz .LBB44_577
; %bb.576:
	scratch_load_b64 v[1:2], v4, off
	ds_load_b64 v[6:7], v3
	s_waitcnt vmcnt(0) lgkmcnt(0)
	v_mul_f64 v[1:2], v[1:2], v[6:7]
	s_cbranch_execz .LBB44_578
	s_branch .LBB44_579
.LBB44_577:
                                        ; implicit-def: $vgpr1_vgpr2
.LBB44_578:
	ds_load_b64 v[1:2], v3
.LBB44_579:
	s_mov_b32 s1, exec_lo
	v_cmpx_ne_u32_e32 14, v0
	s_cbranch_execz .LBB44_583
; %bb.580:
	v_add_nc_u32_e32 v6, 0x178, v135
	v_add3_u32 v7, 0, v135, 8
	v_mov_b32_e32 v8, v0
	s_mov_b32 s2, 0
.LBB44_581:                             ; =>This Inner Loop Header: Depth=1
	scratch_load_b64 v[9:10], v7, off
	ds_load_b64 v[11:12], v6
	v_add_nc_u32_e32 v8, 1, v8
	v_add_nc_u32_e32 v6, 8, v6
	v_add_nc_u32_e32 v7, 8, v7
	s_delay_alu instid0(VALU_DEP_3)
	v_cmp_lt_u32_e32 vcc_lo, 13, v8
	s_or_b32 s2, vcc_lo, s2
	s_waitcnt vmcnt(0) lgkmcnt(0)
	v_fma_f64 v[1:2], v[9:10], v[11:12], v[1:2]
	s_and_not1_b32 exec_lo, exec_lo, s2
	s_cbranch_execnz .LBB44_581
; %bb.582:
	s_or_b32 exec_lo, exec_lo, s2
.LBB44_583:
	s_delay_alu instid0(SALU_CYCLE_1)
	s_or_b32 exec_lo, exec_lo, s1
	v_mov_b32_e32 v6, 0
	ds_load_b64 v[6:7], v6 offset:120
	s_waitcnt lgkmcnt(0)
	v_mul_f64 v[1:2], v[1:2], v[6:7]
	scratch_store_b64 off, v[1:2], off offset:120
.LBB44_584:
	s_or_b32 exec_lo, exec_lo, s0
	scratch_load_b64 v[1:2], off, off offset:128
	s_mov_b32 s0, exec_lo
	s_waitcnt vmcnt(0)
	ds_store_b64 v3, v[1:2]
	s_waitcnt lgkmcnt(0)
	s_waitcnt_vscnt null, 0x0
	s_barrier
	buffer_gl0_inv
	v_cmpx_gt_u32_e32 16, v0
	s_cbranch_execz .LBB44_594
; %bb.585:
	v_cmp_ne_u32_e32 vcc_lo, 1, v5
	s_cbranch_vccnz .LBB44_587
; %bb.586:
	scratch_load_b64 v[1:2], v4, off
	ds_load_b64 v[6:7], v3
	s_waitcnt vmcnt(0) lgkmcnt(0)
	v_mul_f64 v[1:2], v[1:2], v[6:7]
	s_cbranch_execz .LBB44_588
	s_branch .LBB44_589
.LBB44_587:
                                        ; implicit-def: $vgpr1_vgpr2
.LBB44_588:
	ds_load_b64 v[1:2], v3
.LBB44_589:
	s_mov_b32 s1, exec_lo
	v_cmpx_ne_u32_e32 15, v0
	s_cbranch_execz .LBB44_593
; %bb.590:
	v_add_nc_u32_e32 v6, 0x178, v135
	v_add3_u32 v7, 0, v135, 8
	v_mov_b32_e32 v8, v0
	s_mov_b32 s2, 0
.LBB44_591:                             ; =>This Inner Loop Header: Depth=1
	scratch_load_b64 v[9:10], v7, off
	ds_load_b64 v[11:12], v6
	v_add_nc_u32_e32 v8, 1, v8
	v_add_nc_u32_e32 v6, 8, v6
	v_add_nc_u32_e32 v7, 8, v7
	s_delay_alu instid0(VALU_DEP_3)
	v_cmp_lt_u32_e32 vcc_lo, 14, v8
	s_or_b32 s2, vcc_lo, s2
	s_waitcnt vmcnt(0) lgkmcnt(0)
	v_fma_f64 v[1:2], v[9:10], v[11:12], v[1:2]
	s_and_not1_b32 exec_lo, exec_lo, s2
	s_cbranch_execnz .LBB44_591
; %bb.592:
	s_or_b32 exec_lo, exec_lo, s2
.LBB44_593:
	s_delay_alu instid0(SALU_CYCLE_1)
	s_or_b32 exec_lo, exec_lo, s1
	v_mov_b32_e32 v6, 0
	ds_load_b64 v[6:7], v6 offset:128
	s_waitcnt lgkmcnt(0)
	v_mul_f64 v[1:2], v[1:2], v[6:7]
	scratch_store_b64 off, v[1:2], off offset:128
.LBB44_594:
	s_or_b32 exec_lo, exec_lo, s0
	scratch_load_b64 v[1:2], off, off offset:136
	s_mov_b32 s0, exec_lo
	s_waitcnt vmcnt(0)
	ds_store_b64 v3, v[1:2]
	s_waitcnt lgkmcnt(0)
	s_waitcnt_vscnt null, 0x0
	s_barrier
	buffer_gl0_inv
	v_cmpx_gt_u32_e32 17, v0
	s_cbranch_execz .LBB44_604
; %bb.595:
	v_cmp_ne_u32_e32 vcc_lo, 1, v5
	s_cbranch_vccnz .LBB44_597
; %bb.596:
	scratch_load_b64 v[1:2], v4, off
	ds_load_b64 v[6:7], v3
	s_waitcnt vmcnt(0) lgkmcnt(0)
	v_mul_f64 v[1:2], v[1:2], v[6:7]
	s_cbranch_execz .LBB44_598
	s_branch .LBB44_599
.LBB44_597:
                                        ; implicit-def: $vgpr1_vgpr2
.LBB44_598:
	ds_load_b64 v[1:2], v3
.LBB44_599:
	s_mov_b32 s1, exec_lo
	v_cmpx_ne_u32_e32 16, v0
	s_cbranch_execz .LBB44_603
; %bb.600:
	v_add_nc_u32_e32 v6, 0x178, v135
	v_add3_u32 v7, 0, v135, 8
	v_mov_b32_e32 v8, v0
	s_mov_b32 s2, 0
.LBB44_601:                             ; =>This Inner Loop Header: Depth=1
	scratch_load_b64 v[9:10], v7, off
	ds_load_b64 v[11:12], v6
	v_add_nc_u32_e32 v8, 1, v8
	v_add_nc_u32_e32 v6, 8, v6
	v_add_nc_u32_e32 v7, 8, v7
	s_delay_alu instid0(VALU_DEP_3)
	v_cmp_lt_u32_e32 vcc_lo, 15, v8
	s_or_b32 s2, vcc_lo, s2
	s_waitcnt vmcnt(0) lgkmcnt(0)
	v_fma_f64 v[1:2], v[9:10], v[11:12], v[1:2]
	s_and_not1_b32 exec_lo, exec_lo, s2
	s_cbranch_execnz .LBB44_601
; %bb.602:
	s_or_b32 exec_lo, exec_lo, s2
.LBB44_603:
	s_delay_alu instid0(SALU_CYCLE_1)
	s_or_b32 exec_lo, exec_lo, s1
	v_mov_b32_e32 v6, 0
	ds_load_b64 v[6:7], v6 offset:136
	s_waitcnt lgkmcnt(0)
	v_mul_f64 v[1:2], v[1:2], v[6:7]
	scratch_store_b64 off, v[1:2], off offset:136
.LBB44_604:
	s_or_b32 exec_lo, exec_lo, s0
	scratch_load_b64 v[1:2], off, off offset:144
	s_mov_b32 s0, exec_lo
	s_waitcnt vmcnt(0)
	ds_store_b64 v3, v[1:2]
	s_waitcnt lgkmcnt(0)
	s_waitcnt_vscnt null, 0x0
	s_barrier
	buffer_gl0_inv
	v_cmpx_gt_u32_e32 18, v0
	s_cbranch_execz .LBB44_614
; %bb.605:
	v_cmp_ne_u32_e32 vcc_lo, 1, v5
	s_cbranch_vccnz .LBB44_607
; %bb.606:
	scratch_load_b64 v[1:2], v4, off
	ds_load_b64 v[6:7], v3
	s_waitcnt vmcnt(0) lgkmcnt(0)
	v_mul_f64 v[1:2], v[1:2], v[6:7]
	s_cbranch_execz .LBB44_608
	s_branch .LBB44_609
.LBB44_607:
                                        ; implicit-def: $vgpr1_vgpr2
.LBB44_608:
	ds_load_b64 v[1:2], v3
.LBB44_609:
	s_mov_b32 s1, exec_lo
	v_cmpx_ne_u32_e32 17, v0
	s_cbranch_execz .LBB44_613
; %bb.610:
	v_add_nc_u32_e32 v6, 0x178, v135
	v_add3_u32 v7, 0, v135, 8
	v_mov_b32_e32 v8, v0
	s_mov_b32 s2, 0
.LBB44_611:                             ; =>This Inner Loop Header: Depth=1
	scratch_load_b64 v[9:10], v7, off
	ds_load_b64 v[11:12], v6
	v_add_nc_u32_e32 v8, 1, v8
	v_add_nc_u32_e32 v6, 8, v6
	v_add_nc_u32_e32 v7, 8, v7
	s_delay_alu instid0(VALU_DEP_3)
	v_cmp_lt_u32_e32 vcc_lo, 16, v8
	s_or_b32 s2, vcc_lo, s2
	s_waitcnt vmcnt(0) lgkmcnt(0)
	v_fma_f64 v[1:2], v[9:10], v[11:12], v[1:2]
	s_and_not1_b32 exec_lo, exec_lo, s2
	s_cbranch_execnz .LBB44_611
; %bb.612:
	s_or_b32 exec_lo, exec_lo, s2
.LBB44_613:
	s_delay_alu instid0(SALU_CYCLE_1)
	s_or_b32 exec_lo, exec_lo, s1
	v_mov_b32_e32 v6, 0
	ds_load_b64 v[6:7], v6 offset:144
	s_waitcnt lgkmcnt(0)
	v_mul_f64 v[1:2], v[1:2], v[6:7]
	scratch_store_b64 off, v[1:2], off offset:144
.LBB44_614:
	s_or_b32 exec_lo, exec_lo, s0
	scratch_load_b64 v[1:2], off, off offset:152
	s_mov_b32 s0, exec_lo
	s_waitcnt vmcnt(0)
	ds_store_b64 v3, v[1:2]
	s_waitcnt lgkmcnt(0)
	s_waitcnt_vscnt null, 0x0
	s_barrier
	buffer_gl0_inv
	v_cmpx_gt_u32_e32 19, v0
	s_cbranch_execz .LBB44_624
; %bb.615:
	v_cmp_ne_u32_e32 vcc_lo, 1, v5
	s_cbranch_vccnz .LBB44_617
; %bb.616:
	scratch_load_b64 v[1:2], v4, off
	ds_load_b64 v[6:7], v3
	s_waitcnt vmcnt(0) lgkmcnt(0)
	v_mul_f64 v[1:2], v[1:2], v[6:7]
	s_cbranch_execz .LBB44_618
	s_branch .LBB44_619
.LBB44_617:
                                        ; implicit-def: $vgpr1_vgpr2
.LBB44_618:
	ds_load_b64 v[1:2], v3
.LBB44_619:
	s_mov_b32 s1, exec_lo
	v_cmpx_ne_u32_e32 18, v0
	s_cbranch_execz .LBB44_623
; %bb.620:
	v_add_nc_u32_e32 v6, 0x178, v135
	v_add3_u32 v7, 0, v135, 8
	v_mov_b32_e32 v8, v0
	s_mov_b32 s2, 0
.LBB44_621:                             ; =>This Inner Loop Header: Depth=1
	scratch_load_b64 v[9:10], v7, off
	ds_load_b64 v[11:12], v6
	v_add_nc_u32_e32 v8, 1, v8
	v_add_nc_u32_e32 v6, 8, v6
	v_add_nc_u32_e32 v7, 8, v7
	s_delay_alu instid0(VALU_DEP_3)
	v_cmp_lt_u32_e32 vcc_lo, 17, v8
	s_or_b32 s2, vcc_lo, s2
	s_waitcnt vmcnt(0) lgkmcnt(0)
	v_fma_f64 v[1:2], v[9:10], v[11:12], v[1:2]
	s_and_not1_b32 exec_lo, exec_lo, s2
	s_cbranch_execnz .LBB44_621
; %bb.622:
	s_or_b32 exec_lo, exec_lo, s2
.LBB44_623:
	s_delay_alu instid0(SALU_CYCLE_1)
	s_or_b32 exec_lo, exec_lo, s1
	v_mov_b32_e32 v6, 0
	ds_load_b64 v[6:7], v6 offset:152
	s_waitcnt lgkmcnt(0)
	v_mul_f64 v[1:2], v[1:2], v[6:7]
	scratch_store_b64 off, v[1:2], off offset:152
.LBB44_624:
	s_or_b32 exec_lo, exec_lo, s0
	scratch_load_b64 v[1:2], off, off offset:160
	s_mov_b32 s0, exec_lo
	s_waitcnt vmcnt(0)
	ds_store_b64 v3, v[1:2]
	s_waitcnt lgkmcnt(0)
	s_waitcnt_vscnt null, 0x0
	s_barrier
	buffer_gl0_inv
	v_cmpx_gt_u32_e32 20, v0
	s_cbranch_execz .LBB44_634
; %bb.625:
	v_cmp_ne_u32_e32 vcc_lo, 1, v5
	s_cbranch_vccnz .LBB44_627
; %bb.626:
	scratch_load_b64 v[1:2], v4, off
	ds_load_b64 v[6:7], v3
	s_waitcnt vmcnt(0) lgkmcnt(0)
	v_mul_f64 v[1:2], v[1:2], v[6:7]
	s_cbranch_execz .LBB44_628
	s_branch .LBB44_629
.LBB44_627:
                                        ; implicit-def: $vgpr1_vgpr2
.LBB44_628:
	ds_load_b64 v[1:2], v3
.LBB44_629:
	s_mov_b32 s1, exec_lo
	v_cmpx_ne_u32_e32 19, v0
	s_cbranch_execz .LBB44_633
; %bb.630:
	v_add_nc_u32_e32 v6, 0x178, v135
	v_add3_u32 v7, 0, v135, 8
	v_mov_b32_e32 v8, v0
	s_mov_b32 s2, 0
.LBB44_631:                             ; =>This Inner Loop Header: Depth=1
	scratch_load_b64 v[9:10], v7, off
	ds_load_b64 v[11:12], v6
	v_add_nc_u32_e32 v8, 1, v8
	v_add_nc_u32_e32 v6, 8, v6
	v_add_nc_u32_e32 v7, 8, v7
	s_delay_alu instid0(VALU_DEP_3)
	v_cmp_lt_u32_e32 vcc_lo, 18, v8
	s_or_b32 s2, vcc_lo, s2
	s_waitcnt vmcnt(0) lgkmcnt(0)
	v_fma_f64 v[1:2], v[9:10], v[11:12], v[1:2]
	s_and_not1_b32 exec_lo, exec_lo, s2
	s_cbranch_execnz .LBB44_631
; %bb.632:
	s_or_b32 exec_lo, exec_lo, s2
.LBB44_633:
	s_delay_alu instid0(SALU_CYCLE_1)
	s_or_b32 exec_lo, exec_lo, s1
	v_mov_b32_e32 v6, 0
	ds_load_b64 v[6:7], v6 offset:160
	s_waitcnt lgkmcnt(0)
	v_mul_f64 v[1:2], v[1:2], v[6:7]
	scratch_store_b64 off, v[1:2], off offset:160
.LBB44_634:
	s_or_b32 exec_lo, exec_lo, s0
	scratch_load_b64 v[1:2], off, off offset:168
	s_mov_b32 s0, exec_lo
	s_waitcnt vmcnt(0)
	ds_store_b64 v3, v[1:2]
	s_waitcnt lgkmcnt(0)
	s_waitcnt_vscnt null, 0x0
	s_barrier
	buffer_gl0_inv
	v_cmpx_gt_u32_e32 21, v0
	s_cbranch_execz .LBB44_644
; %bb.635:
	v_cmp_ne_u32_e32 vcc_lo, 1, v5
	s_cbranch_vccnz .LBB44_637
; %bb.636:
	scratch_load_b64 v[1:2], v4, off
	ds_load_b64 v[6:7], v3
	s_waitcnt vmcnt(0) lgkmcnt(0)
	v_mul_f64 v[1:2], v[1:2], v[6:7]
	s_cbranch_execz .LBB44_638
	s_branch .LBB44_639
.LBB44_637:
                                        ; implicit-def: $vgpr1_vgpr2
.LBB44_638:
	ds_load_b64 v[1:2], v3
.LBB44_639:
	s_mov_b32 s1, exec_lo
	v_cmpx_ne_u32_e32 20, v0
	s_cbranch_execz .LBB44_643
; %bb.640:
	v_add_nc_u32_e32 v6, 0x178, v135
	v_add3_u32 v7, 0, v135, 8
	v_mov_b32_e32 v8, v0
	s_mov_b32 s2, 0
.LBB44_641:                             ; =>This Inner Loop Header: Depth=1
	scratch_load_b64 v[9:10], v7, off
	ds_load_b64 v[11:12], v6
	v_add_nc_u32_e32 v8, 1, v8
	v_add_nc_u32_e32 v6, 8, v6
	v_add_nc_u32_e32 v7, 8, v7
	s_delay_alu instid0(VALU_DEP_3)
	v_cmp_lt_u32_e32 vcc_lo, 19, v8
	s_or_b32 s2, vcc_lo, s2
	s_waitcnt vmcnt(0) lgkmcnt(0)
	v_fma_f64 v[1:2], v[9:10], v[11:12], v[1:2]
	s_and_not1_b32 exec_lo, exec_lo, s2
	s_cbranch_execnz .LBB44_641
; %bb.642:
	s_or_b32 exec_lo, exec_lo, s2
.LBB44_643:
	s_delay_alu instid0(SALU_CYCLE_1)
	s_or_b32 exec_lo, exec_lo, s1
	v_mov_b32_e32 v6, 0
	ds_load_b64 v[6:7], v6 offset:168
	s_waitcnt lgkmcnt(0)
	v_mul_f64 v[1:2], v[1:2], v[6:7]
	scratch_store_b64 off, v[1:2], off offset:168
.LBB44_644:
	s_or_b32 exec_lo, exec_lo, s0
	scratch_load_b64 v[1:2], off, off offset:176
	s_mov_b32 s0, exec_lo
	s_waitcnt vmcnt(0)
	ds_store_b64 v3, v[1:2]
	s_waitcnt lgkmcnt(0)
	s_waitcnt_vscnt null, 0x0
	s_barrier
	buffer_gl0_inv
	v_cmpx_gt_u32_e32 22, v0
	s_cbranch_execz .LBB44_654
; %bb.645:
	v_cmp_ne_u32_e32 vcc_lo, 1, v5
	s_cbranch_vccnz .LBB44_647
; %bb.646:
	scratch_load_b64 v[1:2], v4, off
	ds_load_b64 v[6:7], v3
	s_waitcnt vmcnt(0) lgkmcnt(0)
	v_mul_f64 v[1:2], v[1:2], v[6:7]
	s_cbranch_execz .LBB44_648
	s_branch .LBB44_649
.LBB44_647:
                                        ; implicit-def: $vgpr1_vgpr2
.LBB44_648:
	ds_load_b64 v[1:2], v3
.LBB44_649:
	s_mov_b32 s1, exec_lo
	v_cmpx_ne_u32_e32 21, v0
	s_cbranch_execz .LBB44_653
; %bb.650:
	v_add_nc_u32_e32 v6, 0x178, v135
	v_add3_u32 v7, 0, v135, 8
	v_mov_b32_e32 v8, v0
	s_mov_b32 s2, 0
.LBB44_651:                             ; =>This Inner Loop Header: Depth=1
	scratch_load_b64 v[9:10], v7, off
	ds_load_b64 v[11:12], v6
	v_add_nc_u32_e32 v8, 1, v8
	v_add_nc_u32_e32 v6, 8, v6
	v_add_nc_u32_e32 v7, 8, v7
	s_delay_alu instid0(VALU_DEP_3)
	v_cmp_lt_u32_e32 vcc_lo, 20, v8
	s_or_b32 s2, vcc_lo, s2
	s_waitcnt vmcnt(0) lgkmcnt(0)
	v_fma_f64 v[1:2], v[9:10], v[11:12], v[1:2]
	s_and_not1_b32 exec_lo, exec_lo, s2
	s_cbranch_execnz .LBB44_651
; %bb.652:
	s_or_b32 exec_lo, exec_lo, s2
.LBB44_653:
	s_delay_alu instid0(SALU_CYCLE_1)
	s_or_b32 exec_lo, exec_lo, s1
	v_mov_b32_e32 v6, 0
	ds_load_b64 v[6:7], v6 offset:176
	s_waitcnt lgkmcnt(0)
	v_mul_f64 v[1:2], v[1:2], v[6:7]
	scratch_store_b64 off, v[1:2], off offset:176
.LBB44_654:
	s_or_b32 exec_lo, exec_lo, s0
	scratch_load_b64 v[1:2], off, off offset:184
	s_mov_b32 s0, exec_lo
	s_waitcnt vmcnt(0)
	ds_store_b64 v3, v[1:2]
	s_waitcnt lgkmcnt(0)
	s_waitcnt_vscnt null, 0x0
	s_barrier
	buffer_gl0_inv
	v_cmpx_gt_u32_e32 23, v0
	s_cbranch_execz .LBB44_664
; %bb.655:
	v_cmp_ne_u32_e32 vcc_lo, 1, v5
	s_cbranch_vccnz .LBB44_657
; %bb.656:
	scratch_load_b64 v[1:2], v4, off
	ds_load_b64 v[6:7], v3
	s_waitcnt vmcnt(0) lgkmcnt(0)
	v_mul_f64 v[1:2], v[1:2], v[6:7]
	s_cbranch_execz .LBB44_658
	s_branch .LBB44_659
.LBB44_657:
                                        ; implicit-def: $vgpr1_vgpr2
.LBB44_658:
	ds_load_b64 v[1:2], v3
.LBB44_659:
	s_mov_b32 s1, exec_lo
	v_cmpx_ne_u32_e32 22, v0
	s_cbranch_execz .LBB44_663
; %bb.660:
	v_add_nc_u32_e32 v6, 0x178, v135
	v_add3_u32 v7, 0, v135, 8
	v_mov_b32_e32 v8, v0
	s_mov_b32 s2, 0
.LBB44_661:                             ; =>This Inner Loop Header: Depth=1
	scratch_load_b64 v[9:10], v7, off
	ds_load_b64 v[11:12], v6
	v_add_nc_u32_e32 v8, 1, v8
	v_add_nc_u32_e32 v6, 8, v6
	v_add_nc_u32_e32 v7, 8, v7
	s_delay_alu instid0(VALU_DEP_3)
	v_cmp_lt_u32_e32 vcc_lo, 21, v8
	s_or_b32 s2, vcc_lo, s2
	s_waitcnt vmcnt(0) lgkmcnt(0)
	v_fma_f64 v[1:2], v[9:10], v[11:12], v[1:2]
	s_and_not1_b32 exec_lo, exec_lo, s2
	s_cbranch_execnz .LBB44_661
; %bb.662:
	s_or_b32 exec_lo, exec_lo, s2
.LBB44_663:
	s_delay_alu instid0(SALU_CYCLE_1)
	s_or_b32 exec_lo, exec_lo, s1
	v_mov_b32_e32 v6, 0
	ds_load_b64 v[6:7], v6 offset:184
	s_waitcnt lgkmcnt(0)
	v_mul_f64 v[1:2], v[1:2], v[6:7]
	scratch_store_b64 off, v[1:2], off offset:184
.LBB44_664:
	s_or_b32 exec_lo, exec_lo, s0
	scratch_load_b64 v[1:2], off, off offset:192
	s_mov_b32 s0, exec_lo
	s_waitcnt vmcnt(0)
	ds_store_b64 v3, v[1:2]
	s_waitcnt lgkmcnt(0)
	s_waitcnt_vscnt null, 0x0
	s_barrier
	buffer_gl0_inv
	v_cmpx_gt_u32_e32 24, v0
	s_cbranch_execz .LBB44_674
; %bb.665:
	v_cmp_ne_u32_e32 vcc_lo, 1, v5
	s_cbranch_vccnz .LBB44_667
; %bb.666:
	scratch_load_b64 v[1:2], v4, off
	ds_load_b64 v[6:7], v3
	s_waitcnt vmcnt(0) lgkmcnt(0)
	v_mul_f64 v[1:2], v[1:2], v[6:7]
	s_cbranch_execz .LBB44_668
	s_branch .LBB44_669
.LBB44_667:
                                        ; implicit-def: $vgpr1_vgpr2
.LBB44_668:
	ds_load_b64 v[1:2], v3
.LBB44_669:
	s_mov_b32 s1, exec_lo
	v_cmpx_ne_u32_e32 23, v0
	s_cbranch_execz .LBB44_673
; %bb.670:
	v_add_nc_u32_e32 v6, 0x178, v135
	v_add3_u32 v7, 0, v135, 8
	v_mov_b32_e32 v8, v0
	s_mov_b32 s2, 0
.LBB44_671:                             ; =>This Inner Loop Header: Depth=1
	scratch_load_b64 v[9:10], v7, off
	ds_load_b64 v[11:12], v6
	v_add_nc_u32_e32 v8, 1, v8
	v_add_nc_u32_e32 v6, 8, v6
	v_add_nc_u32_e32 v7, 8, v7
	s_delay_alu instid0(VALU_DEP_3)
	v_cmp_lt_u32_e32 vcc_lo, 22, v8
	s_or_b32 s2, vcc_lo, s2
	s_waitcnt vmcnt(0) lgkmcnt(0)
	v_fma_f64 v[1:2], v[9:10], v[11:12], v[1:2]
	s_and_not1_b32 exec_lo, exec_lo, s2
	s_cbranch_execnz .LBB44_671
; %bb.672:
	s_or_b32 exec_lo, exec_lo, s2
.LBB44_673:
	s_delay_alu instid0(SALU_CYCLE_1)
	s_or_b32 exec_lo, exec_lo, s1
	v_mov_b32_e32 v6, 0
	ds_load_b64 v[6:7], v6 offset:192
	s_waitcnt lgkmcnt(0)
	v_mul_f64 v[1:2], v[1:2], v[6:7]
	scratch_store_b64 off, v[1:2], off offset:192
.LBB44_674:
	s_or_b32 exec_lo, exec_lo, s0
	scratch_load_b64 v[1:2], off, off offset:200
	s_mov_b32 s0, exec_lo
	s_waitcnt vmcnt(0)
	ds_store_b64 v3, v[1:2]
	s_waitcnt lgkmcnt(0)
	s_waitcnt_vscnt null, 0x0
	s_barrier
	buffer_gl0_inv
	v_cmpx_gt_u32_e32 25, v0
	s_cbranch_execz .LBB44_684
; %bb.675:
	v_cmp_ne_u32_e32 vcc_lo, 1, v5
	s_cbranch_vccnz .LBB44_677
; %bb.676:
	scratch_load_b64 v[1:2], v4, off
	ds_load_b64 v[6:7], v3
	s_waitcnt vmcnt(0) lgkmcnt(0)
	v_mul_f64 v[1:2], v[1:2], v[6:7]
	s_cbranch_execz .LBB44_678
	s_branch .LBB44_679
.LBB44_677:
                                        ; implicit-def: $vgpr1_vgpr2
.LBB44_678:
	ds_load_b64 v[1:2], v3
.LBB44_679:
	s_mov_b32 s1, exec_lo
	v_cmpx_ne_u32_e32 24, v0
	s_cbranch_execz .LBB44_683
; %bb.680:
	v_add_nc_u32_e32 v6, 0x178, v135
	v_add3_u32 v7, 0, v135, 8
	v_mov_b32_e32 v8, v0
	s_mov_b32 s2, 0
.LBB44_681:                             ; =>This Inner Loop Header: Depth=1
	scratch_load_b64 v[9:10], v7, off
	ds_load_b64 v[11:12], v6
	v_add_nc_u32_e32 v8, 1, v8
	v_add_nc_u32_e32 v6, 8, v6
	v_add_nc_u32_e32 v7, 8, v7
	s_delay_alu instid0(VALU_DEP_3)
	v_cmp_lt_u32_e32 vcc_lo, 23, v8
	s_or_b32 s2, vcc_lo, s2
	s_waitcnt vmcnt(0) lgkmcnt(0)
	v_fma_f64 v[1:2], v[9:10], v[11:12], v[1:2]
	s_and_not1_b32 exec_lo, exec_lo, s2
	s_cbranch_execnz .LBB44_681
; %bb.682:
	s_or_b32 exec_lo, exec_lo, s2
.LBB44_683:
	s_delay_alu instid0(SALU_CYCLE_1)
	s_or_b32 exec_lo, exec_lo, s1
	v_mov_b32_e32 v6, 0
	ds_load_b64 v[6:7], v6 offset:200
	s_waitcnt lgkmcnt(0)
	v_mul_f64 v[1:2], v[1:2], v[6:7]
	scratch_store_b64 off, v[1:2], off offset:200
.LBB44_684:
	s_or_b32 exec_lo, exec_lo, s0
	scratch_load_b64 v[1:2], off, off offset:208
	s_mov_b32 s0, exec_lo
	s_waitcnt vmcnt(0)
	ds_store_b64 v3, v[1:2]
	s_waitcnt lgkmcnt(0)
	s_waitcnt_vscnt null, 0x0
	s_barrier
	buffer_gl0_inv
	v_cmpx_gt_u32_e32 26, v0
	s_cbranch_execz .LBB44_694
; %bb.685:
	v_cmp_ne_u32_e32 vcc_lo, 1, v5
	s_cbranch_vccnz .LBB44_687
; %bb.686:
	scratch_load_b64 v[1:2], v4, off
	ds_load_b64 v[6:7], v3
	s_waitcnt vmcnt(0) lgkmcnt(0)
	v_mul_f64 v[1:2], v[1:2], v[6:7]
	s_cbranch_execz .LBB44_688
	s_branch .LBB44_689
.LBB44_687:
                                        ; implicit-def: $vgpr1_vgpr2
.LBB44_688:
	ds_load_b64 v[1:2], v3
.LBB44_689:
	s_mov_b32 s1, exec_lo
	v_cmpx_ne_u32_e32 25, v0
	s_cbranch_execz .LBB44_693
; %bb.690:
	v_add_nc_u32_e32 v6, 0x178, v135
	v_add3_u32 v7, 0, v135, 8
	v_mov_b32_e32 v8, v0
	s_mov_b32 s2, 0
.LBB44_691:                             ; =>This Inner Loop Header: Depth=1
	scratch_load_b64 v[9:10], v7, off
	ds_load_b64 v[11:12], v6
	v_add_nc_u32_e32 v8, 1, v8
	v_add_nc_u32_e32 v6, 8, v6
	v_add_nc_u32_e32 v7, 8, v7
	s_delay_alu instid0(VALU_DEP_3)
	v_cmp_lt_u32_e32 vcc_lo, 24, v8
	s_or_b32 s2, vcc_lo, s2
	s_waitcnt vmcnt(0) lgkmcnt(0)
	v_fma_f64 v[1:2], v[9:10], v[11:12], v[1:2]
	s_and_not1_b32 exec_lo, exec_lo, s2
	s_cbranch_execnz .LBB44_691
; %bb.692:
	s_or_b32 exec_lo, exec_lo, s2
.LBB44_693:
	s_delay_alu instid0(SALU_CYCLE_1)
	s_or_b32 exec_lo, exec_lo, s1
	v_mov_b32_e32 v6, 0
	ds_load_b64 v[6:7], v6 offset:208
	s_waitcnt lgkmcnt(0)
	v_mul_f64 v[1:2], v[1:2], v[6:7]
	scratch_store_b64 off, v[1:2], off offset:208
.LBB44_694:
	s_or_b32 exec_lo, exec_lo, s0
	scratch_load_b64 v[1:2], off, off offset:216
	s_mov_b32 s0, exec_lo
	s_waitcnt vmcnt(0)
	ds_store_b64 v3, v[1:2]
	s_waitcnt lgkmcnt(0)
	s_waitcnt_vscnt null, 0x0
	s_barrier
	buffer_gl0_inv
	v_cmpx_gt_u32_e32 27, v0
	s_cbranch_execz .LBB44_704
; %bb.695:
	v_cmp_ne_u32_e32 vcc_lo, 1, v5
	s_cbranch_vccnz .LBB44_697
; %bb.696:
	scratch_load_b64 v[1:2], v4, off
	ds_load_b64 v[6:7], v3
	s_waitcnt vmcnt(0) lgkmcnt(0)
	v_mul_f64 v[1:2], v[1:2], v[6:7]
	s_cbranch_execz .LBB44_698
	s_branch .LBB44_699
.LBB44_697:
                                        ; implicit-def: $vgpr1_vgpr2
.LBB44_698:
	ds_load_b64 v[1:2], v3
.LBB44_699:
	s_mov_b32 s1, exec_lo
	v_cmpx_ne_u32_e32 26, v0
	s_cbranch_execz .LBB44_703
; %bb.700:
	v_add_nc_u32_e32 v6, 0x178, v135
	v_add3_u32 v7, 0, v135, 8
	v_mov_b32_e32 v8, v0
	s_mov_b32 s2, 0
.LBB44_701:                             ; =>This Inner Loop Header: Depth=1
	scratch_load_b64 v[9:10], v7, off
	ds_load_b64 v[11:12], v6
	v_add_nc_u32_e32 v8, 1, v8
	v_add_nc_u32_e32 v6, 8, v6
	v_add_nc_u32_e32 v7, 8, v7
	s_delay_alu instid0(VALU_DEP_3)
	v_cmp_lt_u32_e32 vcc_lo, 25, v8
	s_or_b32 s2, vcc_lo, s2
	s_waitcnt vmcnt(0) lgkmcnt(0)
	v_fma_f64 v[1:2], v[9:10], v[11:12], v[1:2]
	s_and_not1_b32 exec_lo, exec_lo, s2
	s_cbranch_execnz .LBB44_701
; %bb.702:
	s_or_b32 exec_lo, exec_lo, s2
.LBB44_703:
	s_delay_alu instid0(SALU_CYCLE_1)
	s_or_b32 exec_lo, exec_lo, s1
	v_mov_b32_e32 v6, 0
	ds_load_b64 v[6:7], v6 offset:216
	s_waitcnt lgkmcnt(0)
	v_mul_f64 v[1:2], v[1:2], v[6:7]
	scratch_store_b64 off, v[1:2], off offset:216
.LBB44_704:
	s_or_b32 exec_lo, exec_lo, s0
	scratch_load_b64 v[1:2], off, off offset:224
	s_mov_b32 s0, exec_lo
	s_waitcnt vmcnt(0)
	ds_store_b64 v3, v[1:2]
	s_waitcnt lgkmcnt(0)
	s_waitcnt_vscnt null, 0x0
	s_barrier
	buffer_gl0_inv
	v_cmpx_gt_u32_e32 28, v0
	s_cbranch_execz .LBB44_714
; %bb.705:
	v_cmp_ne_u32_e32 vcc_lo, 1, v5
	s_cbranch_vccnz .LBB44_707
; %bb.706:
	scratch_load_b64 v[1:2], v4, off
	ds_load_b64 v[6:7], v3
	s_waitcnt vmcnt(0) lgkmcnt(0)
	v_mul_f64 v[1:2], v[1:2], v[6:7]
	s_cbranch_execz .LBB44_708
	s_branch .LBB44_709
.LBB44_707:
                                        ; implicit-def: $vgpr1_vgpr2
.LBB44_708:
	ds_load_b64 v[1:2], v3
.LBB44_709:
	s_mov_b32 s1, exec_lo
	v_cmpx_ne_u32_e32 27, v0
	s_cbranch_execz .LBB44_713
; %bb.710:
	v_add_nc_u32_e32 v6, 0x178, v135
	v_add3_u32 v7, 0, v135, 8
	v_mov_b32_e32 v8, v0
	s_mov_b32 s2, 0
.LBB44_711:                             ; =>This Inner Loop Header: Depth=1
	scratch_load_b64 v[9:10], v7, off
	ds_load_b64 v[11:12], v6
	v_add_nc_u32_e32 v8, 1, v8
	v_add_nc_u32_e32 v6, 8, v6
	v_add_nc_u32_e32 v7, 8, v7
	s_delay_alu instid0(VALU_DEP_3)
	v_cmp_lt_u32_e32 vcc_lo, 26, v8
	s_or_b32 s2, vcc_lo, s2
	s_waitcnt vmcnt(0) lgkmcnt(0)
	v_fma_f64 v[1:2], v[9:10], v[11:12], v[1:2]
	s_and_not1_b32 exec_lo, exec_lo, s2
	s_cbranch_execnz .LBB44_711
; %bb.712:
	s_or_b32 exec_lo, exec_lo, s2
.LBB44_713:
	s_delay_alu instid0(SALU_CYCLE_1)
	s_or_b32 exec_lo, exec_lo, s1
	v_mov_b32_e32 v6, 0
	ds_load_b64 v[6:7], v6 offset:224
	s_waitcnt lgkmcnt(0)
	v_mul_f64 v[1:2], v[1:2], v[6:7]
	scratch_store_b64 off, v[1:2], off offset:224
.LBB44_714:
	s_or_b32 exec_lo, exec_lo, s0
	scratch_load_b64 v[1:2], off, off offset:232
	s_mov_b32 s0, exec_lo
	s_waitcnt vmcnt(0)
	ds_store_b64 v3, v[1:2]
	s_waitcnt lgkmcnt(0)
	s_waitcnt_vscnt null, 0x0
	s_barrier
	buffer_gl0_inv
	v_cmpx_gt_u32_e32 29, v0
	s_cbranch_execz .LBB44_724
; %bb.715:
	v_cmp_ne_u32_e32 vcc_lo, 1, v5
	s_cbranch_vccnz .LBB44_717
; %bb.716:
	scratch_load_b64 v[1:2], v4, off
	ds_load_b64 v[6:7], v3
	s_waitcnt vmcnt(0) lgkmcnt(0)
	v_mul_f64 v[1:2], v[1:2], v[6:7]
	s_cbranch_execz .LBB44_718
	s_branch .LBB44_719
.LBB44_717:
                                        ; implicit-def: $vgpr1_vgpr2
.LBB44_718:
	ds_load_b64 v[1:2], v3
.LBB44_719:
	s_mov_b32 s1, exec_lo
	v_cmpx_ne_u32_e32 28, v0
	s_cbranch_execz .LBB44_723
; %bb.720:
	v_add_nc_u32_e32 v6, 0x178, v135
	v_add3_u32 v7, 0, v135, 8
	v_mov_b32_e32 v8, v0
	s_mov_b32 s2, 0
.LBB44_721:                             ; =>This Inner Loop Header: Depth=1
	scratch_load_b64 v[9:10], v7, off
	ds_load_b64 v[11:12], v6
	v_add_nc_u32_e32 v8, 1, v8
	v_add_nc_u32_e32 v6, 8, v6
	v_add_nc_u32_e32 v7, 8, v7
	s_delay_alu instid0(VALU_DEP_3)
	v_cmp_lt_u32_e32 vcc_lo, 27, v8
	s_or_b32 s2, vcc_lo, s2
	s_waitcnt vmcnt(0) lgkmcnt(0)
	v_fma_f64 v[1:2], v[9:10], v[11:12], v[1:2]
	s_and_not1_b32 exec_lo, exec_lo, s2
	s_cbranch_execnz .LBB44_721
; %bb.722:
	s_or_b32 exec_lo, exec_lo, s2
.LBB44_723:
	s_delay_alu instid0(SALU_CYCLE_1)
	s_or_b32 exec_lo, exec_lo, s1
	v_mov_b32_e32 v6, 0
	ds_load_b64 v[6:7], v6 offset:232
	s_waitcnt lgkmcnt(0)
	v_mul_f64 v[1:2], v[1:2], v[6:7]
	scratch_store_b64 off, v[1:2], off offset:232
.LBB44_724:
	s_or_b32 exec_lo, exec_lo, s0
	scratch_load_b64 v[1:2], off, off offset:240
	s_mov_b32 s0, exec_lo
	s_waitcnt vmcnt(0)
	ds_store_b64 v3, v[1:2]
	s_waitcnt lgkmcnt(0)
	s_waitcnt_vscnt null, 0x0
	s_barrier
	buffer_gl0_inv
	v_cmpx_gt_u32_e32 30, v0
	s_cbranch_execz .LBB44_734
; %bb.725:
	v_cmp_ne_u32_e32 vcc_lo, 1, v5
	s_cbranch_vccnz .LBB44_727
; %bb.726:
	scratch_load_b64 v[1:2], v4, off
	ds_load_b64 v[6:7], v3
	s_waitcnt vmcnt(0) lgkmcnt(0)
	v_mul_f64 v[1:2], v[1:2], v[6:7]
	s_cbranch_execz .LBB44_728
	s_branch .LBB44_729
.LBB44_727:
                                        ; implicit-def: $vgpr1_vgpr2
.LBB44_728:
	ds_load_b64 v[1:2], v3
.LBB44_729:
	s_mov_b32 s1, exec_lo
	v_cmpx_ne_u32_e32 29, v0
	s_cbranch_execz .LBB44_733
; %bb.730:
	v_add_nc_u32_e32 v6, 0x178, v135
	v_add3_u32 v7, 0, v135, 8
	v_mov_b32_e32 v8, v0
	s_mov_b32 s2, 0
.LBB44_731:                             ; =>This Inner Loop Header: Depth=1
	scratch_load_b64 v[9:10], v7, off
	ds_load_b64 v[11:12], v6
	v_add_nc_u32_e32 v8, 1, v8
	v_add_nc_u32_e32 v6, 8, v6
	v_add_nc_u32_e32 v7, 8, v7
	s_delay_alu instid0(VALU_DEP_3)
	v_cmp_lt_u32_e32 vcc_lo, 28, v8
	s_or_b32 s2, vcc_lo, s2
	s_waitcnt vmcnt(0) lgkmcnt(0)
	v_fma_f64 v[1:2], v[9:10], v[11:12], v[1:2]
	s_and_not1_b32 exec_lo, exec_lo, s2
	s_cbranch_execnz .LBB44_731
; %bb.732:
	s_or_b32 exec_lo, exec_lo, s2
.LBB44_733:
	s_delay_alu instid0(SALU_CYCLE_1)
	s_or_b32 exec_lo, exec_lo, s1
	v_mov_b32_e32 v6, 0
	ds_load_b64 v[6:7], v6 offset:240
	s_waitcnt lgkmcnt(0)
	v_mul_f64 v[1:2], v[1:2], v[6:7]
	scratch_store_b64 off, v[1:2], off offset:240
.LBB44_734:
	s_or_b32 exec_lo, exec_lo, s0
	scratch_load_b64 v[1:2], off, off offset:248
	s_mov_b32 s0, exec_lo
	s_waitcnt vmcnt(0)
	ds_store_b64 v3, v[1:2]
	s_waitcnt lgkmcnt(0)
	s_waitcnt_vscnt null, 0x0
	s_barrier
	buffer_gl0_inv
	v_cmpx_gt_u32_e32 31, v0
	s_cbranch_execz .LBB44_744
; %bb.735:
	v_cmp_ne_u32_e32 vcc_lo, 1, v5
	s_cbranch_vccnz .LBB44_737
; %bb.736:
	scratch_load_b64 v[1:2], v4, off
	ds_load_b64 v[6:7], v3
	s_waitcnt vmcnt(0) lgkmcnt(0)
	v_mul_f64 v[1:2], v[1:2], v[6:7]
	s_cbranch_execz .LBB44_738
	s_branch .LBB44_739
.LBB44_737:
                                        ; implicit-def: $vgpr1_vgpr2
.LBB44_738:
	ds_load_b64 v[1:2], v3
.LBB44_739:
	s_mov_b32 s1, exec_lo
	v_cmpx_ne_u32_e32 30, v0
	s_cbranch_execz .LBB44_743
; %bb.740:
	v_add_nc_u32_e32 v6, 0x178, v135
	v_add3_u32 v7, 0, v135, 8
	v_mov_b32_e32 v8, v0
	s_mov_b32 s2, 0
.LBB44_741:                             ; =>This Inner Loop Header: Depth=1
	scratch_load_b64 v[9:10], v7, off
	ds_load_b64 v[11:12], v6
	v_add_nc_u32_e32 v8, 1, v8
	v_add_nc_u32_e32 v6, 8, v6
	v_add_nc_u32_e32 v7, 8, v7
	s_delay_alu instid0(VALU_DEP_3)
	v_cmp_lt_u32_e32 vcc_lo, 29, v8
	s_or_b32 s2, vcc_lo, s2
	s_waitcnt vmcnt(0) lgkmcnt(0)
	v_fma_f64 v[1:2], v[9:10], v[11:12], v[1:2]
	s_and_not1_b32 exec_lo, exec_lo, s2
	s_cbranch_execnz .LBB44_741
; %bb.742:
	s_or_b32 exec_lo, exec_lo, s2
.LBB44_743:
	s_delay_alu instid0(SALU_CYCLE_1)
	s_or_b32 exec_lo, exec_lo, s1
	v_mov_b32_e32 v6, 0
	ds_load_b64 v[6:7], v6 offset:248
	s_waitcnt lgkmcnt(0)
	v_mul_f64 v[1:2], v[1:2], v[6:7]
	scratch_store_b64 off, v[1:2], off offset:248
.LBB44_744:
	s_or_b32 exec_lo, exec_lo, s0
	scratch_load_b64 v[1:2], off, off offset:256
	s_mov_b32 s0, exec_lo
	s_waitcnt vmcnt(0)
	ds_store_b64 v3, v[1:2]
	s_waitcnt lgkmcnt(0)
	s_waitcnt_vscnt null, 0x0
	s_barrier
	buffer_gl0_inv
	v_cmpx_gt_u32_e32 32, v0
	s_cbranch_execz .LBB44_754
; %bb.745:
	v_cmp_ne_u32_e32 vcc_lo, 1, v5
	s_cbranch_vccnz .LBB44_747
; %bb.746:
	scratch_load_b64 v[1:2], v4, off
	ds_load_b64 v[6:7], v3
	s_waitcnt vmcnt(0) lgkmcnt(0)
	v_mul_f64 v[1:2], v[1:2], v[6:7]
	s_cbranch_execz .LBB44_748
	s_branch .LBB44_749
.LBB44_747:
                                        ; implicit-def: $vgpr1_vgpr2
.LBB44_748:
	ds_load_b64 v[1:2], v3
.LBB44_749:
	s_mov_b32 s1, exec_lo
	v_cmpx_ne_u32_e32 31, v0
	s_cbranch_execz .LBB44_753
; %bb.750:
	v_add_nc_u32_e32 v6, 0x178, v135
	v_add3_u32 v7, 0, v135, 8
	v_mov_b32_e32 v8, v0
	s_mov_b32 s2, 0
.LBB44_751:                             ; =>This Inner Loop Header: Depth=1
	scratch_load_b64 v[9:10], v7, off
	ds_load_b64 v[11:12], v6
	v_add_nc_u32_e32 v8, 1, v8
	v_add_nc_u32_e32 v6, 8, v6
	v_add_nc_u32_e32 v7, 8, v7
	s_delay_alu instid0(VALU_DEP_3)
	v_cmp_lt_u32_e32 vcc_lo, 30, v8
	s_or_b32 s2, vcc_lo, s2
	s_waitcnt vmcnt(0) lgkmcnt(0)
	v_fma_f64 v[1:2], v[9:10], v[11:12], v[1:2]
	s_and_not1_b32 exec_lo, exec_lo, s2
	s_cbranch_execnz .LBB44_751
; %bb.752:
	s_or_b32 exec_lo, exec_lo, s2
.LBB44_753:
	s_delay_alu instid0(SALU_CYCLE_1)
	s_or_b32 exec_lo, exec_lo, s1
	v_mov_b32_e32 v6, 0
	ds_load_b64 v[6:7], v6 offset:256
	s_waitcnt lgkmcnt(0)
	v_mul_f64 v[1:2], v[1:2], v[6:7]
	scratch_store_b64 off, v[1:2], off offset:256
.LBB44_754:
	s_or_b32 exec_lo, exec_lo, s0
	scratch_load_b64 v[1:2], off, off offset:264
	s_mov_b32 s0, exec_lo
	s_waitcnt vmcnt(0)
	ds_store_b64 v3, v[1:2]
	s_waitcnt lgkmcnt(0)
	s_waitcnt_vscnt null, 0x0
	s_barrier
	buffer_gl0_inv
	v_cmpx_gt_u32_e32 33, v0
	s_cbranch_execz .LBB44_764
; %bb.755:
	v_cmp_ne_u32_e32 vcc_lo, 1, v5
	s_cbranch_vccnz .LBB44_757
; %bb.756:
	scratch_load_b64 v[1:2], v4, off
	ds_load_b64 v[6:7], v3
	s_waitcnt vmcnt(0) lgkmcnt(0)
	v_mul_f64 v[1:2], v[1:2], v[6:7]
	s_cbranch_execz .LBB44_758
	s_branch .LBB44_759
.LBB44_757:
                                        ; implicit-def: $vgpr1_vgpr2
.LBB44_758:
	ds_load_b64 v[1:2], v3
.LBB44_759:
	s_mov_b32 s1, exec_lo
	v_cmpx_ne_u32_e32 32, v0
	s_cbranch_execz .LBB44_763
; %bb.760:
	v_add_nc_u32_e32 v6, 0x178, v135
	v_add3_u32 v7, 0, v135, 8
	v_mov_b32_e32 v8, v0
	s_mov_b32 s2, 0
.LBB44_761:                             ; =>This Inner Loop Header: Depth=1
	scratch_load_b64 v[9:10], v7, off
	ds_load_b64 v[11:12], v6
	v_add_nc_u32_e32 v8, 1, v8
	v_add_nc_u32_e32 v6, 8, v6
	v_add_nc_u32_e32 v7, 8, v7
	s_delay_alu instid0(VALU_DEP_3)
	v_cmp_lt_u32_e32 vcc_lo, 31, v8
	s_or_b32 s2, vcc_lo, s2
	s_waitcnt vmcnt(0) lgkmcnt(0)
	v_fma_f64 v[1:2], v[9:10], v[11:12], v[1:2]
	s_and_not1_b32 exec_lo, exec_lo, s2
	s_cbranch_execnz .LBB44_761
; %bb.762:
	s_or_b32 exec_lo, exec_lo, s2
.LBB44_763:
	s_delay_alu instid0(SALU_CYCLE_1)
	s_or_b32 exec_lo, exec_lo, s1
	v_mov_b32_e32 v6, 0
	ds_load_b64 v[6:7], v6 offset:264
	s_waitcnt lgkmcnt(0)
	v_mul_f64 v[1:2], v[1:2], v[6:7]
	scratch_store_b64 off, v[1:2], off offset:264
.LBB44_764:
	s_or_b32 exec_lo, exec_lo, s0
	scratch_load_b64 v[1:2], off, off offset:272
	s_mov_b32 s0, exec_lo
	s_waitcnt vmcnt(0)
	ds_store_b64 v3, v[1:2]
	s_waitcnt lgkmcnt(0)
	s_waitcnt_vscnt null, 0x0
	s_barrier
	buffer_gl0_inv
	v_cmpx_gt_u32_e32 34, v0
	s_cbranch_execz .LBB44_774
; %bb.765:
	v_cmp_ne_u32_e32 vcc_lo, 1, v5
	s_cbranch_vccnz .LBB44_767
; %bb.766:
	scratch_load_b64 v[1:2], v4, off
	ds_load_b64 v[6:7], v3
	s_waitcnt vmcnt(0) lgkmcnt(0)
	v_mul_f64 v[1:2], v[1:2], v[6:7]
	s_cbranch_execz .LBB44_768
	s_branch .LBB44_769
.LBB44_767:
                                        ; implicit-def: $vgpr1_vgpr2
.LBB44_768:
	ds_load_b64 v[1:2], v3
.LBB44_769:
	s_mov_b32 s1, exec_lo
	v_cmpx_ne_u32_e32 33, v0
	s_cbranch_execz .LBB44_773
; %bb.770:
	v_add_nc_u32_e32 v6, 0x178, v135
	v_add3_u32 v7, 0, v135, 8
	v_mov_b32_e32 v8, v0
	s_mov_b32 s2, 0
.LBB44_771:                             ; =>This Inner Loop Header: Depth=1
	scratch_load_b64 v[9:10], v7, off
	ds_load_b64 v[11:12], v6
	v_add_nc_u32_e32 v8, 1, v8
	v_add_nc_u32_e32 v6, 8, v6
	v_add_nc_u32_e32 v7, 8, v7
	s_delay_alu instid0(VALU_DEP_3)
	v_cmp_lt_u32_e32 vcc_lo, 32, v8
	s_or_b32 s2, vcc_lo, s2
	s_waitcnt vmcnt(0) lgkmcnt(0)
	v_fma_f64 v[1:2], v[9:10], v[11:12], v[1:2]
	s_and_not1_b32 exec_lo, exec_lo, s2
	s_cbranch_execnz .LBB44_771
; %bb.772:
	s_or_b32 exec_lo, exec_lo, s2
.LBB44_773:
	s_delay_alu instid0(SALU_CYCLE_1)
	s_or_b32 exec_lo, exec_lo, s1
	v_mov_b32_e32 v6, 0
	ds_load_b64 v[6:7], v6 offset:272
	s_waitcnt lgkmcnt(0)
	v_mul_f64 v[1:2], v[1:2], v[6:7]
	scratch_store_b64 off, v[1:2], off offset:272
.LBB44_774:
	s_or_b32 exec_lo, exec_lo, s0
	scratch_load_b64 v[1:2], off, off offset:280
	s_mov_b32 s0, exec_lo
	s_waitcnt vmcnt(0)
	ds_store_b64 v3, v[1:2]
	s_waitcnt lgkmcnt(0)
	s_waitcnt_vscnt null, 0x0
	s_barrier
	buffer_gl0_inv
	v_cmpx_gt_u32_e32 35, v0
	s_cbranch_execz .LBB44_784
; %bb.775:
	v_cmp_ne_u32_e32 vcc_lo, 1, v5
	s_cbranch_vccnz .LBB44_777
; %bb.776:
	scratch_load_b64 v[1:2], v4, off
	ds_load_b64 v[6:7], v3
	s_waitcnt vmcnt(0) lgkmcnt(0)
	v_mul_f64 v[1:2], v[1:2], v[6:7]
	s_cbranch_execz .LBB44_778
	s_branch .LBB44_779
.LBB44_777:
                                        ; implicit-def: $vgpr1_vgpr2
.LBB44_778:
	ds_load_b64 v[1:2], v3
.LBB44_779:
	s_mov_b32 s1, exec_lo
	v_cmpx_ne_u32_e32 34, v0
	s_cbranch_execz .LBB44_783
; %bb.780:
	v_add_nc_u32_e32 v6, 0x178, v135
	v_add3_u32 v7, 0, v135, 8
	v_mov_b32_e32 v8, v0
	s_mov_b32 s2, 0
.LBB44_781:                             ; =>This Inner Loop Header: Depth=1
	scratch_load_b64 v[9:10], v7, off
	ds_load_b64 v[11:12], v6
	v_add_nc_u32_e32 v8, 1, v8
	v_add_nc_u32_e32 v6, 8, v6
	v_add_nc_u32_e32 v7, 8, v7
	s_delay_alu instid0(VALU_DEP_3)
	v_cmp_lt_u32_e32 vcc_lo, 33, v8
	s_or_b32 s2, vcc_lo, s2
	s_waitcnt vmcnt(0) lgkmcnt(0)
	v_fma_f64 v[1:2], v[9:10], v[11:12], v[1:2]
	s_and_not1_b32 exec_lo, exec_lo, s2
	s_cbranch_execnz .LBB44_781
; %bb.782:
	s_or_b32 exec_lo, exec_lo, s2
.LBB44_783:
	s_delay_alu instid0(SALU_CYCLE_1)
	s_or_b32 exec_lo, exec_lo, s1
	v_mov_b32_e32 v6, 0
	ds_load_b64 v[6:7], v6 offset:280
	s_waitcnt lgkmcnt(0)
	v_mul_f64 v[1:2], v[1:2], v[6:7]
	scratch_store_b64 off, v[1:2], off offset:280
.LBB44_784:
	s_or_b32 exec_lo, exec_lo, s0
	scratch_load_b64 v[1:2], off, off offset:288
	s_mov_b32 s0, exec_lo
	s_waitcnt vmcnt(0)
	ds_store_b64 v3, v[1:2]
	s_waitcnt lgkmcnt(0)
	s_waitcnt_vscnt null, 0x0
	s_barrier
	buffer_gl0_inv
	v_cmpx_gt_u32_e32 36, v0
	s_cbranch_execz .LBB44_794
; %bb.785:
	v_cmp_ne_u32_e32 vcc_lo, 1, v5
	s_cbranch_vccnz .LBB44_787
; %bb.786:
	scratch_load_b64 v[1:2], v4, off
	ds_load_b64 v[6:7], v3
	s_waitcnt vmcnt(0) lgkmcnt(0)
	v_mul_f64 v[1:2], v[1:2], v[6:7]
	s_cbranch_execz .LBB44_788
	s_branch .LBB44_789
.LBB44_787:
                                        ; implicit-def: $vgpr1_vgpr2
.LBB44_788:
	ds_load_b64 v[1:2], v3
.LBB44_789:
	s_mov_b32 s1, exec_lo
	v_cmpx_ne_u32_e32 35, v0
	s_cbranch_execz .LBB44_793
; %bb.790:
	v_add_nc_u32_e32 v6, 0x178, v135
	v_add3_u32 v7, 0, v135, 8
	v_mov_b32_e32 v8, v0
	s_mov_b32 s2, 0
.LBB44_791:                             ; =>This Inner Loop Header: Depth=1
	scratch_load_b64 v[9:10], v7, off
	ds_load_b64 v[11:12], v6
	v_add_nc_u32_e32 v8, 1, v8
	v_add_nc_u32_e32 v6, 8, v6
	v_add_nc_u32_e32 v7, 8, v7
	s_delay_alu instid0(VALU_DEP_3)
	v_cmp_lt_u32_e32 vcc_lo, 34, v8
	s_or_b32 s2, vcc_lo, s2
	s_waitcnt vmcnt(0) lgkmcnt(0)
	v_fma_f64 v[1:2], v[9:10], v[11:12], v[1:2]
	s_and_not1_b32 exec_lo, exec_lo, s2
	s_cbranch_execnz .LBB44_791
; %bb.792:
	s_or_b32 exec_lo, exec_lo, s2
.LBB44_793:
	s_delay_alu instid0(SALU_CYCLE_1)
	s_or_b32 exec_lo, exec_lo, s1
	v_mov_b32_e32 v6, 0
	ds_load_b64 v[6:7], v6 offset:288
	s_waitcnt lgkmcnt(0)
	v_mul_f64 v[1:2], v[1:2], v[6:7]
	scratch_store_b64 off, v[1:2], off offset:288
.LBB44_794:
	s_or_b32 exec_lo, exec_lo, s0
	scratch_load_b64 v[1:2], off, off offset:296
	s_mov_b32 s0, exec_lo
	s_waitcnt vmcnt(0)
	ds_store_b64 v3, v[1:2]
	s_waitcnt lgkmcnt(0)
	s_waitcnt_vscnt null, 0x0
	s_barrier
	buffer_gl0_inv
	v_cmpx_gt_u32_e32 37, v0
	s_cbranch_execz .LBB44_804
; %bb.795:
	v_cmp_ne_u32_e32 vcc_lo, 1, v5
	s_cbranch_vccnz .LBB44_797
; %bb.796:
	scratch_load_b64 v[1:2], v4, off
	ds_load_b64 v[6:7], v3
	s_waitcnt vmcnt(0) lgkmcnt(0)
	v_mul_f64 v[1:2], v[1:2], v[6:7]
	s_cbranch_execz .LBB44_798
	s_branch .LBB44_799
.LBB44_797:
                                        ; implicit-def: $vgpr1_vgpr2
.LBB44_798:
	ds_load_b64 v[1:2], v3
.LBB44_799:
	s_mov_b32 s1, exec_lo
	v_cmpx_ne_u32_e32 36, v0
	s_cbranch_execz .LBB44_803
; %bb.800:
	v_add_nc_u32_e32 v6, 0x178, v135
	v_add3_u32 v7, 0, v135, 8
	v_mov_b32_e32 v8, v0
	s_mov_b32 s2, 0
.LBB44_801:                             ; =>This Inner Loop Header: Depth=1
	scratch_load_b64 v[9:10], v7, off
	ds_load_b64 v[11:12], v6
	v_add_nc_u32_e32 v8, 1, v8
	v_add_nc_u32_e32 v6, 8, v6
	v_add_nc_u32_e32 v7, 8, v7
	s_delay_alu instid0(VALU_DEP_3)
	v_cmp_lt_u32_e32 vcc_lo, 35, v8
	s_or_b32 s2, vcc_lo, s2
	s_waitcnt vmcnt(0) lgkmcnt(0)
	v_fma_f64 v[1:2], v[9:10], v[11:12], v[1:2]
	s_and_not1_b32 exec_lo, exec_lo, s2
	s_cbranch_execnz .LBB44_801
; %bb.802:
	s_or_b32 exec_lo, exec_lo, s2
.LBB44_803:
	s_delay_alu instid0(SALU_CYCLE_1)
	s_or_b32 exec_lo, exec_lo, s1
	v_mov_b32_e32 v6, 0
	ds_load_b64 v[6:7], v6 offset:296
	s_waitcnt lgkmcnt(0)
	v_mul_f64 v[1:2], v[1:2], v[6:7]
	scratch_store_b64 off, v[1:2], off offset:296
.LBB44_804:
	s_or_b32 exec_lo, exec_lo, s0
	scratch_load_b64 v[1:2], off, off offset:304
	s_mov_b32 s0, exec_lo
	s_waitcnt vmcnt(0)
	ds_store_b64 v3, v[1:2]
	s_waitcnt lgkmcnt(0)
	s_waitcnt_vscnt null, 0x0
	s_barrier
	buffer_gl0_inv
	v_cmpx_gt_u32_e32 38, v0
	s_cbranch_execz .LBB44_814
; %bb.805:
	v_cmp_ne_u32_e32 vcc_lo, 1, v5
	s_cbranch_vccnz .LBB44_807
; %bb.806:
	scratch_load_b64 v[1:2], v4, off
	ds_load_b64 v[6:7], v3
	s_waitcnt vmcnt(0) lgkmcnt(0)
	v_mul_f64 v[1:2], v[1:2], v[6:7]
	s_cbranch_execz .LBB44_808
	s_branch .LBB44_809
.LBB44_807:
                                        ; implicit-def: $vgpr1_vgpr2
.LBB44_808:
	ds_load_b64 v[1:2], v3
.LBB44_809:
	s_mov_b32 s1, exec_lo
	v_cmpx_ne_u32_e32 37, v0
	s_cbranch_execz .LBB44_813
; %bb.810:
	v_add_nc_u32_e32 v6, 0x178, v135
	v_add3_u32 v7, 0, v135, 8
	v_mov_b32_e32 v8, v0
	s_mov_b32 s2, 0
.LBB44_811:                             ; =>This Inner Loop Header: Depth=1
	scratch_load_b64 v[9:10], v7, off
	ds_load_b64 v[11:12], v6
	v_add_nc_u32_e32 v8, 1, v8
	v_add_nc_u32_e32 v6, 8, v6
	v_add_nc_u32_e32 v7, 8, v7
	s_delay_alu instid0(VALU_DEP_3)
	v_cmp_lt_u32_e32 vcc_lo, 36, v8
	s_or_b32 s2, vcc_lo, s2
	s_waitcnt vmcnt(0) lgkmcnt(0)
	v_fma_f64 v[1:2], v[9:10], v[11:12], v[1:2]
	s_and_not1_b32 exec_lo, exec_lo, s2
	s_cbranch_execnz .LBB44_811
; %bb.812:
	s_or_b32 exec_lo, exec_lo, s2
.LBB44_813:
	s_delay_alu instid0(SALU_CYCLE_1)
	s_or_b32 exec_lo, exec_lo, s1
	v_mov_b32_e32 v6, 0
	ds_load_b64 v[6:7], v6 offset:304
	s_waitcnt lgkmcnt(0)
	v_mul_f64 v[1:2], v[1:2], v[6:7]
	scratch_store_b64 off, v[1:2], off offset:304
.LBB44_814:
	s_or_b32 exec_lo, exec_lo, s0
	scratch_load_b64 v[1:2], off, off offset:312
	s_mov_b32 s0, exec_lo
	s_waitcnt vmcnt(0)
	ds_store_b64 v3, v[1:2]
	s_waitcnt lgkmcnt(0)
	s_waitcnt_vscnt null, 0x0
	s_barrier
	buffer_gl0_inv
	v_cmpx_gt_u32_e32 39, v0
	s_cbranch_execz .LBB44_824
; %bb.815:
	v_cmp_ne_u32_e32 vcc_lo, 1, v5
	s_cbranch_vccnz .LBB44_817
; %bb.816:
	scratch_load_b64 v[1:2], v4, off
	ds_load_b64 v[6:7], v3
	s_waitcnt vmcnt(0) lgkmcnt(0)
	v_mul_f64 v[1:2], v[1:2], v[6:7]
	s_cbranch_execz .LBB44_818
	s_branch .LBB44_819
.LBB44_817:
                                        ; implicit-def: $vgpr1_vgpr2
.LBB44_818:
	ds_load_b64 v[1:2], v3
.LBB44_819:
	s_mov_b32 s1, exec_lo
	v_cmpx_ne_u32_e32 38, v0
	s_cbranch_execz .LBB44_823
; %bb.820:
	v_add_nc_u32_e32 v6, 0x178, v135
	v_add3_u32 v7, 0, v135, 8
	v_mov_b32_e32 v8, v0
	s_mov_b32 s2, 0
.LBB44_821:                             ; =>This Inner Loop Header: Depth=1
	scratch_load_b64 v[9:10], v7, off
	ds_load_b64 v[11:12], v6
	v_add_nc_u32_e32 v8, 1, v8
	v_add_nc_u32_e32 v6, 8, v6
	v_add_nc_u32_e32 v7, 8, v7
	s_delay_alu instid0(VALU_DEP_3)
	v_cmp_lt_u32_e32 vcc_lo, 37, v8
	s_or_b32 s2, vcc_lo, s2
	s_waitcnt vmcnt(0) lgkmcnt(0)
	v_fma_f64 v[1:2], v[9:10], v[11:12], v[1:2]
	s_and_not1_b32 exec_lo, exec_lo, s2
	s_cbranch_execnz .LBB44_821
; %bb.822:
	s_or_b32 exec_lo, exec_lo, s2
.LBB44_823:
	s_delay_alu instid0(SALU_CYCLE_1)
	s_or_b32 exec_lo, exec_lo, s1
	v_mov_b32_e32 v6, 0
	ds_load_b64 v[6:7], v6 offset:312
	s_waitcnt lgkmcnt(0)
	v_mul_f64 v[1:2], v[1:2], v[6:7]
	scratch_store_b64 off, v[1:2], off offset:312
.LBB44_824:
	s_or_b32 exec_lo, exec_lo, s0
	scratch_load_b64 v[1:2], off, off offset:320
	s_mov_b32 s0, exec_lo
	s_waitcnt vmcnt(0)
	ds_store_b64 v3, v[1:2]
	s_waitcnt lgkmcnt(0)
	s_waitcnt_vscnt null, 0x0
	s_barrier
	buffer_gl0_inv
	v_cmpx_gt_u32_e32 40, v0
	s_cbranch_execz .LBB44_834
; %bb.825:
	v_cmp_ne_u32_e32 vcc_lo, 1, v5
	s_cbranch_vccnz .LBB44_827
; %bb.826:
	scratch_load_b64 v[1:2], v4, off
	ds_load_b64 v[6:7], v3
	s_waitcnt vmcnt(0) lgkmcnt(0)
	v_mul_f64 v[1:2], v[1:2], v[6:7]
	s_cbranch_execz .LBB44_828
	s_branch .LBB44_829
.LBB44_827:
                                        ; implicit-def: $vgpr1_vgpr2
.LBB44_828:
	ds_load_b64 v[1:2], v3
.LBB44_829:
	s_mov_b32 s1, exec_lo
	v_cmpx_ne_u32_e32 39, v0
	s_cbranch_execz .LBB44_833
; %bb.830:
	v_add_nc_u32_e32 v6, 0x178, v135
	v_add3_u32 v7, 0, v135, 8
	v_mov_b32_e32 v8, v0
	s_mov_b32 s2, 0
.LBB44_831:                             ; =>This Inner Loop Header: Depth=1
	scratch_load_b64 v[9:10], v7, off
	ds_load_b64 v[11:12], v6
	v_add_nc_u32_e32 v8, 1, v8
	v_add_nc_u32_e32 v6, 8, v6
	v_add_nc_u32_e32 v7, 8, v7
	s_delay_alu instid0(VALU_DEP_3)
	v_cmp_lt_u32_e32 vcc_lo, 38, v8
	s_or_b32 s2, vcc_lo, s2
	s_waitcnt vmcnt(0) lgkmcnt(0)
	v_fma_f64 v[1:2], v[9:10], v[11:12], v[1:2]
	s_and_not1_b32 exec_lo, exec_lo, s2
	s_cbranch_execnz .LBB44_831
; %bb.832:
	s_or_b32 exec_lo, exec_lo, s2
.LBB44_833:
	s_delay_alu instid0(SALU_CYCLE_1)
	s_or_b32 exec_lo, exec_lo, s1
	v_mov_b32_e32 v6, 0
	ds_load_b64 v[6:7], v6 offset:320
	s_waitcnt lgkmcnt(0)
	v_mul_f64 v[1:2], v[1:2], v[6:7]
	scratch_store_b64 off, v[1:2], off offset:320
.LBB44_834:
	s_or_b32 exec_lo, exec_lo, s0
	scratch_load_b64 v[1:2], off, off offset:328
	s_mov_b32 s0, exec_lo
	s_waitcnt vmcnt(0)
	ds_store_b64 v3, v[1:2]
	s_waitcnt lgkmcnt(0)
	s_waitcnt_vscnt null, 0x0
	s_barrier
	buffer_gl0_inv
	v_cmpx_gt_u32_e32 41, v0
	s_cbranch_execz .LBB44_844
; %bb.835:
	v_cmp_ne_u32_e32 vcc_lo, 1, v5
	s_cbranch_vccnz .LBB44_837
; %bb.836:
	scratch_load_b64 v[1:2], v4, off
	ds_load_b64 v[6:7], v3
	s_waitcnt vmcnt(0) lgkmcnt(0)
	v_mul_f64 v[1:2], v[1:2], v[6:7]
	s_cbranch_execz .LBB44_838
	s_branch .LBB44_839
.LBB44_837:
                                        ; implicit-def: $vgpr1_vgpr2
.LBB44_838:
	ds_load_b64 v[1:2], v3
.LBB44_839:
	s_mov_b32 s1, exec_lo
	v_cmpx_ne_u32_e32 40, v0
	s_cbranch_execz .LBB44_843
; %bb.840:
	v_add_nc_u32_e32 v6, 0x178, v135
	v_add3_u32 v7, 0, v135, 8
	v_mov_b32_e32 v8, v0
	s_mov_b32 s2, 0
.LBB44_841:                             ; =>This Inner Loop Header: Depth=1
	scratch_load_b64 v[9:10], v7, off
	ds_load_b64 v[11:12], v6
	v_add_nc_u32_e32 v8, 1, v8
	v_add_nc_u32_e32 v6, 8, v6
	v_add_nc_u32_e32 v7, 8, v7
	s_delay_alu instid0(VALU_DEP_3)
	v_cmp_lt_u32_e32 vcc_lo, 39, v8
	s_or_b32 s2, vcc_lo, s2
	s_waitcnt vmcnt(0) lgkmcnt(0)
	v_fma_f64 v[1:2], v[9:10], v[11:12], v[1:2]
	s_and_not1_b32 exec_lo, exec_lo, s2
	s_cbranch_execnz .LBB44_841
; %bb.842:
	s_or_b32 exec_lo, exec_lo, s2
.LBB44_843:
	s_delay_alu instid0(SALU_CYCLE_1)
	s_or_b32 exec_lo, exec_lo, s1
	v_mov_b32_e32 v6, 0
	ds_load_b64 v[6:7], v6 offset:328
	s_waitcnt lgkmcnt(0)
	v_mul_f64 v[1:2], v[1:2], v[6:7]
	scratch_store_b64 off, v[1:2], off offset:328
.LBB44_844:
	s_or_b32 exec_lo, exec_lo, s0
	scratch_load_b64 v[1:2], off, off offset:336
	s_mov_b32 s0, exec_lo
	s_waitcnt vmcnt(0)
	ds_store_b64 v3, v[1:2]
	s_waitcnt lgkmcnt(0)
	s_waitcnt_vscnt null, 0x0
	s_barrier
	buffer_gl0_inv
	v_cmpx_gt_u32_e32 42, v0
	s_cbranch_execz .LBB44_854
; %bb.845:
	v_cmp_ne_u32_e32 vcc_lo, 1, v5
	s_cbranch_vccnz .LBB44_847
; %bb.846:
	scratch_load_b64 v[1:2], v4, off
	ds_load_b64 v[6:7], v3
	s_waitcnt vmcnt(0) lgkmcnt(0)
	v_mul_f64 v[1:2], v[1:2], v[6:7]
	s_cbranch_execz .LBB44_848
	s_branch .LBB44_849
.LBB44_847:
                                        ; implicit-def: $vgpr1_vgpr2
.LBB44_848:
	ds_load_b64 v[1:2], v3
.LBB44_849:
	s_mov_b32 s1, exec_lo
	v_cmpx_ne_u32_e32 41, v0
	s_cbranch_execz .LBB44_853
; %bb.850:
	v_add_nc_u32_e32 v6, 0x178, v135
	v_add3_u32 v7, 0, v135, 8
	v_mov_b32_e32 v8, v0
	s_mov_b32 s2, 0
.LBB44_851:                             ; =>This Inner Loop Header: Depth=1
	scratch_load_b64 v[9:10], v7, off
	ds_load_b64 v[11:12], v6
	v_add_nc_u32_e32 v8, 1, v8
	v_add_nc_u32_e32 v6, 8, v6
	v_add_nc_u32_e32 v7, 8, v7
	s_delay_alu instid0(VALU_DEP_3)
	v_cmp_lt_u32_e32 vcc_lo, 40, v8
	s_or_b32 s2, vcc_lo, s2
	s_waitcnt vmcnt(0) lgkmcnt(0)
	v_fma_f64 v[1:2], v[9:10], v[11:12], v[1:2]
	s_and_not1_b32 exec_lo, exec_lo, s2
	s_cbranch_execnz .LBB44_851
; %bb.852:
	s_or_b32 exec_lo, exec_lo, s2
.LBB44_853:
	s_delay_alu instid0(SALU_CYCLE_1)
	s_or_b32 exec_lo, exec_lo, s1
	v_mov_b32_e32 v6, 0
	ds_load_b64 v[6:7], v6 offset:336
	s_waitcnt lgkmcnt(0)
	v_mul_f64 v[1:2], v[1:2], v[6:7]
	scratch_store_b64 off, v[1:2], off offset:336
.LBB44_854:
	s_or_b32 exec_lo, exec_lo, s0
	scratch_load_b64 v[1:2], off, off offset:344
	v_cmp_gt_u32_e64 s0, 43, v0
	s_waitcnt vmcnt(0)
	ds_store_b64 v3, v[1:2]
	s_waitcnt lgkmcnt(0)
	s_waitcnt_vscnt null, 0x0
	s_barrier
	buffer_gl0_inv
	s_and_saveexec_b32 s1, s0
	s_cbranch_execz .LBB44_864
; %bb.855:
	v_cmp_ne_u32_e32 vcc_lo, 1, v5
	s_cbranch_vccnz .LBB44_857
; %bb.856:
	scratch_load_b64 v[1:2], v4, off
	ds_load_b64 v[6:7], v3
	s_waitcnt vmcnt(0) lgkmcnt(0)
	v_mul_f64 v[1:2], v[1:2], v[6:7]
	s_cbranch_execz .LBB44_858
	s_branch .LBB44_859
.LBB44_857:
                                        ; implicit-def: $vgpr1_vgpr2
.LBB44_858:
	ds_load_b64 v[1:2], v3
.LBB44_859:
	s_mov_b32 s2, exec_lo
	v_cmpx_ne_u32_e32 42, v0
	s_cbranch_execz .LBB44_863
; %bb.860:
	v_add_nc_u32_e32 v6, 0x178, v135
	v_add3_u32 v7, 0, v135, 8
	v_mov_b32_e32 v8, v0
	s_mov_b32 s3, 0
.LBB44_861:                             ; =>This Inner Loop Header: Depth=1
	scratch_load_b64 v[9:10], v7, off
	ds_load_b64 v[11:12], v6
	v_add_nc_u32_e32 v8, 1, v8
	v_add_nc_u32_e32 v6, 8, v6
	v_add_nc_u32_e32 v7, 8, v7
	s_delay_alu instid0(VALU_DEP_3)
	v_cmp_lt_u32_e32 vcc_lo, 41, v8
	s_or_b32 s3, vcc_lo, s3
	s_waitcnt vmcnt(0) lgkmcnt(0)
	v_fma_f64 v[1:2], v[9:10], v[11:12], v[1:2]
	s_and_not1_b32 exec_lo, exec_lo, s3
	s_cbranch_execnz .LBB44_861
; %bb.862:
	s_or_b32 exec_lo, exec_lo, s3
.LBB44_863:
	s_delay_alu instid0(SALU_CYCLE_1)
	s_or_b32 exec_lo, exec_lo, s2
	v_mov_b32_e32 v6, 0
	ds_load_b64 v[6:7], v6 offset:344
	s_waitcnt lgkmcnt(0)
	v_mul_f64 v[1:2], v[1:2], v[6:7]
	scratch_store_b64 off, v[1:2], off offset:344
.LBB44_864:
	s_or_b32 exec_lo, exec_lo, s1
	scratch_load_b64 v[1:2], off, off offset:352
	s_mov_b32 s1, exec_lo
	s_waitcnt vmcnt(0)
	ds_store_b64 v3, v[1:2]
	s_waitcnt lgkmcnt(0)
	s_waitcnt_vscnt null, 0x0
	s_barrier
	buffer_gl0_inv
	v_cmpx_ne_u32_e32 44, v0
	s_cbranch_execz .LBB44_874
; %bb.865:
	v_cmp_ne_u32_e32 vcc_lo, 1, v5
	s_cbranch_vccnz .LBB44_867
; %bb.866:
	scratch_load_b64 v[1:2], v4, off
	ds_load_b64 v[4:5], v3
	s_waitcnt vmcnt(0) lgkmcnt(0)
	v_mul_f64 v[1:2], v[1:2], v[4:5]
	s_cbranch_execz .LBB44_868
	s_branch .LBB44_869
.LBB44_867:
                                        ; implicit-def: $vgpr1_vgpr2
.LBB44_868:
	ds_load_b64 v[1:2], v3
.LBB44_869:
	s_and_saveexec_b32 s2, s0
	s_cbranch_execz .LBB44_873
; %bb.870:
	v_add_nc_u32_e32 v3, 0x178, v135
	v_add3_u32 v4, 0, v135, 8
	s_mov_b32 s0, 0
.LBB44_871:                             ; =>This Inner Loop Header: Depth=1
	scratch_load_b64 v[5:6], v4, off
	ds_load_b64 v[7:8], v3
	v_add_nc_u32_e32 v0, 1, v0
	v_add_nc_u32_e32 v3, 8, v3
	v_add_nc_u32_e32 v4, 8, v4
	s_delay_alu instid0(VALU_DEP_3)
	v_cmp_lt_u32_e32 vcc_lo, 42, v0
	s_or_b32 s0, vcc_lo, s0
	s_waitcnt vmcnt(0) lgkmcnt(0)
	v_fma_f64 v[1:2], v[5:6], v[7:8], v[1:2]
	s_and_not1_b32 exec_lo, exec_lo, s0
	s_cbranch_execnz .LBB44_871
; %bb.872:
	s_or_b32 exec_lo, exec_lo, s0
.LBB44_873:
	s_delay_alu instid0(SALU_CYCLE_1)
	s_or_b32 exec_lo, exec_lo, s2
	v_mov_b32_e32 v0, 0
	ds_load_b64 v[3:4], v0 offset:352
	s_waitcnt lgkmcnt(0)
	v_mul_f64 v[0:1], v[1:2], v[3:4]
	scratch_store_b64 off, v[0:1], off offset:352
.LBB44_874:
	s_or_b32 exec_lo, exec_lo, s1
.LBB44_875:
	s_clause 0xc
	scratch_load_b128 v[0:3], off, off
	scratch_load_b128 v[4:7], off, off offset:16
	scratch_load_b128 v[8:11], off, off offset:32
	scratch_load_b128 v[12:15], off, off offset:48
	scratch_load_b128 v[16:19], off, off offset:64
	scratch_load_b128 v[20:23], off, off offset:80
	scratch_load_b128 v[24:27], off, off offset:96
	scratch_load_b128 v[28:31], off, off offset:112
	scratch_load_b128 v[32:35], off, off offset:128
	scratch_load_b128 v[36:39], off, off offset:144
	scratch_load_b128 v[40:43], off, off offset:160
	scratch_load_b128 v[135:138], off, off offset:176
	scratch_load_b128 v[139:142], off, off offset:192
	s_waitcnt vmcnt(12)
	s_clause 0x1
	global_store_b64 v[51:52], v[0:1], off
	global_store_b64 v[49:50], v[2:3], off
	scratch_load_b128 v[0:3], off, off offset:208
	s_waitcnt vmcnt(12)
	s_clause 0x1
	global_store_b64 v[45:46], v[4:5], off
	global_store_b64 v[47:48], v[6:7], off
	s_waitcnt vmcnt(11)
	s_clause 0x1
	global_store_b64 v[53:54], v[8:9], off
	global_store_b64 v[57:58], v[10:11], off
	;; [unrolled: 4-line block ×4, first 2 shown]
	s_clause 0x8
	scratch_load_b128 v[49:52], off, off offset:224
	scratch_load_b128 v[4:7], off, off offset:240
	;; [unrolled: 1-line block ×8, first 2 shown]
	scratch_load_b64 v[61:62], off, off offset:352
	s_waitcnt vmcnt(17)
	s_clause 0x1
	global_store_b64 v[63:64], v[20:21], off
	global_store_b64 v[67:68], v[22:23], off
	s_waitcnt vmcnt(16)
	s_clause 0x1
	global_store_b64 v[69:70], v[24:25], off
	global_store_b64 v[71:72], v[26:27], off
	;; [unrolled: 4-line block ×17, first 2 shown]
	s_waitcnt vmcnt(0)
	global_store_b64 v[133:134], v[61:62], off
.LBB44_876:
	s_endpgm
	.section	.rodata,"a",@progbits
	.p2align	6, 0x0
	.amdhsa_kernel _ZN9rocsolver6v33100L18trti2_kernel_smallILi45EdPdEEv13rocblas_fill_17rocblas_diagonal_T1_iil
		.amdhsa_group_segment_fixed_size 728
		.amdhsa_private_segment_fixed_size 368
		.amdhsa_kernarg_size 32
		.amdhsa_user_sgpr_count 15
		.amdhsa_user_sgpr_dispatch_ptr 0
		.amdhsa_user_sgpr_queue_ptr 0
		.amdhsa_user_sgpr_kernarg_segment_ptr 1
		.amdhsa_user_sgpr_dispatch_id 0
		.amdhsa_user_sgpr_private_segment_size 0
		.amdhsa_wavefront_size32 1
		.amdhsa_uses_dynamic_stack 0
		.amdhsa_enable_private_segment 1
		.amdhsa_system_sgpr_workgroup_id_x 1
		.amdhsa_system_sgpr_workgroup_id_y 0
		.amdhsa_system_sgpr_workgroup_id_z 0
		.amdhsa_system_sgpr_workgroup_info 0
		.amdhsa_system_vgpr_workitem_id 0
		.amdhsa_next_free_vgpr 143
		.amdhsa_next_free_sgpr 20
		.amdhsa_reserve_vcc 1
		.amdhsa_float_round_mode_32 0
		.amdhsa_float_round_mode_16_64 0
		.amdhsa_float_denorm_mode_32 3
		.amdhsa_float_denorm_mode_16_64 3
		.amdhsa_dx10_clamp 1
		.amdhsa_ieee_mode 1
		.amdhsa_fp16_overflow 0
		.amdhsa_workgroup_processor_mode 1
		.amdhsa_memory_ordered 1
		.amdhsa_forward_progress 0
		.amdhsa_shared_vgpr_count 0
		.amdhsa_exception_fp_ieee_invalid_op 0
		.amdhsa_exception_fp_denorm_src 0
		.amdhsa_exception_fp_ieee_div_zero 0
		.amdhsa_exception_fp_ieee_overflow 0
		.amdhsa_exception_fp_ieee_underflow 0
		.amdhsa_exception_fp_ieee_inexact 0
		.amdhsa_exception_int_div_zero 0
	.end_amdhsa_kernel
	.section	.text._ZN9rocsolver6v33100L18trti2_kernel_smallILi45EdPdEEv13rocblas_fill_17rocblas_diagonal_T1_iil,"axG",@progbits,_ZN9rocsolver6v33100L18trti2_kernel_smallILi45EdPdEEv13rocblas_fill_17rocblas_diagonal_T1_iil,comdat
.Lfunc_end44:
	.size	_ZN9rocsolver6v33100L18trti2_kernel_smallILi45EdPdEEv13rocblas_fill_17rocblas_diagonal_T1_iil, .Lfunc_end44-_ZN9rocsolver6v33100L18trti2_kernel_smallILi45EdPdEEv13rocblas_fill_17rocblas_diagonal_T1_iil
                                        ; -- End function
	.section	.AMDGPU.csdata,"",@progbits
; Kernel info:
; codeLenInByte = 24536
; NumSgprs: 22
; NumVgprs: 143
; ScratchSize: 368
; MemoryBound: 0
; FloatMode: 240
; IeeeMode: 1
; LDSByteSize: 728 bytes/workgroup (compile time only)
; SGPRBlocks: 2
; VGPRBlocks: 17
; NumSGPRsForWavesPerEU: 22
; NumVGPRsForWavesPerEU: 143
; Occupancy: 10
; WaveLimiterHint : 0
; COMPUTE_PGM_RSRC2:SCRATCH_EN: 1
; COMPUTE_PGM_RSRC2:USER_SGPR: 15
; COMPUTE_PGM_RSRC2:TRAP_HANDLER: 0
; COMPUTE_PGM_RSRC2:TGID_X_EN: 1
; COMPUTE_PGM_RSRC2:TGID_Y_EN: 0
; COMPUTE_PGM_RSRC2:TGID_Z_EN: 0
; COMPUTE_PGM_RSRC2:TIDIG_COMP_CNT: 0
	.section	.text._ZN9rocsolver6v33100L18trti2_kernel_smallILi46EdPdEEv13rocblas_fill_17rocblas_diagonal_T1_iil,"axG",@progbits,_ZN9rocsolver6v33100L18trti2_kernel_smallILi46EdPdEEv13rocblas_fill_17rocblas_diagonal_T1_iil,comdat
	.globl	_ZN9rocsolver6v33100L18trti2_kernel_smallILi46EdPdEEv13rocblas_fill_17rocblas_diagonal_T1_iil ; -- Begin function _ZN9rocsolver6v33100L18trti2_kernel_smallILi46EdPdEEv13rocblas_fill_17rocblas_diagonal_T1_iil
	.p2align	8
	.type	_ZN9rocsolver6v33100L18trti2_kernel_smallILi46EdPdEEv13rocblas_fill_17rocblas_diagonal_T1_iil,@function
_ZN9rocsolver6v33100L18trti2_kernel_smallILi46EdPdEEv13rocblas_fill_17rocblas_diagonal_T1_iil: ; @_ZN9rocsolver6v33100L18trti2_kernel_smallILi46EdPdEEv13rocblas_fill_17rocblas_diagonal_T1_iil
; %bb.0:
	s_mov_b32 s2, exec_lo
	v_cmpx_gt_u32_e32 46, v0
	s_cbranch_execz .LBB45_896
; %bb.1:
	s_load_b256 s[0:7], s[0:1], 0x0
	s_ashr_i32 s8, s15, 31
	v_lshlrev_b32_e32 v95, 3, v0
	s_waitcnt lgkmcnt(0)
	s_mul_i32 s7, s15, s7
	s_mul_hi_u32 s9, s15, s6
	s_mul_i32 s8, s8, s6
	s_add_i32 s7, s9, s7
	s_mul_i32 s6, s15, s6
	s_add_i32 s7, s7, s8
	s_ashr_i32 s9, s4, 31
	s_lshl_b64 s[6:7], s[6:7], 3
	s_mov_b32 s8, s4
	s_add_u32 s4, s2, s6
	s_addc_u32 s7, s3, s7
	s_lshl_b64 s[2:3], s[8:9], 3
	v_add3_u32 v1, s5, s5, v0
	s_add_u32 s2, s4, s2
	s_addc_u32 s3, s7, s3
	v_add_co_u32 v9, s4, s2, v95
	s_mov_b32 s6, s5
	s_ashr_i32 s7, s5, 31
	v_add_co_ci_u32_e64 v10, null, s3, 0, s4
	s_lshl_b64 s[6:7], s[6:7], 3
	v_add_nc_u32_e32 v5, s5, v1
	v_add_co_u32 v15, vcc_lo, v9, s6
	v_ashrrev_i32_e32 v2, 31, v1
	v_add_co_ci_u32_e32 v16, vcc_lo, s7, v10, vcc_lo
	s_delay_alu instid0(VALU_DEP_4)
	v_ashrrev_i32_e32 v6, 31, v5
	s_clause 0x1
	global_load_b64 v[47:48], v95, s[2:3]
	global_load_b64 v[49:50], v[15:16], off
	v_lshlrev_b64 v[1:2], 3, v[1:2]
	s_cmpk_lg_i32 s1, 0x84
	v_lshlrev_b64 v[3:4], 3, v[5:6]
	v_add_nc_u32_e32 v5, s5, v5
	s_delay_alu instid0(VALU_DEP_3) | instskip(NEXT) | instid1(VALU_DEP_4)
	v_add_co_u32 v1, vcc_lo, s2, v1
	v_add_co_ci_u32_e32 v2, vcc_lo, s3, v2, vcc_lo
	s_delay_alu instid0(VALU_DEP_4)
	v_add_co_u32 v3, vcc_lo, s2, v3
	v_add_co_ci_u32_e32 v4, vcc_lo, s3, v4, vcc_lo
	s_clause 0x1
	global_load_b64 v[51:52], v[1:2], off
	global_load_b64 v[53:54], v[3:4], off
	v_add_nc_u32_e32 v7, s5, v5
	v_ashrrev_i32_e32 v6, 31, v5
	s_delay_alu instid0(VALU_DEP_2) | instskip(NEXT) | instid1(VALU_DEP_2)
	v_add_nc_u32_e32 v11, s5, v7
	v_lshlrev_b64 v[5:6], 3, v[5:6]
	v_ashrrev_i32_e32 v8, 31, v7
	s_delay_alu instid0(VALU_DEP_3) | instskip(SKIP_1) | instid1(VALU_DEP_4)
	v_add_nc_u32_e32 v13, s5, v11
	v_ashrrev_i32_e32 v12, 31, v11
	v_add_co_u32 v19, vcc_lo, s2, v5
	v_add_co_ci_u32_e32 v20, vcc_lo, s3, v6, vcc_lo
	s_delay_alu instid0(VALU_DEP_4)
	v_add_nc_u32_e32 v17, s5, v13
	v_lshlrev_b64 v[5:6], 3, v[7:8]
	v_ashrrev_i32_e32 v14, 31, v13
	v_lshlrev_b64 v[7:8], 3, v[11:12]
	global_load_b64 v[55:56], v[19:20], off
	v_add_nc_u32_e32 v21, s5, v17
	v_ashrrev_i32_e32 v18, 31, v17
	v_add_co_u32 v29, vcc_lo, s2, v5
	v_add_co_ci_u32_e32 v30, vcc_lo, s3, v6, vcc_lo
	s_delay_alu instid0(VALU_DEP_4)
	v_add_nc_u32_e32 v23, s5, v21
	v_lshlrev_b64 v[5:6], 3, v[13:14]
	v_add_co_u32 v13, vcc_lo, s2, v7
	global_load_b64 v[57:58], v[29:30], off
	v_add_nc_u32_e32 v27, s5, v23
	v_ashrrev_i32_e32 v22, 31, v21
	v_add_co_ci_u32_e32 v14, vcc_lo, s3, v8, vcc_lo
	v_lshlrev_b64 v[7:8], 3, v[17:18]
	s_delay_alu instid0(VALU_DEP_4) | instskip(SKIP_3) | instid1(VALU_DEP_4)
	v_add_nc_u32_e32 v31, s5, v27
	v_add_co_u32 v25, vcc_lo, s2, v5
	v_ashrrev_i32_e32 v24, 31, v23
	v_add_co_ci_u32_e32 v26, vcc_lo, s3, v6, vcc_lo
	v_add_nc_u32_e32 v33, s5, v31
	v_lshlrev_b64 v[5:6], 3, v[21:22]
	v_add_co_u32 v7, vcc_lo, s2, v7
	v_lshlrev_b64 v[11:12], 3, v[23:24]
	s_delay_alu instid0(VALU_DEP_4) | instskip(SKIP_3) | instid1(VALU_DEP_4)
	v_add_nc_u32_e32 v35, s5, v33
	v_ashrrev_i32_e32 v28, 31, v27
	v_add_co_ci_u32_e32 v8, vcc_lo, s3, v8, vcc_lo
	v_add_co_u32 v21, vcc_lo, s2, v5
	v_add_nc_u32_e32 v37, s5, v35
	v_ashrrev_i32_e32 v32, 31, v31
	v_add_co_ci_u32_e32 v22, vcc_lo, s3, v6, vcc_lo
	v_lshlrev_b64 v[17:18], 3, v[27:28]
	s_delay_alu instid0(VALU_DEP_4) | instskip(SKIP_3) | instid1(VALU_DEP_4)
	v_add_nc_u32_e32 v39, s5, v37
	v_add_co_u32 v5, vcc_lo, s2, v11
	v_ashrrev_i32_e32 v34, 31, v33
	v_add_co_ci_u32_e32 v6, vcc_lo, s3, v12, vcc_lo
	v_add_nc_u32_e32 v41, s5, v39
	v_lshlrev_b64 v[11:12], 3, v[31:32]
	v_ashrrev_i32_e32 v36, 31, v35
	v_add_co_u32 v17, vcc_lo, s2, v17
	s_delay_alu instid0(VALU_DEP_4) | instskip(SKIP_3) | instid1(VALU_DEP_4)
	v_add_nc_u32_e32 v43, s5, v41
	v_lshlrev_b64 v[23:24], 3, v[33:34]
	v_ashrrev_i32_e32 v38, 31, v37
	v_add_co_ci_u32_e32 v18, vcc_lo, s3, v18, vcc_lo
	v_add_nc_u32_e32 v45, s5, v43
	v_add_co_u32 v11, vcc_lo, s2, v11
	v_lshlrev_b64 v[27:28], 3, v[35:36]
	v_ashrrev_i32_e32 v40, 31, v39
	s_delay_alu instid0(VALU_DEP_4)
	v_add_nc_u32_e32 v59, s5, v45
	s_clause 0x2
	global_load_b64 v[61:62], v[13:14], off
	global_load_b64 v[63:64], v[25:26], off
	;; [unrolled: 1-line block ×3, first 2 shown]
	v_add_co_ci_u32_e32 v12, vcc_lo, s3, v12, vcc_lo
	global_load_b64 v[67:68], v[21:22], off
	v_add_nc_u32_e32 v85, s5, v59
	v_add_co_u32 v23, vcc_lo, s2, v23
	v_lshlrev_b64 v[31:32], 3, v[37:38]
	v_ashrrev_i32_e32 v42, 31, v41
	s_delay_alu instid0(VALU_DEP_4) | instskip(SKIP_2) | instid1(VALU_DEP_3)
	v_add_nc_u32_e32 v93, s5, v85
	v_add_co_ci_u32_e32 v24, vcc_lo, s3, v24, vcc_lo
	v_add_co_u32 v27, vcc_lo, s2, v27
	v_add_nc_u32_e32 v96, s5, v93
	v_lshlrev_b64 v[33:34], 3, v[39:40]
	v_add_co_ci_u32_e32 v28, vcc_lo, s3, v28, vcc_lo
	v_add_co_u32 v31, vcc_lo, s2, v31
	s_delay_alu instid0(VALU_DEP_4) | instskip(SKIP_3) | instid1(VALU_DEP_4)
	v_add_nc_u32_e32 v104, s5, v96
	v_lshlrev_b64 v[35:36], 3, v[41:42]
	v_ashrrev_i32_e32 v44, 31, v43
	v_add_co_ci_u32_e32 v32, vcc_lo, s3, v32, vcc_lo
	v_add_nc_u32_e32 v106, s5, v104
	v_add_co_u32 v33, vcc_lo, s2, v33
	v_ashrrev_i32_e32 v46, 31, v45
	s_clause 0x2
	global_load_b64 v[69:70], v[5:6], off
	global_load_b64 v[71:72], v[17:18], off
	;; [unrolled: 1-line block ×3, first 2 shown]
	v_add_nc_u32_e32 v108, s5, v106
	v_add_co_ci_u32_e32 v34, vcc_lo, s3, v34, vcc_lo
	v_lshlrev_b64 v[39:40], 3, v[43:44]
	global_load_b64 v[75:76], v[23:24], off
	v_add_nc_u32_e32 v110, s5, v108
	v_add_co_u32 v37, vcc_lo, s2, v35
	v_add_co_ci_u32_e32 v38, vcc_lo, s3, v36, vcc_lo
	s_delay_alu instid0(VALU_DEP_3) | instskip(SKIP_3) | instid1(VALU_DEP_4)
	v_add_nc_u32_e32 v112, s5, v110
	v_lshlrev_b64 v[35:36], 3, v[45:46]
	v_ashrrev_i32_e32 v60, 31, v59
	v_add_co_u32 v39, vcc_lo, s2, v39
	v_add_nc_u32_e32 v114, s5, v112
	v_add_co_ci_u32_e32 v40, vcc_lo, s3, v40, vcc_lo
	s_delay_alu instid0(VALU_DEP_4) | instskip(SKIP_1) | instid1(VALU_DEP_4)
	v_lshlrev_b64 v[45:46], 3, v[59:60]
	v_ashrrev_i32_e32 v86, 31, v85
	v_add_nc_u32_e32 v116, s5, v114
	v_add_co_u32 v41, vcc_lo, s2, v35
	v_add_co_ci_u32_e32 v42, vcc_lo, s3, v36, vcc_lo
	s_delay_alu instid0(VALU_DEP_3)
	v_add_nc_u32_e32 v118, s5, v116
	s_clause 0x3
	global_load_b64 v[77:78], v[27:28], off
	global_load_b64 v[79:80], v[31:32], off
	;; [unrolled: 1-line block ×4, first 2 shown]
	v_lshlrev_b64 v[59:60], 3, v[85:86]
	v_ashrrev_i32_e32 v94, 31, v93
	v_add_nc_u32_e32 v120, s5, v118
	v_ashrrev_i32_e32 v97, 31, v96
	v_ashrrev_i32_e32 v105, 31, v104
	v_ashrrev_i32_e32 v107, 31, v106
	v_ashrrev_i32_e32 v109, 31, v108
	v_add_nc_u32_e32 v122, s5, v120
	v_ashrrev_i32_e32 v111, 31, v110
	v_ashrrev_i32_e32 v113, 31, v112
	v_ashrrev_i32_e32 v115, 31, v114
	;; [unrolled: 5-line block ×3, first 2 shown]
	s_delay_alu instid0(VALU_DEP_4) | instskip(SKIP_1) | instid1(VALU_DEP_2)
	v_add_nc_u32_e32 v126, s5, v124
	v_ashrrev_i32_e32 v125, 31, v124
	v_add_nc_u32_e32 v128, s5, v126
	v_ashrrev_i32_e32 v127, 31, v126
	s_delay_alu instid0(VALU_DEP_2) | instskip(SKIP_1) | instid1(VALU_DEP_2)
	v_add_nc_u32_e32 v130, s5, v128
	v_ashrrev_i32_e32 v129, 31, v128
	v_add_nc_u32_e32 v132, s5, v130
	v_ashrrev_i32_e32 v131, 31, v130
	s_delay_alu instid0(VALU_DEP_2) | instskip(SKIP_1) | instid1(VALU_DEP_2)
	;; [unrolled: 5-line block ×5, first 2 shown]
	v_add_nc_u32_e32 v43, s5, v144
	v_ashrrev_i32_e32 v145, 31, v144
	v_ashrrev_i32_e32 v44, 31, v43
	s_delay_alu instid0(VALU_DEP_1) | instskip(SKIP_2) | instid1(VALU_DEP_3)
	v_lshlrev_b64 v[35:36], 3, v[43:44]
	v_add_co_u32 v43, vcc_lo, s2, v45
	v_add_co_ci_u32_e32 v44, vcc_lo, s3, v46, vcc_lo
	v_add_co_u32 v35, vcc_lo, s2, v35
	s_delay_alu instid0(VALU_DEP_4)
	v_add_co_ci_u32_e32 v36, vcc_lo, s3, v36, vcc_lo
	v_add_co_u32 v45, vcc_lo, s2, v59
	v_add_co_ci_u32_e32 v46, vcc_lo, s3, v60, vcc_lo
	global_load_b64 v[98:99], v[35:36], off
	v_lshlrev_b64 v[59:60], 3, v[108:109]
	s_waitcnt vmcnt(17)
	scratch_store_b128 off, v[47:50], off
	v_lshlrev_b64 v[47:48], 3, v[93:94]
	s_clause 0x3
	global_load_b64 v[85:86], v[39:40], off
	global_load_b64 v[87:88], v[41:42], off
	;; [unrolled: 1-line block ×4, first 2 shown]
	v_lshlrev_b64 v[49:50], 3, v[96:97]
	v_lshlrev_b64 v[93:94], 3, v[114:115]
	;; [unrolled: 1-line block ×3, first 2 shown]
	v_add_co_u32 v47, vcc_lo, s2, v47
	v_add_co_ci_u32_e32 v48, vcc_lo, s3, v48, vcc_lo
	v_add_co_u32 v49, vcc_lo, s2, v49
	v_add_co_ci_u32_e32 v50, vcc_lo, s3, v50, vcc_lo
	s_waitcnt vmcnt(19)
	scratch_store_b128 off, v[51:54], off offset:16
	s_clause 0x1
	global_load_b64 v[100:101], v[47:48], off
	global_load_b64 v[102:103], v[49:50], off
	v_lshlrev_b64 v[51:52], 3, v[104:105]
	v_lshlrev_b64 v[53:54], 3, v[106:107]
	s_delay_alu instid0(VALU_DEP_2) | instskip(NEXT) | instid1(VALU_DEP_3)
	v_add_co_u32 v51, vcc_lo, s2, v51
	v_add_co_ci_u32_e32 v52, vcc_lo, s3, v52, vcc_lo
	s_delay_alu instid0(VALU_DEP_3) | instskip(NEXT) | instid1(VALU_DEP_4)
	v_add_co_u32 v53, vcc_lo, s2, v53
	v_add_co_ci_u32_e32 v54, vcc_lo, s3, v54, vcc_lo
	global_load_b64 v[104:105], v[51:52], off
	s_waitcnt vmcnt(20)
	scratch_store_b128 off, v[55:58], off offset:32
	v_lshlrev_b64 v[57:58], 3, v[110:111]
	v_add_co_u32 v55, vcc_lo, s2, v59
	v_add_co_ci_u32_e32 v56, vcc_lo, s3, v60, vcc_lo
	v_lshlrev_b64 v[59:60], 3, v[112:113]
	s_delay_alu instid0(VALU_DEP_4)
	v_add_co_u32 v57, vcc_lo, s2, v57
	v_add_co_ci_u32_e32 v58, vcc_lo, s3, v58, vcc_lo
	s_waitcnt vmcnt(18)
	scratch_store_b128 off, v[61:64], off offset:48
	s_waitcnt vmcnt(16)
	scratch_store_b128 off, v[65:68], off offset:64
	v_add_co_u32 v59, vcc_lo, s2, v59
	v_add_co_ci_u32_e32 v60, vcc_lo, s3, v60, vcc_lo
	v_add_co_u32 v61, vcc_lo, s2, v93
	v_lshlrev_b64 v[65:66], 3, v[118:119]
	v_add_co_ci_u32_e32 v62, vcc_lo, s3, v94, vcc_lo
	v_add_co_u32 v63, vcc_lo, s2, v96
	v_lshlrev_b64 v[67:68], 3, v[120:121]
	;; [unrolled: 3-line block ×4, first 2 shown]
	v_add_co_ci_u32_e32 v68, vcc_lo, s3, v68, vcc_lo
	s_clause 0x3
	global_load_b64 v[106:107], v[53:54], off
	global_load_b64 v[108:109], v[55:56], off
	;; [unrolled: 1-line block ×4, first 2 shown]
	s_waitcnt vmcnt(18)
	scratch_store_b128 off, v[69:72], off offset:80
	s_waitcnt vmcnt(16)
	scratch_store_b128 off, v[73:76], off offset:96
	v_add_co_u32 v69, vcc_lo, s2, v93
	v_lshlrev_b64 v[73:74], 3, v[126:127]
	v_add_co_ci_u32_e32 v70, vcc_lo, s3, v94, vcc_lo
	v_add_co_u32 v71, vcc_lo, s2, v96
	v_lshlrev_b64 v[75:76], 3, v[128:129]
	v_add_co_ci_u32_e32 v72, vcc_lo, s3, v97, vcc_lo
	;; [unrolled: 3-line block ×4, first 2 shown]
	s_clause 0x3
	global_load_b64 v[114:115], v[61:62], off
	global_load_b64 v[116:117], v[63:64], off
	global_load_b64 v[118:119], v[65:66], off
	global_load_b64 v[120:121], v[67:68], off
	s_waitcnt vmcnt(18)
	scratch_store_b128 off, v[77:80], off offset:112
	s_waitcnt vmcnt(16)
	scratch_store_b128 off, v[81:84], off offset:128
	v_add_co_u32 v77, vcc_lo, s2, v93
	v_lshlrev_b64 v[81:82], 3, v[134:135]
	v_add_co_ci_u32_e32 v78, vcc_lo, s3, v94, vcc_lo
	v_add_co_u32 v79, vcc_lo, s2, v96
	v_lshlrev_b64 v[83:84], 3, v[136:137]
	v_add_co_ci_u32_e32 v80, vcc_lo, s3, v97, vcc_lo
	;; [unrolled: 3-line block ×4, first 2 shown]
	s_clause 0x3
	global_load_b64 v[122:123], v[69:70], off
	global_load_b64 v[124:125], v[71:72], off
	;; [unrolled: 1-line block ×4, first 2 shown]
	s_waitcnt vmcnt(17)
	scratch_store_b128 off, v[85:88], off offset:144
	s_waitcnt vmcnt(15)
	scratch_store_b128 off, v[89:92], off offset:160
	v_add_co_u32 v85, vcc_lo, s2, v93
	v_lshlrev_b64 v[87:88], 3, v[142:143]
	v_add_co_ci_u32_e32 v86, vcc_lo, s3, v94, vcc_lo
	v_add_co_u32 v89, vcc_lo, s2, v96
	v_lshlrev_b64 v[93:94], 3, v[144:145]
	v_add_co_ci_u32_e32 v90, vcc_lo, s3, v97, vcc_lo
	v_add_co_u32 v91, vcc_lo, s2, v87
	v_add_co_ci_u32_e32 v92, vcc_lo, s3, v88, vcc_lo
	s_delay_alu instid0(VALU_DEP_4)
	v_add_co_u32 v87, vcc_lo, s2, v93
	v_add_co_ci_u32_e32 v88, vcc_lo, s3, v94, vcc_lo
	s_clause 0x3
	global_load_b64 v[130:131], v[77:78], off
	global_load_b64 v[132:133], v[79:80], off
	;; [unrolled: 1-line block ×4, first 2 shown]
	s_waitcnt vmcnt(17)
	scratch_store_b128 off, v[100:103], off offset:176
	s_clause 0x3
	global_load_b64 v[138:139], v[85:86], off
	global_load_b64 v[100:101], v[89:90], off
	;; [unrolled: 1-line block ×4, first 2 shown]
	v_mov_b32_e32 v93, 0
	v_mov_b32_e32 v94, 0xbff00000
	s_cselect_b32 s2, -1, 0
	s_cmpk_eq_i32 s1, 0x84
	s_waitcnt vmcnt(19)
	scratch_store_b128 off, v[104:107], off offset:192
	s_waitcnt vmcnt(17)
	scratch_store_b128 off, v[108:111], off offset:208
	;; [unrolled: 2-line block ×11, first 2 shown]
	s_cbranch_scc1 .LBB45_3
; %bb.2:
	scratch_load_b64 v[93:94], v95, off
	s_waitcnt vmcnt(0)
	v_div_scale_f64 v[96:97], null, v[93:94], v[93:94], 1.0
	v_div_scale_f64 v[102:103], vcc_lo, 1.0, v[93:94], 1.0
	s_delay_alu instid0(VALU_DEP_2) | instskip(SKIP_2) | instid1(VALU_DEP_1)
	v_rcp_f64_e32 v[98:99], v[96:97]
	s_waitcnt_depctr 0xfff
	v_fma_f64 v[100:101], -v[96:97], v[98:99], 1.0
	v_fma_f64 v[98:99], v[98:99], v[100:101], v[98:99]
	s_delay_alu instid0(VALU_DEP_1) | instskip(NEXT) | instid1(VALU_DEP_1)
	v_fma_f64 v[100:101], -v[96:97], v[98:99], 1.0
	v_fma_f64 v[98:99], v[98:99], v[100:101], v[98:99]
	s_delay_alu instid0(VALU_DEP_1) | instskip(NEXT) | instid1(VALU_DEP_1)
	v_mul_f64 v[100:101], v[102:103], v[98:99]
	v_fma_f64 v[96:97], -v[96:97], v[100:101], v[102:103]
	s_delay_alu instid0(VALU_DEP_1) | instskip(NEXT) | instid1(VALU_DEP_1)
	v_div_fmas_f64 v[96:97], v[96:97], v[98:99], v[100:101]
	v_div_fixup_f64 v[93:94], v[96:97], v[93:94], 1.0
	scratch_store_b64 v95, v[93:94], off
	v_xor_b32_e32 v94, 0x80000000, v94
.LBB45_3:
	v_add_nc_u32_e32 v96, 0x170, v95
	v_add_nc_u32_e32 v97, 0, v95
	s_cmpk_eq_i32 s0, 0x79
	s_mov_b32 s0, -1
	ds_store_b64 v95, v[93:94]
	s_cbranch_scc1 .LBB45_449
; %bb.4:
	scratch_load_b64 v[93:94], off, off offset:352
	v_cmp_eq_u32_e64 s0, 45, v0
	s_movk_i32 s1, 0x50
	s_movk_i32 s3, 0x60
	;; [unrolled: 1-line block ×17, first 2 shown]
	s_waitcnt vmcnt(0)
	ds_store_b64 v96, v[93:94]
	s_waitcnt lgkmcnt(0)
	s_waitcnt_vscnt null, 0x0
	s_barrier
	buffer_gl0_inv
	s_and_saveexec_b32 s19, s0
	s_cbranch_execz .LBB45_10
; %bb.5:
	s_and_b32 vcc_lo, exec_lo, s2
	s_cbranch_vccz .LBB45_7
; %bb.6:
	scratch_load_b64 v[93:94], v97, off
	ds_load_b64 v[98:99], v96
	s_waitcnt vmcnt(0) lgkmcnt(0)
	v_mul_f64 v[93:94], v[93:94], v[98:99]
	s_cbranch_execz .LBB45_8
	s_branch .LBB45_9
.LBB45_7:
                                        ; implicit-def: $vgpr93_vgpr94
.LBB45_8:
	ds_load_b64 v[93:94], v96
.LBB45_9:
	v_mov_b32_e32 v98, 0
	ds_load_b64 v[98:99], v98 offset:352
	s_waitcnt lgkmcnt(0)
	v_mul_f64 v[93:94], v[93:94], v[98:99]
	scratch_store_b64 off, v[93:94], off offset:352
.LBB45_10:
	s_or_b32 exec_lo, exec_lo, s19
	scratch_load_b64 v[93:94], off, off offset:344
	v_add_nc_u32_e64 v98, 0, 16
	v_add_nc_u32_e64 v99, 0, 32
	;; [unrolled: 1-line block ×21, first 2 shown]
	v_cmp_lt_u32_e64 s1, 43, v0
	s_waitcnt vmcnt(0)
	ds_store_b64 v96, v[93:94]
	s_waitcnt lgkmcnt(0)
	s_waitcnt_vscnt null, 0x0
	s_barrier
	buffer_gl0_inv
	s_and_saveexec_b32 s3, s1
	s_cbranch_execz .LBB45_18
; %bb.11:
	s_and_not1_b32 vcc_lo, exec_lo, s2
	s_cbranch_vccnz .LBB45_13
; %bb.12:
	scratch_load_b64 v[93:94], v97, off
	ds_load_b64 v[119:120], v96
	s_waitcnt vmcnt(0) lgkmcnt(0)
	v_mul_f64 v[93:94], v[93:94], v[119:120]
	s_cbranch_execz .LBB45_14
	s_branch .LBB45_15
.LBB45_13:
                                        ; implicit-def: $vgpr93_vgpr94
.LBB45_14:
	ds_load_b64 v[93:94], v96
.LBB45_15:
	s_and_saveexec_b32 s4, s0
	s_cbranch_execz .LBB45_17
; %bb.16:
	scratch_load_b64 v[119:120], off, off offset:352
	v_mov_b32_e32 v121, 0
	ds_load_b64 v[121:122], v121 offset:720
	s_waitcnt vmcnt(0) lgkmcnt(0)
	v_fma_f64 v[93:94], v[119:120], v[121:122], v[93:94]
.LBB45_17:
	s_or_b32 exec_lo, exec_lo, s4
	v_mov_b32_e32 v119, 0
	ds_load_b64 v[119:120], v119 offset:344
	s_waitcnt lgkmcnt(0)
	v_mul_f64 v[93:94], v[93:94], v[119:120]
	scratch_store_b64 off, v[93:94], off offset:344
.LBB45_18:
	s_or_b32 exec_lo, exec_lo, s3
	scratch_load_b64 v[93:94], off, off offset:336
	v_cmp_lt_u32_e64 s0, 42, v0
	s_waitcnt vmcnt(0)
	ds_store_b64 v96, v[93:94]
	s_waitcnt lgkmcnt(0)
	s_waitcnt_vscnt null, 0x0
	s_barrier
	buffer_gl0_inv
	s_and_saveexec_b32 s3, s0
	s_cbranch_execz .LBB45_28
; %bb.19:
	s_and_not1_b32 vcc_lo, exec_lo, s2
	s_cbranch_vccnz .LBB45_21
; %bb.20:
	scratch_load_b64 v[93:94], v97, off
	ds_load_b64 v[119:120], v96
	s_waitcnt vmcnt(0) lgkmcnt(0)
	v_mul_f64 v[93:94], v[93:94], v[119:120]
	s_cbranch_execz .LBB45_22
	s_branch .LBB45_23
.LBB45_21:
                                        ; implicit-def: $vgpr93_vgpr94
.LBB45_22:
	ds_load_b64 v[93:94], v96
.LBB45_23:
	s_and_saveexec_b32 s4, s1
	s_cbranch_execz .LBB45_27
; %bb.24:
	v_mov_b32_e32 v119, 0
	v_subrev_nc_u32_e32 v120, 43, v0
	s_movk_i32 s5, 0x2c8
	s_mov_b32 s1, 0
	s_delay_alu instid0(VALU_DEP_2)
	v_add_nc_u32_e32 v119, 0x158, v119
.LBB45_25:                              ; =>This Inner Loop Header: Depth=1
	scratch_load_b64 v[121:122], v119, off
	v_dual_mov_b32 v123, s5 :: v_dual_add_nc_u32 v120, -1, v120
	v_add_nc_u32_e32 v119, 8, v119
	s_add_i32 s5, s5, 8
	ds_load_b64 v[123:124], v123
	v_cmp_eq_u32_e32 vcc_lo, 0, v120
	s_or_b32 s1, vcc_lo, s1
	s_waitcnt vmcnt(0) lgkmcnt(0)
	v_fma_f64 v[93:94], v[121:122], v[123:124], v[93:94]
	s_and_not1_b32 exec_lo, exec_lo, s1
	s_cbranch_execnz .LBB45_25
; %bb.26:
	s_or_b32 exec_lo, exec_lo, s1
.LBB45_27:
	s_delay_alu instid0(SALU_CYCLE_1)
	s_or_b32 exec_lo, exec_lo, s4
	v_mov_b32_e32 v119, 0
	ds_load_b64 v[119:120], v119 offset:336
	s_waitcnt lgkmcnt(0)
	v_mul_f64 v[93:94], v[93:94], v[119:120]
	scratch_store_b64 off, v[93:94], off offset:336
.LBB45_28:
	s_or_b32 exec_lo, exec_lo, s3
	scratch_load_b64 v[93:94], off, off offset:328
	v_cmp_lt_u32_e64 s1, 41, v0
	s_waitcnt vmcnt(0)
	ds_store_b64 v96, v[93:94]
	s_waitcnt lgkmcnt(0)
	s_waitcnt_vscnt null, 0x0
	s_barrier
	buffer_gl0_inv
	s_and_saveexec_b32 s3, s1
	s_cbranch_execz .LBB45_38
; %bb.29:
	s_and_not1_b32 vcc_lo, exec_lo, s2
	s_cbranch_vccnz .LBB45_31
; %bb.30:
	scratch_load_b64 v[93:94], v97, off
	ds_load_b64 v[119:120], v96
	s_waitcnt vmcnt(0) lgkmcnt(0)
	v_mul_f64 v[93:94], v[93:94], v[119:120]
	s_cbranch_execz .LBB45_32
	s_branch .LBB45_33
.LBB45_31:
                                        ; implicit-def: $vgpr93_vgpr94
.LBB45_32:
	ds_load_b64 v[93:94], v96
.LBB45_33:
	s_and_saveexec_b32 s4, s0
	s_cbranch_execz .LBB45_37
; %bb.34:
	v_subrev_nc_u32_e32 v119, 42, v0
	s_movk_i32 s5, 0x2c0
	s_mov_b32 s0, 0
.LBB45_35:                              ; =>This Inner Loop Header: Depth=1
	scratch_load_b64 v[120:121], v118, off
	v_dual_mov_b32 v122, s5 :: v_dual_add_nc_u32 v119, -1, v119
	v_add_nc_u32_e32 v118, 8, v118
	s_add_i32 s5, s5, 8
	ds_load_b64 v[122:123], v122
	v_cmp_eq_u32_e32 vcc_lo, 0, v119
	s_or_b32 s0, vcc_lo, s0
	s_waitcnt vmcnt(0) lgkmcnt(0)
	v_fma_f64 v[93:94], v[120:121], v[122:123], v[93:94]
	s_and_not1_b32 exec_lo, exec_lo, s0
	s_cbranch_execnz .LBB45_35
; %bb.36:
	s_or_b32 exec_lo, exec_lo, s0
.LBB45_37:
	s_delay_alu instid0(SALU_CYCLE_1)
	s_or_b32 exec_lo, exec_lo, s4
	v_mov_b32_e32 v118, 0
	ds_load_b64 v[118:119], v118 offset:328
	s_waitcnt lgkmcnt(0)
	v_mul_f64 v[93:94], v[93:94], v[118:119]
	scratch_store_b64 off, v[93:94], off offset:328
.LBB45_38:
	s_or_b32 exec_lo, exec_lo, s3
	scratch_load_b64 v[93:94], off, off offset:320
	v_cmp_lt_u32_e64 s0, 40, v0
	s_waitcnt vmcnt(0)
	ds_store_b64 v96, v[93:94]
	s_waitcnt lgkmcnt(0)
	s_waitcnt_vscnt null, 0x0
	s_barrier
	buffer_gl0_inv
	s_and_saveexec_b32 s3, s0
	s_cbranch_execz .LBB45_48
; %bb.39:
	s_and_not1_b32 vcc_lo, exec_lo, s2
	s_cbranch_vccnz .LBB45_41
; %bb.40:
	scratch_load_b64 v[93:94], v97, off
	ds_load_b64 v[118:119], v96
	s_waitcnt vmcnt(0) lgkmcnt(0)
	v_mul_f64 v[93:94], v[93:94], v[118:119]
	s_cbranch_execz .LBB45_42
	s_branch .LBB45_43
.LBB45_41:
                                        ; implicit-def: $vgpr93_vgpr94
.LBB45_42:
	ds_load_b64 v[93:94], v96
.LBB45_43:
	s_and_saveexec_b32 s4, s1
	s_cbranch_execz .LBB45_47
; %bb.44:
	v_mov_b32_e32 v118, 0
	v_subrev_nc_u32_e32 v119, 41, v0
	s_movk_i32 s5, 0x2b8
	s_mov_b32 s1, 0
	s_delay_alu instid0(VALU_DEP_2)
	v_add_nc_u32_e32 v118, 0x148, v118
.LBB45_45:                              ; =>This Inner Loop Header: Depth=1
	scratch_load_b64 v[120:121], v118, off
	v_dual_mov_b32 v122, s5 :: v_dual_add_nc_u32 v119, -1, v119
	v_add_nc_u32_e32 v118, 8, v118
	s_add_i32 s5, s5, 8
	ds_load_b64 v[122:123], v122
	v_cmp_eq_u32_e32 vcc_lo, 0, v119
	s_or_b32 s1, vcc_lo, s1
	s_waitcnt vmcnt(0) lgkmcnt(0)
	v_fma_f64 v[93:94], v[120:121], v[122:123], v[93:94]
	s_and_not1_b32 exec_lo, exec_lo, s1
	s_cbranch_execnz .LBB45_45
; %bb.46:
	s_or_b32 exec_lo, exec_lo, s1
.LBB45_47:
	s_delay_alu instid0(SALU_CYCLE_1)
	s_or_b32 exec_lo, exec_lo, s4
	v_mov_b32_e32 v118, 0
	ds_load_b64 v[118:119], v118 offset:320
	s_waitcnt lgkmcnt(0)
	v_mul_f64 v[93:94], v[93:94], v[118:119]
	scratch_store_b64 off, v[93:94], off offset:320
.LBB45_48:
	s_or_b32 exec_lo, exec_lo, s3
	scratch_load_b64 v[93:94], off, off offset:312
	v_cmp_lt_u32_e64 s1, 39, v0
	s_waitcnt vmcnt(0)
	ds_store_b64 v96, v[93:94]
	s_waitcnt lgkmcnt(0)
	s_waitcnt_vscnt null, 0x0
	s_barrier
	buffer_gl0_inv
	s_and_saveexec_b32 s3, s1
	s_cbranch_execz .LBB45_58
; %bb.49:
	s_and_not1_b32 vcc_lo, exec_lo, s2
	s_cbranch_vccnz .LBB45_51
; %bb.50:
	scratch_load_b64 v[93:94], v97, off
	ds_load_b64 v[118:119], v96
	s_waitcnt vmcnt(0) lgkmcnt(0)
	v_mul_f64 v[93:94], v[93:94], v[118:119]
	s_cbranch_execz .LBB45_52
	s_branch .LBB45_53
.LBB45_51:
                                        ; implicit-def: $vgpr93_vgpr94
.LBB45_52:
	ds_load_b64 v[93:94], v96
.LBB45_53:
	s_and_saveexec_b32 s4, s0
	s_cbranch_execz .LBB45_57
; %bb.54:
	v_subrev_nc_u32_e32 v118, 40, v0
	s_movk_i32 s5, 0x2b0
	s_mov_b32 s0, 0
.LBB45_55:                              ; =>This Inner Loop Header: Depth=1
	scratch_load_b64 v[119:120], v117, off
	v_dual_mov_b32 v121, s5 :: v_dual_add_nc_u32 v118, -1, v118
	v_add_nc_u32_e32 v117, 8, v117
	s_add_i32 s5, s5, 8
	ds_load_b64 v[121:122], v121
	v_cmp_eq_u32_e32 vcc_lo, 0, v118
	s_or_b32 s0, vcc_lo, s0
	s_waitcnt vmcnt(0) lgkmcnt(0)
	v_fma_f64 v[93:94], v[119:120], v[121:122], v[93:94]
	s_and_not1_b32 exec_lo, exec_lo, s0
	s_cbranch_execnz .LBB45_55
; %bb.56:
	s_or_b32 exec_lo, exec_lo, s0
.LBB45_57:
	s_delay_alu instid0(SALU_CYCLE_1)
	s_or_b32 exec_lo, exec_lo, s4
	v_mov_b32_e32 v117, 0
	ds_load_b64 v[117:118], v117 offset:312
	s_waitcnt lgkmcnt(0)
	v_mul_f64 v[93:94], v[93:94], v[117:118]
	scratch_store_b64 off, v[93:94], off offset:312
.LBB45_58:
	s_or_b32 exec_lo, exec_lo, s3
	scratch_load_b64 v[93:94], off, off offset:304
	v_cmp_lt_u32_e64 s0, 38, v0
	s_waitcnt vmcnt(0)
	ds_store_b64 v96, v[93:94]
	s_waitcnt lgkmcnt(0)
	s_waitcnt_vscnt null, 0x0
	s_barrier
	buffer_gl0_inv
	s_and_saveexec_b32 s3, s0
	s_cbranch_execz .LBB45_68
; %bb.59:
	s_and_not1_b32 vcc_lo, exec_lo, s2
	s_cbranch_vccnz .LBB45_61
; %bb.60:
	scratch_load_b64 v[93:94], v97, off
	ds_load_b64 v[117:118], v96
	s_waitcnt vmcnt(0) lgkmcnt(0)
	v_mul_f64 v[93:94], v[93:94], v[117:118]
	s_cbranch_execz .LBB45_62
	s_branch .LBB45_63
.LBB45_61:
                                        ; implicit-def: $vgpr93_vgpr94
.LBB45_62:
	ds_load_b64 v[93:94], v96
.LBB45_63:
	s_and_saveexec_b32 s4, s1
	s_cbranch_execz .LBB45_67
; %bb.64:
	v_mov_b32_e32 v117, 0
	v_subrev_nc_u32_e32 v118, 39, v0
	s_movk_i32 s5, 0x2a8
	s_mov_b32 s1, 0
	s_delay_alu instid0(VALU_DEP_2)
	v_add_nc_u32_e32 v117, 0x138, v117
.LBB45_65:                              ; =>This Inner Loop Header: Depth=1
	scratch_load_b64 v[119:120], v117, off
	v_dual_mov_b32 v121, s5 :: v_dual_add_nc_u32 v118, -1, v118
	v_add_nc_u32_e32 v117, 8, v117
	s_add_i32 s5, s5, 8
	ds_load_b64 v[121:122], v121
	v_cmp_eq_u32_e32 vcc_lo, 0, v118
	s_or_b32 s1, vcc_lo, s1
	s_waitcnt vmcnt(0) lgkmcnt(0)
	v_fma_f64 v[93:94], v[119:120], v[121:122], v[93:94]
	s_and_not1_b32 exec_lo, exec_lo, s1
	s_cbranch_execnz .LBB45_65
; %bb.66:
	s_or_b32 exec_lo, exec_lo, s1
.LBB45_67:
	s_delay_alu instid0(SALU_CYCLE_1)
	s_or_b32 exec_lo, exec_lo, s4
	v_mov_b32_e32 v117, 0
	ds_load_b64 v[117:118], v117 offset:304
	s_waitcnt lgkmcnt(0)
	v_mul_f64 v[93:94], v[93:94], v[117:118]
	scratch_store_b64 off, v[93:94], off offset:304
.LBB45_68:
	s_or_b32 exec_lo, exec_lo, s3
	scratch_load_b64 v[93:94], off, off offset:296
	v_cmp_lt_u32_e64 s1, 37, v0
	s_waitcnt vmcnt(0)
	ds_store_b64 v96, v[93:94]
	s_waitcnt lgkmcnt(0)
	s_waitcnt_vscnt null, 0x0
	s_barrier
	buffer_gl0_inv
	s_and_saveexec_b32 s3, s1
	s_cbranch_execz .LBB45_78
; %bb.69:
	s_and_not1_b32 vcc_lo, exec_lo, s2
	s_cbranch_vccnz .LBB45_71
; %bb.70:
	scratch_load_b64 v[93:94], v97, off
	ds_load_b64 v[117:118], v96
	s_waitcnt vmcnt(0) lgkmcnt(0)
	v_mul_f64 v[93:94], v[93:94], v[117:118]
	s_cbranch_execz .LBB45_72
	s_branch .LBB45_73
.LBB45_71:
                                        ; implicit-def: $vgpr93_vgpr94
.LBB45_72:
	ds_load_b64 v[93:94], v96
.LBB45_73:
	s_and_saveexec_b32 s4, s0
	s_cbranch_execz .LBB45_77
; %bb.74:
	v_subrev_nc_u32_e32 v117, 38, v0
	s_movk_i32 s5, 0x2a0
	s_mov_b32 s0, 0
.LBB45_75:                              ; =>This Inner Loop Header: Depth=1
	scratch_load_b64 v[118:119], v116, off
	v_dual_mov_b32 v120, s5 :: v_dual_add_nc_u32 v117, -1, v117
	v_add_nc_u32_e32 v116, 8, v116
	s_add_i32 s5, s5, 8
	ds_load_b64 v[120:121], v120
	v_cmp_eq_u32_e32 vcc_lo, 0, v117
	s_or_b32 s0, vcc_lo, s0
	s_waitcnt vmcnt(0) lgkmcnt(0)
	v_fma_f64 v[93:94], v[118:119], v[120:121], v[93:94]
	s_and_not1_b32 exec_lo, exec_lo, s0
	s_cbranch_execnz .LBB45_75
; %bb.76:
	s_or_b32 exec_lo, exec_lo, s0
.LBB45_77:
	s_delay_alu instid0(SALU_CYCLE_1)
	s_or_b32 exec_lo, exec_lo, s4
	v_mov_b32_e32 v116, 0
	ds_load_b64 v[116:117], v116 offset:296
	s_waitcnt lgkmcnt(0)
	v_mul_f64 v[93:94], v[93:94], v[116:117]
	scratch_store_b64 off, v[93:94], off offset:296
.LBB45_78:
	s_or_b32 exec_lo, exec_lo, s3
	scratch_load_b64 v[93:94], off, off offset:288
	v_cmp_lt_u32_e64 s0, 36, v0
	s_waitcnt vmcnt(0)
	ds_store_b64 v96, v[93:94]
	s_waitcnt lgkmcnt(0)
	s_waitcnt_vscnt null, 0x0
	s_barrier
	buffer_gl0_inv
	s_and_saveexec_b32 s3, s0
	s_cbranch_execz .LBB45_88
; %bb.79:
	s_and_not1_b32 vcc_lo, exec_lo, s2
	s_cbranch_vccnz .LBB45_81
; %bb.80:
	scratch_load_b64 v[93:94], v97, off
	ds_load_b64 v[116:117], v96
	s_waitcnt vmcnt(0) lgkmcnt(0)
	v_mul_f64 v[93:94], v[93:94], v[116:117]
	s_cbranch_execz .LBB45_82
	s_branch .LBB45_83
.LBB45_81:
                                        ; implicit-def: $vgpr93_vgpr94
.LBB45_82:
	ds_load_b64 v[93:94], v96
.LBB45_83:
	s_and_saveexec_b32 s4, s1
	s_cbranch_execz .LBB45_87
; %bb.84:
	v_mov_b32_e32 v116, 0
	v_subrev_nc_u32_e32 v117, 37, v0
	s_movk_i32 s5, 0x298
	s_mov_b32 s1, 0
	s_delay_alu instid0(VALU_DEP_2)
	v_add_nc_u32_e32 v116, 0x128, v116
.LBB45_85:                              ; =>This Inner Loop Header: Depth=1
	scratch_load_b64 v[118:119], v116, off
	v_dual_mov_b32 v120, s5 :: v_dual_add_nc_u32 v117, -1, v117
	v_add_nc_u32_e32 v116, 8, v116
	s_add_i32 s5, s5, 8
	ds_load_b64 v[120:121], v120
	v_cmp_eq_u32_e32 vcc_lo, 0, v117
	s_or_b32 s1, vcc_lo, s1
	s_waitcnt vmcnt(0) lgkmcnt(0)
	v_fma_f64 v[93:94], v[118:119], v[120:121], v[93:94]
	s_and_not1_b32 exec_lo, exec_lo, s1
	s_cbranch_execnz .LBB45_85
; %bb.86:
	s_or_b32 exec_lo, exec_lo, s1
.LBB45_87:
	s_delay_alu instid0(SALU_CYCLE_1)
	s_or_b32 exec_lo, exec_lo, s4
	v_mov_b32_e32 v116, 0
	ds_load_b64 v[116:117], v116 offset:288
	s_waitcnt lgkmcnt(0)
	v_mul_f64 v[93:94], v[93:94], v[116:117]
	scratch_store_b64 off, v[93:94], off offset:288
.LBB45_88:
	s_or_b32 exec_lo, exec_lo, s3
	scratch_load_b64 v[93:94], off, off offset:280
	v_cmp_lt_u32_e64 s1, 35, v0
	s_waitcnt vmcnt(0)
	ds_store_b64 v96, v[93:94]
	s_waitcnt lgkmcnt(0)
	s_waitcnt_vscnt null, 0x0
	s_barrier
	buffer_gl0_inv
	s_and_saveexec_b32 s3, s1
	s_cbranch_execz .LBB45_98
; %bb.89:
	s_and_not1_b32 vcc_lo, exec_lo, s2
	s_cbranch_vccnz .LBB45_91
; %bb.90:
	scratch_load_b64 v[93:94], v97, off
	ds_load_b64 v[116:117], v96
	s_waitcnt vmcnt(0) lgkmcnt(0)
	v_mul_f64 v[93:94], v[93:94], v[116:117]
	s_cbranch_execz .LBB45_92
	s_branch .LBB45_93
.LBB45_91:
                                        ; implicit-def: $vgpr93_vgpr94
.LBB45_92:
	ds_load_b64 v[93:94], v96
.LBB45_93:
	s_and_saveexec_b32 s4, s0
	s_cbranch_execz .LBB45_97
; %bb.94:
	v_subrev_nc_u32_e32 v116, 36, v0
	s_movk_i32 s5, 0x290
	s_mov_b32 s0, 0
.LBB45_95:                              ; =>This Inner Loop Header: Depth=1
	scratch_load_b64 v[117:118], v115, off
	v_dual_mov_b32 v119, s5 :: v_dual_add_nc_u32 v116, -1, v116
	v_add_nc_u32_e32 v115, 8, v115
	s_add_i32 s5, s5, 8
	ds_load_b64 v[119:120], v119
	v_cmp_eq_u32_e32 vcc_lo, 0, v116
	s_or_b32 s0, vcc_lo, s0
	s_waitcnt vmcnt(0) lgkmcnt(0)
	v_fma_f64 v[93:94], v[117:118], v[119:120], v[93:94]
	s_and_not1_b32 exec_lo, exec_lo, s0
	s_cbranch_execnz .LBB45_95
; %bb.96:
	s_or_b32 exec_lo, exec_lo, s0
.LBB45_97:
	s_delay_alu instid0(SALU_CYCLE_1)
	s_or_b32 exec_lo, exec_lo, s4
	v_mov_b32_e32 v115, 0
	ds_load_b64 v[115:116], v115 offset:280
	s_waitcnt lgkmcnt(0)
	v_mul_f64 v[93:94], v[93:94], v[115:116]
	scratch_store_b64 off, v[93:94], off offset:280
.LBB45_98:
	s_or_b32 exec_lo, exec_lo, s3
	scratch_load_b64 v[93:94], off, off offset:272
	v_cmp_lt_u32_e64 s0, 34, v0
	s_waitcnt vmcnt(0)
	ds_store_b64 v96, v[93:94]
	s_waitcnt lgkmcnt(0)
	s_waitcnt_vscnt null, 0x0
	s_barrier
	buffer_gl0_inv
	s_and_saveexec_b32 s3, s0
	s_cbranch_execz .LBB45_108
; %bb.99:
	s_and_not1_b32 vcc_lo, exec_lo, s2
	s_cbranch_vccnz .LBB45_101
; %bb.100:
	scratch_load_b64 v[93:94], v97, off
	ds_load_b64 v[115:116], v96
	s_waitcnt vmcnt(0) lgkmcnt(0)
	v_mul_f64 v[93:94], v[93:94], v[115:116]
	s_cbranch_execz .LBB45_102
	s_branch .LBB45_103
.LBB45_101:
                                        ; implicit-def: $vgpr93_vgpr94
.LBB45_102:
	ds_load_b64 v[93:94], v96
.LBB45_103:
	s_and_saveexec_b32 s4, s1
	s_cbranch_execz .LBB45_107
; %bb.104:
	v_mov_b32_e32 v115, 0
	v_subrev_nc_u32_e32 v116, 35, v0
	s_movk_i32 s5, 0x288
	s_mov_b32 s1, 0
	s_delay_alu instid0(VALU_DEP_2)
	v_add_nc_u32_e32 v115, 0x118, v115
.LBB45_105:                             ; =>This Inner Loop Header: Depth=1
	scratch_load_b64 v[117:118], v115, off
	v_dual_mov_b32 v119, s5 :: v_dual_add_nc_u32 v116, -1, v116
	v_add_nc_u32_e32 v115, 8, v115
	s_add_i32 s5, s5, 8
	ds_load_b64 v[119:120], v119
	v_cmp_eq_u32_e32 vcc_lo, 0, v116
	s_or_b32 s1, vcc_lo, s1
	s_waitcnt vmcnt(0) lgkmcnt(0)
	v_fma_f64 v[93:94], v[117:118], v[119:120], v[93:94]
	s_and_not1_b32 exec_lo, exec_lo, s1
	s_cbranch_execnz .LBB45_105
; %bb.106:
	s_or_b32 exec_lo, exec_lo, s1
.LBB45_107:
	s_delay_alu instid0(SALU_CYCLE_1)
	s_or_b32 exec_lo, exec_lo, s4
	v_mov_b32_e32 v115, 0
	ds_load_b64 v[115:116], v115 offset:272
	s_waitcnt lgkmcnt(0)
	v_mul_f64 v[93:94], v[93:94], v[115:116]
	scratch_store_b64 off, v[93:94], off offset:272
.LBB45_108:
	s_or_b32 exec_lo, exec_lo, s3
	scratch_load_b64 v[93:94], off, off offset:264
	v_cmp_lt_u32_e64 s1, 33, v0
	s_waitcnt vmcnt(0)
	ds_store_b64 v96, v[93:94]
	s_waitcnt lgkmcnt(0)
	s_waitcnt_vscnt null, 0x0
	s_barrier
	buffer_gl0_inv
	s_and_saveexec_b32 s3, s1
	s_cbranch_execz .LBB45_118
; %bb.109:
	s_and_not1_b32 vcc_lo, exec_lo, s2
	s_cbranch_vccnz .LBB45_111
; %bb.110:
	scratch_load_b64 v[93:94], v97, off
	ds_load_b64 v[115:116], v96
	s_waitcnt vmcnt(0) lgkmcnt(0)
	v_mul_f64 v[93:94], v[93:94], v[115:116]
	s_cbranch_execz .LBB45_112
	s_branch .LBB45_113
.LBB45_111:
                                        ; implicit-def: $vgpr93_vgpr94
.LBB45_112:
	ds_load_b64 v[93:94], v96
.LBB45_113:
	s_and_saveexec_b32 s4, s0
	s_cbranch_execz .LBB45_117
; %bb.114:
	v_subrev_nc_u32_e32 v115, 34, v0
	s_movk_i32 s5, 0x280
	s_mov_b32 s0, 0
.LBB45_115:                             ; =>This Inner Loop Header: Depth=1
	scratch_load_b64 v[116:117], v114, off
	v_dual_mov_b32 v118, s5 :: v_dual_add_nc_u32 v115, -1, v115
	v_add_nc_u32_e32 v114, 8, v114
	s_add_i32 s5, s5, 8
	ds_load_b64 v[118:119], v118
	v_cmp_eq_u32_e32 vcc_lo, 0, v115
	s_or_b32 s0, vcc_lo, s0
	s_waitcnt vmcnt(0) lgkmcnt(0)
	v_fma_f64 v[93:94], v[116:117], v[118:119], v[93:94]
	s_and_not1_b32 exec_lo, exec_lo, s0
	s_cbranch_execnz .LBB45_115
; %bb.116:
	s_or_b32 exec_lo, exec_lo, s0
.LBB45_117:
	s_delay_alu instid0(SALU_CYCLE_1)
	s_or_b32 exec_lo, exec_lo, s4
	v_mov_b32_e32 v114, 0
	ds_load_b64 v[114:115], v114 offset:264
	s_waitcnt lgkmcnt(0)
	v_mul_f64 v[93:94], v[93:94], v[114:115]
	scratch_store_b64 off, v[93:94], off offset:264
.LBB45_118:
	s_or_b32 exec_lo, exec_lo, s3
	scratch_load_b64 v[93:94], off, off offset:256
	v_cmp_lt_u32_e64 s0, 32, v0
	s_waitcnt vmcnt(0)
	ds_store_b64 v96, v[93:94]
	s_waitcnt lgkmcnt(0)
	s_waitcnt_vscnt null, 0x0
	s_barrier
	buffer_gl0_inv
	s_and_saveexec_b32 s3, s0
	s_cbranch_execz .LBB45_128
; %bb.119:
	s_and_not1_b32 vcc_lo, exec_lo, s2
	s_cbranch_vccnz .LBB45_121
; %bb.120:
	scratch_load_b64 v[93:94], v97, off
	ds_load_b64 v[114:115], v96
	s_waitcnt vmcnt(0) lgkmcnt(0)
	v_mul_f64 v[93:94], v[93:94], v[114:115]
	s_cbranch_execz .LBB45_122
	s_branch .LBB45_123
.LBB45_121:
                                        ; implicit-def: $vgpr93_vgpr94
.LBB45_122:
	ds_load_b64 v[93:94], v96
.LBB45_123:
	s_and_saveexec_b32 s4, s1
	s_cbranch_execz .LBB45_127
; %bb.124:
	v_mov_b32_e32 v114, 0
	v_subrev_nc_u32_e32 v115, 33, v0
	s_movk_i32 s5, 0x278
	s_mov_b32 s1, 0
	s_delay_alu instid0(VALU_DEP_2)
	v_add_nc_u32_e32 v114, 0x108, v114
.LBB45_125:                             ; =>This Inner Loop Header: Depth=1
	scratch_load_b64 v[116:117], v114, off
	v_dual_mov_b32 v118, s5 :: v_dual_add_nc_u32 v115, -1, v115
	v_add_nc_u32_e32 v114, 8, v114
	s_add_i32 s5, s5, 8
	ds_load_b64 v[118:119], v118
	v_cmp_eq_u32_e32 vcc_lo, 0, v115
	s_or_b32 s1, vcc_lo, s1
	s_waitcnt vmcnt(0) lgkmcnt(0)
	v_fma_f64 v[93:94], v[116:117], v[118:119], v[93:94]
	s_and_not1_b32 exec_lo, exec_lo, s1
	s_cbranch_execnz .LBB45_125
; %bb.126:
	s_or_b32 exec_lo, exec_lo, s1
.LBB45_127:
	s_delay_alu instid0(SALU_CYCLE_1)
	s_or_b32 exec_lo, exec_lo, s4
	v_mov_b32_e32 v114, 0
	ds_load_b64 v[114:115], v114 offset:256
	s_waitcnt lgkmcnt(0)
	v_mul_f64 v[93:94], v[93:94], v[114:115]
	scratch_store_b64 off, v[93:94], off offset:256
.LBB45_128:
	s_or_b32 exec_lo, exec_lo, s3
	scratch_load_b64 v[93:94], off, off offset:248
	v_cmp_lt_u32_e64 s1, 31, v0
	s_waitcnt vmcnt(0)
	ds_store_b64 v96, v[93:94]
	s_waitcnt lgkmcnt(0)
	s_waitcnt_vscnt null, 0x0
	s_barrier
	buffer_gl0_inv
	s_and_saveexec_b32 s3, s1
	s_cbranch_execz .LBB45_138
; %bb.129:
	s_and_not1_b32 vcc_lo, exec_lo, s2
	s_cbranch_vccnz .LBB45_131
; %bb.130:
	scratch_load_b64 v[93:94], v97, off
	ds_load_b64 v[114:115], v96
	s_waitcnt vmcnt(0) lgkmcnt(0)
	v_mul_f64 v[93:94], v[93:94], v[114:115]
	s_cbranch_execz .LBB45_132
	s_branch .LBB45_133
.LBB45_131:
                                        ; implicit-def: $vgpr93_vgpr94
.LBB45_132:
	ds_load_b64 v[93:94], v96
.LBB45_133:
	s_and_saveexec_b32 s4, s0
	s_cbranch_execz .LBB45_137
; %bb.134:
	v_subrev_nc_u32_e32 v114, 32, v0
	s_movk_i32 s5, 0x270
	s_mov_b32 s0, 0
.LBB45_135:                             ; =>This Inner Loop Header: Depth=1
	scratch_load_b64 v[115:116], v113, off
	v_dual_mov_b32 v117, s5 :: v_dual_add_nc_u32 v114, -1, v114
	v_add_nc_u32_e32 v113, 8, v113
	s_add_i32 s5, s5, 8
	ds_load_b64 v[117:118], v117
	v_cmp_eq_u32_e32 vcc_lo, 0, v114
	s_or_b32 s0, vcc_lo, s0
	s_waitcnt vmcnt(0) lgkmcnt(0)
	v_fma_f64 v[93:94], v[115:116], v[117:118], v[93:94]
	s_and_not1_b32 exec_lo, exec_lo, s0
	s_cbranch_execnz .LBB45_135
; %bb.136:
	s_or_b32 exec_lo, exec_lo, s0
.LBB45_137:
	s_delay_alu instid0(SALU_CYCLE_1)
	s_or_b32 exec_lo, exec_lo, s4
	v_mov_b32_e32 v113, 0
	ds_load_b64 v[113:114], v113 offset:248
	s_waitcnt lgkmcnt(0)
	v_mul_f64 v[93:94], v[93:94], v[113:114]
	scratch_store_b64 off, v[93:94], off offset:248
.LBB45_138:
	s_or_b32 exec_lo, exec_lo, s3
	scratch_load_b64 v[93:94], off, off offset:240
	v_cmp_lt_u32_e64 s0, 30, v0
	s_waitcnt vmcnt(0)
	ds_store_b64 v96, v[93:94]
	s_waitcnt lgkmcnt(0)
	s_waitcnt_vscnt null, 0x0
	s_barrier
	buffer_gl0_inv
	s_and_saveexec_b32 s3, s0
	s_cbranch_execz .LBB45_148
; %bb.139:
	s_and_not1_b32 vcc_lo, exec_lo, s2
	s_cbranch_vccnz .LBB45_141
; %bb.140:
	scratch_load_b64 v[93:94], v97, off
	ds_load_b64 v[113:114], v96
	s_waitcnt vmcnt(0) lgkmcnt(0)
	v_mul_f64 v[93:94], v[93:94], v[113:114]
	s_cbranch_execz .LBB45_142
	s_branch .LBB45_143
.LBB45_141:
                                        ; implicit-def: $vgpr93_vgpr94
.LBB45_142:
	ds_load_b64 v[93:94], v96
.LBB45_143:
	s_and_saveexec_b32 s4, s1
	s_cbranch_execz .LBB45_147
; %bb.144:
	v_mov_b32_e32 v113, 0
	v_subrev_nc_u32_e32 v114, 31, v0
	s_movk_i32 s5, 0x268
	s_mov_b32 s1, 0
	s_delay_alu instid0(VALU_DEP_2)
	v_add_nc_u32_e32 v113, 0xf8, v113
.LBB45_145:                             ; =>This Inner Loop Header: Depth=1
	scratch_load_b64 v[115:116], v113, off
	v_dual_mov_b32 v117, s5 :: v_dual_add_nc_u32 v114, -1, v114
	v_add_nc_u32_e32 v113, 8, v113
	s_add_i32 s5, s5, 8
	ds_load_b64 v[117:118], v117
	v_cmp_eq_u32_e32 vcc_lo, 0, v114
	s_or_b32 s1, vcc_lo, s1
	s_waitcnt vmcnt(0) lgkmcnt(0)
	v_fma_f64 v[93:94], v[115:116], v[117:118], v[93:94]
	s_and_not1_b32 exec_lo, exec_lo, s1
	s_cbranch_execnz .LBB45_145
; %bb.146:
	s_or_b32 exec_lo, exec_lo, s1
.LBB45_147:
	s_delay_alu instid0(SALU_CYCLE_1)
	s_or_b32 exec_lo, exec_lo, s4
	v_mov_b32_e32 v113, 0
	ds_load_b64 v[113:114], v113 offset:240
	s_waitcnt lgkmcnt(0)
	v_mul_f64 v[93:94], v[93:94], v[113:114]
	scratch_store_b64 off, v[93:94], off offset:240
.LBB45_148:
	s_or_b32 exec_lo, exec_lo, s3
	scratch_load_b64 v[93:94], off, off offset:232
	v_cmp_lt_u32_e64 s1, 29, v0
	s_waitcnt vmcnt(0)
	ds_store_b64 v96, v[93:94]
	s_waitcnt lgkmcnt(0)
	s_waitcnt_vscnt null, 0x0
	s_barrier
	buffer_gl0_inv
	s_and_saveexec_b32 s3, s1
	s_cbranch_execz .LBB45_158
; %bb.149:
	s_and_not1_b32 vcc_lo, exec_lo, s2
	s_cbranch_vccnz .LBB45_151
; %bb.150:
	scratch_load_b64 v[93:94], v97, off
	ds_load_b64 v[113:114], v96
	s_waitcnt vmcnt(0) lgkmcnt(0)
	v_mul_f64 v[93:94], v[93:94], v[113:114]
	s_cbranch_execz .LBB45_152
	s_branch .LBB45_153
.LBB45_151:
                                        ; implicit-def: $vgpr93_vgpr94
.LBB45_152:
	ds_load_b64 v[93:94], v96
.LBB45_153:
	s_and_saveexec_b32 s4, s0
	s_cbranch_execz .LBB45_157
; %bb.154:
	v_subrev_nc_u32_e32 v113, 30, v0
	s_movk_i32 s5, 0x260
	s_mov_b32 s0, 0
.LBB45_155:                             ; =>This Inner Loop Header: Depth=1
	scratch_load_b64 v[114:115], v112, off
	v_dual_mov_b32 v116, s5 :: v_dual_add_nc_u32 v113, -1, v113
	v_add_nc_u32_e32 v112, 8, v112
	s_add_i32 s5, s5, 8
	ds_load_b64 v[116:117], v116
	v_cmp_eq_u32_e32 vcc_lo, 0, v113
	s_or_b32 s0, vcc_lo, s0
	s_waitcnt vmcnt(0) lgkmcnt(0)
	v_fma_f64 v[93:94], v[114:115], v[116:117], v[93:94]
	s_and_not1_b32 exec_lo, exec_lo, s0
	s_cbranch_execnz .LBB45_155
; %bb.156:
	s_or_b32 exec_lo, exec_lo, s0
.LBB45_157:
	s_delay_alu instid0(SALU_CYCLE_1)
	s_or_b32 exec_lo, exec_lo, s4
	v_mov_b32_e32 v112, 0
	ds_load_b64 v[112:113], v112 offset:232
	s_waitcnt lgkmcnt(0)
	v_mul_f64 v[93:94], v[93:94], v[112:113]
	scratch_store_b64 off, v[93:94], off offset:232
.LBB45_158:
	s_or_b32 exec_lo, exec_lo, s3
	scratch_load_b64 v[93:94], off, off offset:224
	v_cmp_lt_u32_e64 s0, 28, v0
	s_waitcnt vmcnt(0)
	ds_store_b64 v96, v[93:94]
	s_waitcnt lgkmcnt(0)
	s_waitcnt_vscnt null, 0x0
	s_barrier
	buffer_gl0_inv
	s_and_saveexec_b32 s3, s0
	s_cbranch_execz .LBB45_168
; %bb.159:
	s_and_not1_b32 vcc_lo, exec_lo, s2
	s_cbranch_vccnz .LBB45_161
; %bb.160:
	scratch_load_b64 v[93:94], v97, off
	ds_load_b64 v[112:113], v96
	s_waitcnt vmcnt(0) lgkmcnt(0)
	v_mul_f64 v[93:94], v[93:94], v[112:113]
	s_cbranch_execz .LBB45_162
	s_branch .LBB45_163
.LBB45_161:
                                        ; implicit-def: $vgpr93_vgpr94
.LBB45_162:
	ds_load_b64 v[93:94], v96
.LBB45_163:
	s_and_saveexec_b32 s4, s1
	s_cbranch_execz .LBB45_167
; %bb.164:
	v_mov_b32_e32 v112, 0
	v_subrev_nc_u32_e32 v113, 29, v0
	s_movk_i32 s5, 0x258
	s_mov_b32 s1, 0
	s_delay_alu instid0(VALU_DEP_2)
	v_add_nc_u32_e32 v112, 0xe8, v112
.LBB45_165:                             ; =>This Inner Loop Header: Depth=1
	scratch_load_b64 v[114:115], v112, off
	v_dual_mov_b32 v116, s5 :: v_dual_add_nc_u32 v113, -1, v113
	v_add_nc_u32_e32 v112, 8, v112
	s_add_i32 s5, s5, 8
	ds_load_b64 v[116:117], v116
	v_cmp_eq_u32_e32 vcc_lo, 0, v113
	s_or_b32 s1, vcc_lo, s1
	s_waitcnt vmcnt(0) lgkmcnt(0)
	v_fma_f64 v[93:94], v[114:115], v[116:117], v[93:94]
	s_and_not1_b32 exec_lo, exec_lo, s1
	s_cbranch_execnz .LBB45_165
; %bb.166:
	s_or_b32 exec_lo, exec_lo, s1
.LBB45_167:
	s_delay_alu instid0(SALU_CYCLE_1)
	s_or_b32 exec_lo, exec_lo, s4
	v_mov_b32_e32 v112, 0
	ds_load_b64 v[112:113], v112 offset:224
	s_waitcnt lgkmcnt(0)
	v_mul_f64 v[93:94], v[93:94], v[112:113]
	scratch_store_b64 off, v[93:94], off offset:224
.LBB45_168:
	s_or_b32 exec_lo, exec_lo, s3
	scratch_load_b64 v[93:94], off, off offset:216
	v_cmp_lt_u32_e64 s1, 27, v0
	s_waitcnt vmcnt(0)
	ds_store_b64 v96, v[93:94]
	s_waitcnt lgkmcnt(0)
	s_waitcnt_vscnt null, 0x0
	s_barrier
	buffer_gl0_inv
	s_and_saveexec_b32 s3, s1
	s_cbranch_execz .LBB45_178
; %bb.169:
	s_and_not1_b32 vcc_lo, exec_lo, s2
	s_cbranch_vccnz .LBB45_171
; %bb.170:
	scratch_load_b64 v[93:94], v97, off
	ds_load_b64 v[112:113], v96
	s_waitcnt vmcnt(0) lgkmcnt(0)
	v_mul_f64 v[93:94], v[93:94], v[112:113]
	s_cbranch_execz .LBB45_172
	s_branch .LBB45_173
.LBB45_171:
                                        ; implicit-def: $vgpr93_vgpr94
.LBB45_172:
	ds_load_b64 v[93:94], v96
.LBB45_173:
	s_and_saveexec_b32 s4, s0
	s_cbranch_execz .LBB45_177
; %bb.174:
	v_subrev_nc_u32_e32 v112, 28, v0
	s_movk_i32 s5, 0x250
	s_mov_b32 s0, 0
.LBB45_175:                             ; =>This Inner Loop Header: Depth=1
	scratch_load_b64 v[113:114], v111, off
	v_dual_mov_b32 v115, s5 :: v_dual_add_nc_u32 v112, -1, v112
	v_add_nc_u32_e32 v111, 8, v111
	s_add_i32 s5, s5, 8
	ds_load_b64 v[115:116], v115
	v_cmp_eq_u32_e32 vcc_lo, 0, v112
	s_or_b32 s0, vcc_lo, s0
	s_waitcnt vmcnt(0) lgkmcnt(0)
	v_fma_f64 v[93:94], v[113:114], v[115:116], v[93:94]
	s_and_not1_b32 exec_lo, exec_lo, s0
	s_cbranch_execnz .LBB45_175
; %bb.176:
	s_or_b32 exec_lo, exec_lo, s0
.LBB45_177:
	s_delay_alu instid0(SALU_CYCLE_1)
	s_or_b32 exec_lo, exec_lo, s4
	v_mov_b32_e32 v111, 0
	ds_load_b64 v[111:112], v111 offset:216
	s_waitcnt lgkmcnt(0)
	v_mul_f64 v[93:94], v[93:94], v[111:112]
	scratch_store_b64 off, v[93:94], off offset:216
.LBB45_178:
	s_or_b32 exec_lo, exec_lo, s3
	scratch_load_b64 v[93:94], off, off offset:208
	v_cmp_lt_u32_e64 s0, 26, v0
	s_waitcnt vmcnt(0)
	ds_store_b64 v96, v[93:94]
	s_waitcnt lgkmcnt(0)
	s_waitcnt_vscnt null, 0x0
	s_barrier
	buffer_gl0_inv
	s_and_saveexec_b32 s3, s0
	s_cbranch_execz .LBB45_188
; %bb.179:
	s_and_not1_b32 vcc_lo, exec_lo, s2
	s_cbranch_vccnz .LBB45_181
; %bb.180:
	scratch_load_b64 v[93:94], v97, off
	ds_load_b64 v[111:112], v96
	s_waitcnt vmcnt(0) lgkmcnt(0)
	v_mul_f64 v[93:94], v[93:94], v[111:112]
	s_cbranch_execz .LBB45_182
	s_branch .LBB45_183
.LBB45_181:
                                        ; implicit-def: $vgpr93_vgpr94
.LBB45_182:
	ds_load_b64 v[93:94], v96
.LBB45_183:
	s_and_saveexec_b32 s4, s1
	s_cbranch_execz .LBB45_187
; %bb.184:
	v_mov_b32_e32 v111, 0
	v_subrev_nc_u32_e32 v112, 27, v0
	s_movk_i32 s5, 0x248
	s_mov_b32 s1, 0
	s_delay_alu instid0(VALU_DEP_2)
	v_add_nc_u32_e32 v111, 0xd8, v111
.LBB45_185:                             ; =>This Inner Loop Header: Depth=1
	scratch_load_b64 v[113:114], v111, off
	v_dual_mov_b32 v115, s5 :: v_dual_add_nc_u32 v112, -1, v112
	v_add_nc_u32_e32 v111, 8, v111
	s_add_i32 s5, s5, 8
	ds_load_b64 v[115:116], v115
	v_cmp_eq_u32_e32 vcc_lo, 0, v112
	s_or_b32 s1, vcc_lo, s1
	s_waitcnt vmcnt(0) lgkmcnt(0)
	v_fma_f64 v[93:94], v[113:114], v[115:116], v[93:94]
	s_and_not1_b32 exec_lo, exec_lo, s1
	s_cbranch_execnz .LBB45_185
; %bb.186:
	s_or_b32 exec_lo, exec_lo, s1
.LBB45_187:
	s_delay_alu instid0(SALU_CYCLE_1)
	s_or_b32 exec_lo, exec_lo, s4
	v_mov_b32_e32 v111, 0
	ds_load_b64 v[111:112], v111 offset:208
	s_waitcnt lgkmcnt(0)
	v_mul_f64 v[93:94], v[93:94], v[111:112]
	scratch_store_b64 off, v[93:94], off offset:208
.LBB45_188:
	s_or_b32 exec_lo, exec_lo, s3
	scratch_load_b64 v[93:94], off, off offset:200
	v_cmp_lt_u32_e64 s1, 25, v0
	s_waitcnt vmcnt(0)
	ds_store_b64 v96, v[93:94]
	s_waitcnt lgkmcnt(0)
	s_waitcnt_vscnt null, 0x0
	s_barrier
	buffer_gl0_inv
	s_and_saveexec_b32 s3, s1
	s_cbranch_execz .LBB45_198
; %bb.189:
	s_and_not1_b32 vcc_lo, exec_lo, s2
	s_cbranch_vccnz .LBB45_191
; %bb.190:
	scratch_load_b64 v[93:94], v97, off
	ds_load_b64 v[111:112], v96
	s_waitcnt vmcnt(0) lgkmcnt(0)
	v_mul_f64 v[93:94], v[93:94], v[111:112]
	s_cbranch_execz .LBB45_192
	s_branch .LBB45_193
.LBB45_191:
                                        ; implicit-def: $vgpr93_vgpr94
.LBB45_192:
	ds_load_b64 v[93:94], v96
.LBB45_193:
	s_and_saveexec_b32 s4, s0
	s_cbranch_execz .LBB45_197
; %bb.194:
	v_subrev_nc_u32_e32 v111, 26, v0
	s_movk_i32 s5, 0x240
	s_mov_b32 s0, 0
.LBB45_195:                             ; =>This Inner Loop Header: Depth=1
	scratch_load_b64 v[112:113], v110, off
	v_dual_mov_b32 v114, s5 :: v_dual_add_nc_u32 v111, -1, v111
	v_add_nc_u32_e32 v110, 8, v110
	s_add_i32 s5, s5, 8
	ds_load_b64 v[114:115], v114
	v_cmp_eq_u32_e32 vcc_lo, 0, v111
	s_or_b32 s0, vcc_lo, s0
	s_waitcnt vmcnt(0) lgkmcnt(0)
	v_fma_f64 v[93:94], v[112:113], v[114:115], v[93:94]
	s_and_not1_b32 exec_lo, exec_lo, s0
	s_cbranch_execnz .LBB45_195
; %bb.196:
	s_or_b32 exec_lo, exec_lo, s0
.LBB45_197:
	s_delay_alu instid0(SALU_CYCLE_1)
	s_or_b32 exec_lo, exec_lo, s4
	v_mov_b32_e32 v110, 0
	ds_load_b64 v[110:111], v110 offset:200
	s_waitcnt lgkmcnt(0)
	v_mul_f64 v[93:94], v[93:94], v[110:111]
	scratch_store_b64 off, v[93:94], off offset:200
.LBB45_198:
	s_or_b32 exec_lo, exec_lo, s3
	scratch_load_b64 v[93:94], off, off offset:192
	v_cmp_lt_u32_e64 s0, 24, v0
	s_waitcnt vmcnt(0)
	ds_store_b64 v96, v[93:94]
	s_waitcnt lgkmcnt(0)
	s_waitcnt_vscnt null, 0x0
	s_barrier
	buffer_gl0_inv
	s_and_saveexec_b32 s3, s0
	s_cbranch_execz .LBB45_208
; %bb.199:
	s_and_not1_b32 vcc_lo, exec_lo, s2
	s_cbranch_vccnz .LBB45_201
; %bb.200:
	scratch_load_b64 v[93:94], v97, off
	ds_load_b64 v[110:111], v96
	s_waitcnt vmcnt(0) lgkmcnt(0)
	v_mul_f64 v[93:94], v[93:94], v[110:111]
	s_cbranch_execz .LBB45_202
	s_branch .LBB45_203
.LBB45_201:
                                        ; implicit-def: $vgpr93_vgpr94
.LBB45_202:
	ds_load_b64 v[93:94], v96
.LBB45_203:
	s_and_saveexec_b32 s4, s1
	s_cbranch_execz .LBB45_207
; %bb.204:
	v_mov_b32_e32 v110, 0
	v_subrev_nc_u32_e32 v111, 25, v0
	s_movk_i32 s5, 0x238
	s_mov_b32 s1, 0
	s_delay_alu instid0(VALU_DEP_2)
	v_add_nc_u32_e32 v110, 0xc8, v110
.LBB45_205:                             ; =>This Inner Loop Header: Depth=1
	scratch_load_b64 v[112:113], v110, off
	v_dual_mov_b32 v114, s5 :: v_dual_add_nc_u32 v111, -1, v111
	v_add_nc_u32_e32 v110, 8, v110
	s_add_i32 s5, s5, 8
	ds_load_b64 v[114:115], v114
	v_cmp_eq_u32_e32 vcc_lo, 0, v111
	s_or_b32 s1, vcc_lo, s1
	s_waitcnt vmcnt(0) lgkmcnt(0)
	v_fma_f64 v[93:94], v[112:113], v[114:115], v[93:94]
	s_and_not1_b32 exec_lo, exec_lo, s1
	s_cbranch_execnz .LBB45_205
; %bb.206:
	s_or_b32 exec_lo, exec_lo, s1
.LBB45_207:
	s_delay_alu instid0(SALU_CYCLE_1)
	s_or_b32 exec_lo, exec_lo, s4
	v_mov_b32_e32 v110, 0
	ds_load_b64 v[110:111], v110 offset:192
	s_waitcnt lgkmcnt(0)
	v_mul_f64 v[93:94], v[93:94], v[110:111]
	scratch_store_b64 off, v[93:94], off offset:192
.LBB45_208:
	s_or_b32 exec_lo, exec_lo, s3
	scratch_load_b64 v[93:94], off, off offset:184
	v_cmp_lt_u32_e64 s1, 23, v0
	s_waitcnt vmcnt(0)
	ds_store_b64 v96, v[93:94]
	s_waitcnt lgkmcnt(0)
	s_waitcnt_vscnt null, 0x0
	s_barrier
	buffer_gl0_inv
	s_and_saveexec_b32 s3, s1
	s_cbranch_execz .LBB45_218
; %bb.209:
	s_and_not1_b32 vcc_lo, exec_lo, s2
	s_cbranch_vccnz .LBB45_211
; %bb.210:
	scratch_load_b64 v[93:94], v97, off
	ds_load_b64 v[110:111], v96
	s_waitcnt vmcnt(0) lgkmcnt(0)
	v_mul_f64 v[93:94], v[93:94], v[110:111]
	s_cbranch_execz .LBB45_212
	s_branch .LBB45_213
.LBB45_211:
                                        ; implicit-def: $vgpr93_vgpr94
.LBB45_212:
	ds_load_b64 v[93:94], v96
.LBB45_213:
	s_and_saveexec_b32 s4, s0
	s_cbranch_execz .LBB45_217
; %bb.214:
	v_subrev_nc_u32_e32 v110, 24, v0
	s_movk_i32 s5, 0x230
	s_mov_b32 s0, 0
.LBB45_215:                             ; =>This Inner Loop Header: Depth=1
	scratch_load_b64 v[111:112], v109, off
	v_dual_mov_b32 v113, s5 :: v_dual_add_nc_u32 v110, -1, v110
	v_add_nc_u32_e32 v109, 8, v109
	s_add_i32 s5, s5, 8
	ds_load_b64 v[113:114], v113
	v_cmp_eq_u32_e32 vcc_lo, 0, v110
	s_or_b32 s0, vcc_lo, s0
	s_waitcnt vmcnt(0) lgkmcnt(0)
	v_fma_f64 v[93:94], v[111:112], v[113:114], v[93:94]
	s_and_not1_b32 exec_lo, exec_lo, s0
	s_cbranch_execnz .LBB45_215
; %bb.216:
	s_or_b32 exec_lo, exec_lo, s0
.LBB45_217:
	s_delay_alu instid0(SALU_CYCLE_1)
	s_or_b32 exec_lo, exec_lo, s4
	v_mov_b32_e32 v109, 0
	ds_load_b64 v[109:110], v109 offset:184
	s_waitcnt lgkmcnt(0)
	v_mul_f64 v[93:94], v[93:94], v[109:110]
	scratch_store_b64 off, v[93:94], off offset:184
.LBB45_218:
	s_or_b32 exec_lo, exec_lo, s3
	scratch_load_b64 v[93:94], off, off offset:176
	v_cmp_lt_u32_e64 s0, 22, v0
	s_waitcnt vmcnt(0)
	ds_store_b64 v96, v[93:94]
	s_waitcnt lgkmcnt(0)
	s_waitcnt_vscnt null, 0x0
	s_barrier
	buffer_gl0_inv
	s_and_saveexec_b32 s3, s0
	s_cbranch_execz .LBB45_228
; %bb.219:
	s_and_not1_b32 vcc_lo, exec_lo, s2
	s_cbranch_vccnz .LBB45_221
; %bb.220:
	scratch_load_b64 v[93:94], v97, off
	ds_load_b64 v[109:110], v96
	s_waitcnt vmcnt(0) lgkmcnt(0)
	v_mul_f64 v[93:94], v[93:94], v[109:110]
	s_cbranch_execz .LBB45_222
	s_branch .LBB45_223
.LBB45_221:
                                        ; implicit-def: $vgpr93_vgpr94
.LBB45_222:
	ds_load_b64 v[93:94], v96
.LBB45_223:
	s_and_saveexec_b32 s4, s1
	s_cbranch_execz .LBB45_227
; %bb.224:
	v_mov_b32_e32 v109, 0
	v_subrev_nc_u32_e32 v110, 23, v0
	s_movk_i32 s5, 0x228
	s_mov_b32 s1, 0
	s_delay_alu instid0(VALU_DEP_2)
	v_add_nc_u32_e32 v109, 0xb8, v109
.LBB45_225:                             ; =>This Inner Loop Header: Depth=1
	scratch_load_b64 v[111:112], v109, off
	v_dual_mov_b32 v113, s5 :: v_dual_add_nc_u32 v110, -1, v110
	v_add_nc_u32_e32 v109, 8, v109
	s_add_i32 s5, s5, 8
	ds_load_b64 v[113:114], v113
	v_cmp_eq_u32_e32 vcc_lo, 0, v110
	s_or_b32 s1, vcc_lo, s1
	s_waitcnt vmcnt(0) lgkmcnt(0)
	v_fma_f64 v[93:94], v[111:112], v[113:114], v[93:94]
	s_and_not1_b32 exec_lo, exec_lo, s1
	s_cbranch_execnz .LBB45_225
; %bb.226:
	s_or_b32 exec_lo, exec_lo, s1
.LBB45_227:
	s_delay_alu instid0(SALU_CYCLE_1)
	s_or_b32 exec_lo, exec_lo, s4
	v_mov_b32_e32 v109, 0
	ds_load_b64 v[109:110], v109 offset:176
	s_waitcnt lgkmcnt(0)
	v_mul_f64 v[93:94], v[93:94], v[109:110]
	scratch_store_b64 off, v[93:94], off offset:176
.LBB45_228:
	s_or_b32 exec_lo, exec_lo, s3
	scratch_load_b64 v[93:94], off, off offset:168
	v_cmp_lt_u32_e64 s1, 21, v0
	s_waitcnt vmcnt(0)
	ds_store_b64 v96, v[93:94]
	s_waitcnt lgkmcnt(0)
	s_waitcnt_vscnt null, 0x0
	s_barrier
	buffer_gl0_inv
	s_and_saveexec_b32 s3, s1
	s_cbranch_execz .LBB45_238
; %bb.229:
	s_and_not1_b32 vcc_lo, exec_lo, s2
	s_cbranch_vccnz .LBB45_231
; %bb.230:
	scratch_load_b64 v[93:94], v97, off
	ds_load_b64 v[109:110], v96
	s_waitcnt vmcnt(0) lgkmcnt(0)
	v_mul_f64 v[93:94], v[93:94], v[109:110]
	s_cbranch_execz .LBB45_232
	s_branch .LBB45_233
.LBB45_231:
                                        ; implicit-def: $vgpr93_vgpr94
.LBB45_232:
	ds_load_b64 v[93:94], v96
.LBB45_233:
	s_and_saveexec_b32 s4, s0
	s_cbranch_execz .LBB45_237
; %bb.234:
	v_subrev_nc_u32_e32 v109, 22, v0
	s_movk_i32 s5, 0x220
	s_mov_b32 s0, 0
.LBB45_235:                             ; =>This Inner Loop Header: Depth=1
	scratch_load_b64 v[110:111], v108, off
	v_dual_mov_b32 v112, s5 :: v_dual_add_nc_u32 v109, -1, v109
	v_add_nc_u32_e32 v108, 8, v108
	s_add_i32 s5, s5, 8
	ds_load_b64 v[112:113], v112
	v_cmp_eq_u32_e32 vcc_lo, 0, v109
	s_or_b32 s0, vcc_lo, s0
	s_waitcnt vmcnt(0) lgkmcnt(0)
	v_fma_f64 v[93:94], v[110:111], v[112:113], v[93:94]
	s_and_not1_b32 exec_lo, exec_lo, s0
	s_cbranch_execnz .LBB45_235
; %bb.236:
	s_or_b32 exec_lo, exec_lo, s0
.LBB45_237:
	s_delay_alu instid0(SALU_CYCLE_1)
	s_or_b32 exec_lo, exec_lo, s4
	v_mov_b32_e32 v108, 0
	ds_load_b64 v[108:109], v108 offset:168
	s_waitcnt lgkmcnt(0)
	v_mul_f64 v[93:94], v[93:94], v[108:109]
	scratch_store_b64 off, v[93:94], off offset:168
.LBB45_238:
	s_or_b32 exec_lo, exec_lo, s3
	scratch_load_b64 v[93:94], off, off offset:160
	v_cmp_lt_u32_e64 s0, 20, v0
	s_waitcnt vmcnt(0)
	ds_store_b64 v96, v[93:94]
	s_waitcnt lgkmcnt(0)
	s_waitcnt_vscnt null, 0x0
	s_barrier
	buffer_gl0_inv
	s_and_saveexec_b32 s3, s0
	s_cbranch_execz .LBB45_248
; %bb.239:
	s_and_not1_b32 vcc_lo, exec_lo, s2
	s_cbranch_vccnz .LBB45_241
; %bb.240:
	scratch_load_b64 v[93:94], v97, off
	ds_load_b64 v[108:109], v96
	s_waitcnt vmcnt(0) lgkmcnt(0)
	v_mul_f64 v[93:94], v[93:94], v[108:109]
	s_cbranch_execz .LBB45_242
	s_branch .LBB45_243
.LBB45_241:
                                        ; implicit-def: $vgpr93_vgpr94
.LBB45_242:
	ds_load_b64 v[93:94], v96
.LBB45_243:
	s_and_saveexec_b32 s4, s1
	s_cbranch_execz .LBB45_247
; %bb.244:
	v_mov_b32_e32 v108, 0
	v_subrev_nc_u32_e32 v109, 21, v0
	s_movk_i32 s5, 0x218
	s_mov_b32 s1, 0
	s_delay_alu instid0(VALU_DEP_2)
	v_add_nc_u32_e32 v108, 0xa8, v108
.LBB45_245:                             ; =>This Inner Loop Header: Depth=1
	scratch_load_b64 v[110:111], v108, off
	v_dual_mov_b32 v112, s5 :: v_dual_add_nc_u32 v109, -1, v109
	v_add_nc_u32_e32 v108, 8, v108
	s_add_i32 s5, s5, 8
	ds_load_b64 v[112:113], v112
	v_cmp_eq_u32_e32 vcc_lo, 0, v109
	s_or_b32 s1, vcc_lo, s1
	s_waitcnt vmcnt(0) lgkmcnt(0)
	v_fma_f64 v[93:94], v[110:111], v[112:113], v[93:94]
	s_and_not1_b32 exec_lo, exec_lo, s1
	s_cbranch_execnz .LBB45_245
; %bb.246:
	s_or_b32 exec_lo, exec_lo, s1
.LBB45_247:
	s_delay_alu instid0(SALU_CYCLE_1)
	s_or_b32 exec_lo, exec_lo, s4
	v_mov_b32_e32 v108, 0
	ds_load_b64 v[108:109], v108 offset:160
	s_waitcnt lgkmcnt(0)
	v_mul_f64 v[93:94], v[93:94], v[108:109]
	scratch_store_b64 off, v[93:94], off offset:160
.LBB45_248:
	s_or_b32 exec_lo, exec_lo, s3
	scratch_load_b64 v[93:94], off, off offset:152
	v_cmp_lt_u32_e64 s1, 19, v0
	s_waitcnt vmcnt(0)
	ds_store_b64 v96, v[93:94]
	s_waitcnt lgkmcnt(0)
	s_waitcnt_vscnt null, 0x0
	s_barrier
	buffer_gl0_inv
	s_and_saveexec_b32 s3, s1
	s_cbranch_execz .LBB45_258
; %bb.249:
	s_and_not1_b32 vcc_lo, exec_lo, s2
	s_cbranch_vccnz .LBB45_251
; %bb.250:
	scratch_load_b64 v[93:94], v97, off
	ds_load_b64 v[108:109], v96
	s_waitcnt vmcnt(0) lgkmcnt(0)
	v_mul_f64 v[93:94], v[93:94], v[108:109]
	s_cbranch_execz .LBB45_252
	s_branch .LBB45_253
.LBB45_251:
                                        ; implicit-def: $vgpr93_vgpr94
.LBB45_252:
	ds_load_b64 v[93:94], v96
.LBB45_253:
	s_and_saveexec_b32 s4, s0
	s_cbranch_execz .LBB45_257
; %bb.254:
	v_subrev_nc_u32_e32 v108, 20, v0
	s_movk_i32 s5, 0x210
	s_mov_b32 s0, 0
.LBB45_255:                             ; =>This Inner Loop Header: Depth=1
	scratch_load_b64 v[109:110], v107, off
	v_dual_mov_b32 v111, s5 :: v_dual_add_nc_u32 v108, -1, v108
	v_add_nc_u32_e32 v107, 8, v107
	s_add_i32 s5, s5, 8
	ds_load_b64 v[111:112], v111
	v_cmp_eq_u32_e32 vcc_lo, 0, v108
	s_or_b32 s0, vcc_lo, s0
	s_waitcnt vmcnt(0) lgkmcnt(0)
	v_fma_f64 v[93:94], v[109:110], v[111:112], v[93:94]
	s_and_not1_b32 exec_lo, exec_lo, s0
	s_cbranch_execnz .LBB45_255
; %bb.256:
	s_or_b32 exec_lo, exec_lo, s0
.LBB45_257:
	s_delay_alu instid0(SALU_CYCLE_1)
	s_or_b32 exec_lo, exec_lo, s4
	v_mov_b32_e32 v107, 0
	ds_load_b64 v[107:108], v107 offset:152
	s_waitcnt lgkmcnt(0)
	v_mul_f64 v[93:94], v[93:94], v[107:108]
	scratch_store_b64 off, v[93:94], off offset:152
.LBB45_258:
	s_or_b32 exec_lo, exec_lo, s3
	scratch_load_b64 v[93:94], off, off offset:144
	v_cmp_lt_u32_e64 s0, 18, v0
	s_waitcnt vmcnt(0)
	ds_store_b64 v96, v[93:94]
	s_waitcnt lgkmcnt(0)
	s_waitcnt_vscnt null, 0x0
	s_barrier
	buffer_gl0_inv
	s_and_saveexec_b32 s3, s0
	s_cbranch_execz .LBB45_268
; %bb.259:
	s_and_not1_b32 vcc_lo, exec_lo, s2
	s_cbranch_vccnz .LBB45_261
; %bb.260:
	scratch_load_b64 v[93:94], v97, off
	ds_load_b64 v[107:108], v96
	s_waitcnt vmcnt(0) lgkmcnt(0)
	v_mul_f64 v[93:94], v[93:94], v[107:108]
	s_cbranch_execz .LBB45_262
	s_branch .LBB45_263
.LBB45_261:
                                        ; implicit-def: $vgpr93_vgpr94
.LBB45_262:
	ds_load_b64 v[93:94], v96
.LBB45_263:
	s_and_saveexec_b32 s4, s1
	s_cbranch_execz .LBB45_267
; %bb.264:
	v_mov_b32_e32 v107, 0
	v_subrev_nc_u32_e32 v108, 19, v0
	s_movk_i32 s5, 0x208
	s_mov_b32 s1, 0
	s_delay_alu instid0(VALU_DEP_2)
	v_add_nc_u32_e32 v107, 0x98, v107
.LBB45_265:                             ; =>This Inner Loop Header: Depth=1
	scratch_load_b64 v[109:110], v107, off
	v_dual_mov_b32 v111, s5 :: v_dual_add_nc_u32 v108, -1, v108
	v_add_nc_u32_e32 v107, 8, v107
	s_add_i32 s5, s5, 8
	ds_load_b64 v[111:112], v111
	v_cmp_eq_u32_e32 vcc_lo, 0, v108
	s_or_b32 s1, vcc_lo, s1
	s_waitcnt vmcnt(0) lgkmcnt(0)
	v_fma_f64 v[93:94], v[109:110], v[111:112], v[93:94]
	s_and_not1_b32 exec_lo, exec_lo, s1
	s_cbranch_execnz .LBB45_265
; %bb.266:
	s_or_b32 exec_lo, exec_lo, s1
.LBB45_267:
	s_delay_alu instid0(SALU_CYCLE_1)
	s_or_b32 exec_lo, exec_lo, s4
	v_mov_b32_e32 v107, 0
	ds_load_b64 v[107:108], v107 offset:144
	s_waitcnt lgkmcnt(0)
	v_mul_f64 v[93:94], v[93:94], v[107:108]
	scratch_store_b64 off, v[93:94], off offset:144
.LBB45_268:
	s_or_b32 exec_lo, exec_lo, s3
	scratch_load_b64 v[93:94], off, off offset:136
	v_cmp_lt_u32_e64 s1, 17, v0
	s_waitcnt vmcnt(0)
	ds_store_b64 v96, v[93:94]
	s_waitcnt lgkmcnt(0)
	s_waitcnt_vscnt null, 0x0
	s_barrier
	buffer_gl0_inv
	s_and_saveexec_b32 s3, s1
	s_cbranch_execz .LBB45_278
; %bb.269:
	s_and_not1_b32 vcc_lo, exec_lo, s2
	s_cbranch_vccnz .LBB45_271
; %bb.270:
	scratch_load_b64 v[93:94], v97, off
	ds_load_b64 v[107:108], v96
	s_waitcnt vmcnt(0) lgkmcnt(0)
	v_mul_f64 v[93:94], v[93:94], v[107:108]
	s_cbranch_execz .LBB45_272
	s_branch .LBB45_273
.LBB45_271:
                                        ; implicit-def: $vgpr93_vgpr94
.LBB45_272:
	ds_load_b64 v[93:94], v96
.LBB45_273:
	s_and_saveexec_b32 s4, s0
	s_cbranch_execz .LBB45_277
; %bb.274:
	v_subrev_nc_u32_e32 v107, 18, v0
	s_movk_i32 s5, 0x200
	s_mov_b32 s0, 0
.LBB45_275:                             ; =>This Inner Loop Header: Depth=1
	scratch_load_b64 v[108:109], v106, off
	v_dual_mov_b32 v110, s5 :: v_dual_add_nc_u32 v107, -1, v107
	v_add_nc_u32_e32 v106, 8, v106
	s_add_i32 s5, s5, 8
	ds_load_b64 v[110:111], v110
	v_cmp_eq_u32_e32 vcc_lo, 0, v107
	s_or_b32 s0, vcc_lo, s0
	s_waitcnt vmcnt(0) lgkmcnt(0)
	v_fma_f64 v[93:94], v[108:109], v[110:111], v[93:94]
	s_and_not1_b32 exec_lo, exec_lo, s0
	s_cbranch_execnz .LBB45_275
; %bb.276:
	s_or_b32 exec_lo, exec_lo, s0
.LBB45_277:
	s_delay_alu instid0(SALU_CYCLE_1)
	s_or_b32 exec_lo, exec_lo, s4
	v_mov_b32_e32 v106, 0
	ds_load_b64 v[106:107], v106 offset:136
	s_waitcnt lgkmcnt(0)
	v_mul_f64 v[93:94], v[93:94], v[106:107]
	scratch_store_b64 off, v[93:94], off offset:136
.LBB45_278:
	s_or_b32 exec_lo, exec_lo, s3
	scratch_load_b64 v[93:94], off, off offset:128
	v_cmp_lt_u32_e64 s0, 16, v0
	s_waitcnt vmcnt(0)
	ds_store_b64 v96, v[93:94]
	s_waitcnt lgkmcnt(0)
	s_waitcnt_vscnt null, 0x0
	s_barrier
	buffer_gl0_inv
	s_and_saveexec_b32 s3, s0
	s_cbranch_execz .LBB45_288
; %bb.279:
	s_and_not1_b32 vcc_lo, exec_lo, s2
	s_cbranch_vccnz .LBB45_281
; %bb.280:
	scratch_load_b64 v[93:94], v97, off
	ds_load_b64 v[106:107], v96
	s_waitcnt vmcnt(0) lgkmcnt(0)
	v_mul_f64 v[93:94], v[93:94], v[106:107]
	s_cbranch_execz .LBB45_282
	s_branch .LBB45_283
.LBB45_281:
                                        ; implicit-def: $vgpr93_vgpr94
.LBB45_282:
	ds_load_b64 v[93:94], v96
.LBB45_283:
	s_and_saveexec_b32 s4, s1
	s_cbranch_execz .LBB45_287
; %bb.284:
	v_mov_b32_e32 v106, 0
	v_subrev_nc_u32_e32 v107, 17, v0
	s_movk_i32 s5, 0x1f8
	s_mov_b32 s1, 0
	s_delay_alu instid0(VALU_DEP_2)
	v_add_nc_u32_e32 v106, 0x88, v106
.LBB45_285:                             ; =>This Inner Loop Header: Depth=1
	scratch_load_b64 v[108:109], v106, off
	v_dual_mov_b32 v110, s5 :: v_dual_add_nc_u32 v107, -1, v107
	v_add_nc_u32_e32 v106, 8, v106
	s_add_i32 s5, s5, 8
	ds_load_b64 v[110:111], v110
	v_cmp_eq_u32_e32 vcc_lo, 0, v107
	s_or_b32 s1, vcc_lo, s1
	s_waitcnt vmcnt(0) lgkmcnt(0)
	v_fma_f64 v[93:94], v[108:109], v[110:111], v[93:94]
	s_and_not1_b32 exec_lo, exec_lo, s1
	s_cbranch_execnz .LBB45_285
; %bb.286:
	s_or_b32 exec_lo, exec_lo, s1
.LBB45_287:
	s_delay_alu instid0(SALU_CYCLE_1)
	s_or_b32 exec_lo, exec_lo, s4
	v_mov_b32_e32 v106, 0
	ds_load_b64 v[106:107], v106 offset:128
	s_waitcnt lgkmcnt(0)
	v_mul_f64 v[93:94], v[93:94], v[106:107]
	scratch_store_b64 off, v[93:94], off offset:128
.LBB45_288:
	s_or_b32 exec_lo, exec_lo, s3
	scratch_load_b64 v[93:94], off, off offset:120
	v_cmp_lt_u32_e64 s1, 15, v0
	s_waitcnt vmcnt(0)
	ds_store_b64 v96, v[93:94]
	s_waitcnt lgkmcnt(0)
	s_waitcnt_vscnt null, 0x0
	s_barrier
	buffer_gl0_inv
	s_and_saveexec_b32 s3, s1
	s_cbranch_execz .LBB45_298
; %bb.289:
	s_and_not1_b32 vcc_lo, exec_lo, s2
	s_cbranch_vccnz .LBB45_291
; %bb.290:
	scratch_load_b64 v[93:94], v97, off
	ds_load_b64 v[106:107], v96
	s_waitcnt vmcnt(0) lgkmcnt(0)
	v_mul_f64 v[93:94], v[93:94], v[106:107]
	s_cbranch_execz .LBB45_292
	s_branch .LBB45_293
.LBB45_291:
                                        ; implicit-def: $vgpr93_vgpr94
.LBB45_292:
	ds_load_b64 v[93:94], v96
.LBB45_293:
	s_and_saveexec_b32 s4, s0
	s_cbranch_execz .LBB45_297
; %bb.294:
	v_add_nc_u32_e32 v106, -16, v0
	s_movk_i32 s5, 0x1f0
	s_mov_b32 s0, 0
.LBB45_295:                             ; =>This Inner Loop Header: Depth=1
	scratch_load_b64 v[107:108], v105, off
	v_dual_mov_b32 v109, s5 :: v_dual_add_nc_u32 v106, -1, v106
	v_add_nc_u32_e32 v105, 8, v105
	s_add_i32 s5, s5, 8
	ds_load_b64 v[109:110], v109
	v_cmp_eq_u32_e32 vcc_lo, 0, v106
	s_or_b32 s0, vcc_lo, s0
	s_waitcnt vmcnt(0) lgkmcnt(0)
	v_fma_f64 v[93:94], v[107:108], v[109:110], v[93:94]
	s_and_not1_b32 exec_lo, exec_lo, s0
	s_cbranch_execnz .LBB45_295
; %bb.296:
	s_or_b32 exec_lo, exec_lo, s0
.LBB45_297:
	s_delay_alu instid0(SALU_CYCLE_1)
	s_or_b32 exec_lo, exec_lo, s4
	v_mov_b32_e32 v105, 0
	ds_load_b64 v[105:106], v105 offset:120
	s_waitcnt lgkmcnt(0)
	v_mul_f64 v[93:94], v[93:94], v[105:106]
	scratch_store_b64 off, v[93:94], off offset:120
.LBB45_298:
	s_or_b32 exec_lo, exec_lo, s3
	scratch_load_b64 v[93:94], off, off offset:112
	v_cmp_lt_u32_e64 s0, 14, v0
	s_waitcnt vmcnt(0)
	ds_store_b64 v96, v[93:94]
	s_waitcnt lgkmcnt(0)
	s_waitcnt_vscnt null, 0x0
	s_barrier
	buffer_gl0_inv
	s_and_saveexec_b32 s3, s0
	s_cbranch_execz .LBB45_308
; %bb.299:
	s_and_not1_b32 vcc_lo, exec_lo, s2
	s_cbranch_vccnz .LBB45_301
; %bb.300:
	scratch_load_b64 v[93:94], v97, off
	ds_load_b64 v[105:106], v96
	s_waitcnt vmcnt(0) lgkmcnt(0)
	v_mul_f64 v[93:94], v[93:94], v[105:106]
	s_cbranch_execz .LBB45_302
	s_branch .LBB45_303
.LBB45_301:
                                        ; implicit-def: $vgpr93_vgpr94
.LBB45_302:
	ds_load_b64 v[93:94], v96
.LBB45_303:
	s_and_saveexec_b32 s4, s1
	s_cbranch_execz .LBB45_307
; %bb.304:
	v_dual_mov_b32 v105, 0 :: v_dual_add_nc_u32 v106, -15, v0
	s_movk_i32 s5, 0x1e8
	s_mov_b32 s1, 0
	s_delay_alu instid0(VALU_DEP_1)
	v_add_nc_u32_e32 v105, 0x78, v105
.LBB45_305:                             ; =>This Inner Loop Header: Depth=1
	scratch_load_b64 v[107:108], v105, off
	v_dual_mov_b32 v109, s5 :: v_dual_add_nc_u32 v106, -1, v106
	v_add_nc_u32_e32 v105, 8, v105
	s_add_i32 s5, s5, 8
	ds_load_b64 v[109:110], v109
	v_cmp_eq_u32_e32 vcc_lo, 0, v106
	s_or_b32 s1, vcc_lo, s1
	s_waitcnt vmcnt(0) lgkmcnt(0)
	v_fma_f64 v[93:94], v[107:108], v[109:110], v[93:94]
	s_and_not1_b32 exec_lo, exec_lo, s1
	s_cbranch_execnz .LBB45_305
; %bb.306:
	s_or_b32 exec_lo, exec_lo, s1
.LBB45_307:
	s_delay_alu instid0(SALU_CYCLE_1)
	s_or_b32 exec_lo, exec_lo, s4
	v_mov_b32_e32 v105, 0
	ds_load_b64 v[105:106], v105 offset:112
	s_waitcnt lgkmcnt(0)
	v_mul_f64 v[93:94], v[93:94], v[105:106]
	scratch_store_b64 off, v[93:94], off offset:112
.LBB45_308:
	s_or_b32 exec_lo, exec_lo, s3
	scratch_load_b64 v[93:94], off, off offset:104
	v_cmp_lt_u32_e64 s1, 13, v0
	s_waitcnt vmcnt(0)
	ds_store_b64 v96, v[93:94]
	s_waitcnt lgkmcnt(0)
	s_waitcnt_vscnt null, 0x0
	s_barrier
	buffer_gl0_inv
	s_and_saveexec_b32 s3, s1
	s_cbranch_execz .LBB45_318
; %bb.309:
	s_and_not1_b32 vcc_lo, exec_lo, s2
	s_cbranch_vccnz .LBB45_311
; %bb.310:
	scratch_load_b64 v[93:94], v97, off
	ds_load_b64 v[105:106], v96
	s_waitcnt vmcnt(0) lgkmcnt(0)
	v_mul_f64 v[93:94], v[93:94], v[105:106]
	s_cbranch_execz .LBB45_312
	s_branch .LBB45_313
.LBB45_311:
                                        ; implicit-def: $vgpr93_vgpr94
.LBB45_312:
	ds_load_b64 v[93:94], v96
.LBB45_313:
	s_and_saveexec_b32 s4, s0
	s_cbranch_execz .LBB45_317
; %bb.314:
	v_add_nc_u32_e32 v105, -14, v0
	s_movk_i32 s5, 0x1e0
	s_mov_b32 s0, 0
.LBB45_315:                             ; =>This Inner Loop Header: Depth=1
	scratch_load_b64 v[106:107], v104, off
	v_dual_mov_b32 v108, s5 :: v_dual_add_nc_u32 v105, -1, v105
	v_add_nc_u32_e32 v104, 8, v104
	s_add_i32 s5, s5, 8
	ds_load_b64 v[108:109], v108
	v_cmp_eq_u32_e32 vcc_lo, 0, v105
	s_or_b32 s0, vcc_lo, s0
	s_waitcnt vmcnt(0) lgkmcnt(0)
	v_fma_f64 v[93:94], v[106:107], v[108:109], v[93:94]
	s_and_not1_b32 exec_lo, exec_lo, s0
	s_cbranch_execnz .LBB45_315
; %bb.316:
	s_or_b32 exec_lo, exec_lo, s0
.LBB45_317:
	s_delay_alu instid0(SALU_CYCLE_1)
	s_or_b32 exec_lo, exec_lo, s4
	v_mov_b32_e32 v104, 0
	ds_load_b64 v[104:105], v104 offset:104
	s_waitcnt lgkmcnt(0)
	v_mul_f64 v[93:94], v[93:94], v[104:105]
	scratch_store_b64 off, v[93:94], off offset:104
.LBB45_318:
	s_or_b32 exec_lo, exec_lo, s3
	scratch_load_b64 v[93:94], off, off offset:96
	v_cmp_lt_u32_e64 s0, 12, v0
	s_waitcnt vmcnt(0)
	ds_store_b64 v96, v[93:94]
	s_waitcnt lgkmcnt(0)
	s_waitcnt_vscnt null, 0x0
	s_barrier
	buffer_gl0_inv
	s_and_saveexec_b32 s3, s0
	s_cbranch_execz .LBB45_328
; %bb.319:
	s_and_not1_b32 vcc_lo, exec_lo, s2
	s_cbranch_vccnz .LBB45_321
; %bb.320:
	scratch_load_b64 v[93:94], v97, off
	ds_load_b64 v[104:105], v96
	s_waitcnt vmcnt(0) lgkmcnt(0)
	v_mul_f64 v[93:94], v[93:94], v[104:105]
	s_cbranch_execz .LBB45_322
	s_branch .LBB45_323
.LBB45_321:
                                        ; implicit-def: $vgpr93_vgpr94
.LBB45_322:
	ds_load_b64 v[93:94], v96
.LBB45_323:
	s_and_saveexec_b32 s4, s1
	s_cbranch_execz .LBB45_327
; %bb.324:
	v_dual_mov_b32 v104, 0 :: v_dual_add_nc_u32 v105, -13, v0
	s_movk_i32 s5, 0x1d8
	s_mov_b32 s1, 0
	s_delay_alu instid0(VALU_DEP_1)
	v_add_nc_u32_e32 v104, 0x68, v104
.LBB45_325:                             ; =>This Inner Loop Header: Depth=1
	scratch_load_b64 v[106:107], v104, off
	v_dual_mov_b32 v108, s5 :: v_dual_add_nc_u32 v105, -1, v105
	v_add_nc_u32_e32 v104, 8, v104
	s_add_i32 s5, s5, 8
	ds_load_b64 v[108:109], v108
	v_cmp_eq_u32_e32 vcc_lo, 0, v105
	s_or_b32 s1, vcc_lo, s1
	s_waitcnt vmcnt(0) lgkmcnt(0)
	v_fma_f64 v[93:94], v[106:107], v[108:109], v[93:94]
	s_and_not1_b32 exec_lo, exec_lo, s1
	s_cbranch_execnz .LBB45_325
; %bb.326:
	s_or_b32 exec_lo, exec_lo, s1
.LBB45_327:
	s_delay_alu instid0(SALU_CYCLE_1)
	s_or_b32 exec_lo, exec_lo, s4
	v_mov_b32_e32 v104, 0
	ds_load_b64 v[104:105], v104 offset:96
	s_waitcnt lgkmcnt(0)
	v_mul_f64 v[93:94], v[93:94], v[104:105]
	scratch_store_b64 off, v[93:94], off offset:96
.LBB45_328:
	s_or_b32 exec_lo, exec_lo, s3
	scratch_load_b64 v[93:94], off, off offset:88
	v_cmp_lt_u32_e64 s1, 11, v0
	s_waitcnt vmcnt(0)
	ds_store_b64 v96, v[93:94]
	s_waitcnt lgkmcnt(0)
	s_waitcnt_vscnt null, 0x0
	s_barrier
	buffer_gl0_inv
	s_and_saveexec_b32 s3, s1
	s_cbranch_execz .LBB45_338
; %bb.329:
	s_and_not1_b32 vcc_lo, exec_lo, s2
	s_cbranch_vccnz .LBB45_331
; %bb.330:
	scratch_load_b64 v[93:94], v97, off
	ds_load_b64 v[104:105], v96
	s_waitcnt vmcnt(0) lgkmcnt(0)
	v_mul_f64 v[93:94], v[93:94], v[104:105]
	s_cbranch_execz .LBB45_332
	s_branch .LBB45_333
.LBB45_331:
                                        ; implicit-def: $vgpr93_vgpr94
.LBB45_332:
	ds_load_b64 v[93:94], v96
.LBB45_333:
	s_and_saveexec_b32 s4, s0
	s_cbranch_execz .LBB45_337
; %bb.334:
	v_add_nc_u32_e32 v104, -12, v0
	s_movk_i32 s5, 0x1d0
	s_mov_b32 s0, 0
.LBB45_335:                             ; =>This Inner Loop Header: Depth=1
	scratch_load_b64 v[105:106], v103, off
	v_dual_mov_b32 v107, s5 :: v_dual_add_nc_u32 v104, -1, v104
	v_add_nc_u32_e32 v103, 8, v103
	s_add_i32 s5, s5, 8
	ds_load_b64 v[107:108], v107
	v_cmp_eq_u32_e32 vcc_lo, 0, v104
	s_or_b32 s0, vcc_lo, s0
	s_waitcnt vmcnt(0) lgkmcnt(0)
	v_fma_f64 v[93:94], v[105:106], v[107:108], v[93:94]
	s_and_not1_b32 exec_lo, exec_lo, s0
	s_cbranch_execnz .LBB45_335
; %bb.336:
	s_or_b32 exec_lo, exec_lo, s0
.LBB45_337:
	s_delay_alu instid0(SALU_CYCLE_1)
	s_or_b32 exec_lo, exec_lo, s4
	v_mov_b32_e32 v103, 0
	ds_load_b64 v[103:104], v103 offset:88
	s_waitcnt lgkmcnt(0)
	v_mul_f64 v[93:94], v[93:94], v[103:104]
	scratch_store_b64 off, v[93:94], off offset:88
.LBB45_338:
	s_or_b32 exec_lo, exec_lo, s3
	scratch_load_b64 v[93:94], off, off offset:80
	v_cmp_lt_u32_e64 s0, 10, v0
	s_waitcnt vmcnt(0)
	ds_store_b64 v96, v[93:94]
	s_waitcnt lgkmcnt(0)
	s_waitcnt_vscnt null, 0x0
	s_barrier
	buffer_gl0_inv
	s_and_saveexec_b32 s3, s0
	s_cbranch_execz .LBB45_348
; %bb.339:
	s_and_not1_b32 vcc_lo, exec_lo, s2
	s_cbranch_vccnz .LBB45_341
; %bb.340:
	scratch_load_b64 v[93:94], v97, off
	ds_load_b64 v[103:104], v96
	s_waitcnt vmcnt(0) lgkmcnt(0)
	v_mul_f64 v[93:94], v[93:94], v[103:104]
	s_cbranch_execz .LBB45_342
	s_branch .LBB45_343
.LBB45_341:
                                        ; implicit-def: $vgpr93_vgpr94
.LBB45_342:
	ds_load_b64 v[93:94], v96
.LBB45_343:
	s_and_saveexec_b32 s4, s1
	s_cbranch_execz .LBB45_347
; %bb.344:
	v_dual_mov_b32 v103, 0 :: v_dual_add_nc_u32 v104, -11, v0
	s_movk_i32 s5, 0x1c8
	s_mov_b32 s1, 0
	s_delay_alu instid0(VALU_DEP_1)
	v_add_nc_u32_e32 v103, 0x58, v103
.LBB45_345:                             ; =>This Inner Loop Header: Depth=1
	scratch_load_b64 v[105:106], v103, off
	v_dual_mov_b32 v107, s5 :: v_dual_add_nc_u32 v104, -1, v104
	v_add_nc_u32_e32 v103, 8, v103
	s_add_i32 s5, s5, 8
	ds_load_b64 v[107:108], v107
	v_cmp_eq_u32_e32 vcc_lo, 0, v104
	s_or_b32 s1, vcc_lo, s1
	s_waitcnt vmcnt(0) lgkmcnt(0)
	v_fma_f64 v[93:94], v[105:106], v[107:108], v[93:94]
	s_and_not1_b32 exec_lo, exec_lo, s1
	s_cbranch_execnz .LBB45_345
; %bb.346:
	s_or_b32 exec_lo, exec_lo, s1
.LBB45_347:
	s_delay_alu instid0(SALU_CYCLE_1)
	s_or_b32 exec_lo, exec_lo, s4
	v_mov_b32_e32 v103, 0
	ds_load_b64 v[103:104], v103 offset:80
	s_waitcnt lgkmcnt(0)
	v_mul_f64 v[93:94], v[93:94], v[103:104]
	scratch_store_b64 off, v[93:94], off offset:80
.LBB45_348:
	s_or_b32 exec_lo, exec_lo, s3
	scratch_load_b64 v[93:94], off, off offset:72
	v_cmp_lt_u32_e64 s1, 9, v0
	s_waitcnt vmcnt(0)
	ds_store_b64 v96, v[93:94]
	s_waitcnt lgkmcnt(0)
	s_waitcnt_vscnt null, 0x0
	s_barrier
	buffer_gl0_inv
	s_and_saveexec_b32 s3, s1
	s_cbranch_execz .LBB45_358
; %bb.349:
	s_and_not1_b32 vcc_lo, exec_lo, s2
	s_cbranch_vccnz .LBB45_351
; %bb.350:
	scratch_load_b64 v[93:94], v97, off
	ds_load_b64 v[103:104], v96
	s_waitcnt vmcnt(0) lgkmcnt(0)
	v_mul_f64 v[93:94], v[93:94], v[103:104]
	s_cbranch_execz .LBB45_352
	s_branch .LBB45_353
.LBB45_351:
                                        ; implicit-def: $vgpr93_vgpr94
.LBB45_352:
	ds_load_b64 v[93:94], v96
.LBB45_353:
	s_and_saveexec_b32 s4, s0
	s_cbranch_execz .LBB45_357
; %bb.354:
	v_add_nc_u32_e32 v103, -10, v0
	s_movk_i32 s5, 0x1c0
	s_mov_b32 s0, 0
.LBB45_355:                             ; =>This Inner Loop Header: Depth=1
	scratch_load_b64 v[104:105], v102, off
	v_dual_mov_b32 v106, s5 :: v_dual_add_nc_u32 v103, -1, v103
	v_add_nc_u32_e32 v102, 8, v102
	s_add_i32 s5, s5, 8
	ds_load_b64 v[106:107], v106
	v_cmp_eq_u32_e32 vcc_lo, 0, v103
	s_or_b32 s0, vcc_lo, s0
	s_waitcnt vmcnt(0) lgkmcnt(0)
	v_fma_f64 v[93:94], v[104:105], v[106:107], v[93:94]
	s_and_not1_b32 exec_lo, exec_lo, s0
	s_cbranch_execnz .LBB45_355
; %bb.356:
	s_or_b32 exec_lo, exec_lo, s0
.LBB45_357:
	s_delay_alu instid0(SALU_CYCLE_1)
	s_or_b32 exec_lo, exec_lo, s4
	v_mov_b32_e32 v102, 0
	ds_load_b64 v[102:103], v102 offset:72
	s_waitcnt lgkmcnt(0)
	v_mul_f64 v[93:94], v[93:94], v[102:103]
	scratch_store_b64 off, v[93:94], off offset:72
.LBB45_358:
	s_or_b32 exec_lo, exec_lo, s3
	scratch_load_b64 v[93:94], off, off offset:64
	v_cmp_lt_u32_e64 s0, 8, v0
	s_waitcnt vmcnt(0)
	ds_store_b64 v96, v[93:94]
	s_waitcnt lgkmcnt(0)
	s_waitcnt_vscnt null, 0x0
	s_barrier
	buffer_gl0_inv
	s_and_saveexec_b32 s3, s0
	s_cbranch_execz .LBB45_368
; %bb.359:
	s_and_not1_b32 vcc_lo, exec_lo, s2
	s_cbranch_vccnz .LBB45_361
; %bb.360:
	scratch_load_b64 v[93:94], v97, off
	ds_load_b64 v[102:103], v96
	s_waitcnt vmcnt(0) lgkmcnt(0)
	v_mul_f64 v[93:94], v[93:94], v[102:103]
	s_cbranch_execz .LBB45_362
	s_branch .LBB45_363
.LBB45_361:
                                        ; implicit-def: $vgpr93_vgpr94
.LBB45_362:
	ds_load_b64 v[93:94], v96
.LBB45_363:
	s_and_saveexec_b32 s4, s1
	s_cbranch_execz .LBB45_367
; %bb.364:
	v_dual_mov_b32 v102, 0 :: v_dual_add_nc_u32 v103, -9, v0
	s_movk_i32 s5, 0x1b8
	s_mov_b32 s1, 0
	s_delay_alu instid0(VALU_DEP_1)
	v_add_nc_u32_e32 v102, 0x48, v102
.LBB45_365:                             ; =>This Inner Loop Header: Depth=1
	scratch_load_b64 v[104:105], v102, off
	v_dual_mov_b32 v106, s5 :: v_dual_add_nc_u32 v103, -1, v103
	v_add_nc_u32_e32 v102, 8, v102
	s_add_i32 s5, s5, 8
	ds_load_b64 v[106:107], v106
	v_cmp_eq_u32_e32 vcc_lo, 0, v103
	s_or_b32 s1, vcc_lo, s1
	s_waitcnt vmcnt(0) lgkmcnt(0)
	v_fma_f64 v[93:94], v[104:105], v[106:107], v[93:94]
	s_and_not1_b32 exec_lo, exec_lo, s1
	s_cbranch_execnz .LBB45_365
; %bb.366:
	s_or_b32 exec_lo, exec_lo, s1
.LBB45_367:
	s_delay_alu instid0(SALU_CYCLE_1)
	s_or_b32 exec_lo, exec_lo, s4
	v_mov_b32_e32 v102, 0
	ds_load_b64 v[102:103], v102 offset:64
	s_waitcnt lgkmcnt(0)
	v_mul_f64 v[93:94], v[93:94], v[102:103]
	scratch_store_b64 off, v[93:94], off offset:64
.LBB45_368:
	s_or_b32 exec_lo, exec_lo, s3
	scratch_load_b64 v[93:94], off, off offset:56
	v_cmp_lt_u32_e64 s1, 7, v0
	s_waitcnt vmcnt(0)
	ds_store_b64 v96, v[93:94]
	s_waitcnt lgkmcnt(0)
	s_waitcnt_vscnt null, 0x0
	s_barrier
	buffer_gl0_inv
	s_and_saveexec_b32 s3, s1
	s_cbranch_execz .LBB45_378
; %bb.369:
	s_and_not1_b32 vcc_lo, exec_lo, s2
	s_cbranch_vccnz .LBB45_371
; %bb.370:
	scratch_load_b64 v[93:94], v97, off
	ds_load_b64 v[102:103], v96
	s_waitcnt vmcnt(0) lgkmcnt(0)
	v_mul_f64 v[93:94], v[93:94], v[102:103]
	s_cbranch_execz .LBB45_372
	s_branch .LBB45_373
.LBB45_371:
                                        ; implicit-def: $vgpr93_vgpr94
.LBB45_372:
	ds_load_b64 v[93:94], v96
.LBB45_373:
	s_and_saveexec_b32 s4, s0
	s_cbranch_execz .LBB45_377
; %bb.374:
	v_add_nc_u32_e32 v102, -8, v0
	s_movk_i32 s5, 0x1b0
	s_mov_b32 s0, 0
.LBB45_375:                             ; =>This Inner Loop Header: Depth=1
	scratch_load_b64 v[103:104], v101, off
	v_dual_mov_b32 v105, s5 :: v_dual_add_nc_u32 v102, -1, v102
	v_add_nc_u32_e32 v101, 8, v101
	s_add_i32 s5, s5, 8
	ds_load_b64 v[105:106], v105
	v_cmp_eq_u32_e32 vcc_lo, 0, v102
	s_or_b32 s0, vcc_lo, s0
	s_waitcnt vmcnt(0) lgkmcnt(0)
	v_fma_f64 v[93:94], v[103:104], v[105:106], v[93:94]
	s_and_not1_b32 exec_lo, exec_lo, s0
	s_cbranch_execnz .LBB45_375
; %bb.376:
	s_or_b32 exec_lo, exec_lo, s0
.LBB45_377:
	s_delay_alu instid0(SALU_CYCLE_1)
	s_or_b32 exec_lo, exec_lo, s4
	v_mov_b32_e32 v101, 0
	ds_load_b64 v[101:102], v101 offset:56
	s_waitcnt lgkmcnt(0)
	v_mul_f64 v[93:94], v[93:94], v[101:102]
	scratch_store_b64 off, v[93:94], off offset:56
.LBB45_378:
	s_or_b32 exec_lo, exec_lo, s3
	scratch_load_b64 v[93:94], off, off offset:48
	v_cmp_lt_u32_e64 s0, 6, v0
	s_waitcnt vmcnt(0)
	ds_store_b64 v96, v[93:94]
	s_waitcnt lgkmcnt(0)
	s_waitcnt_vscnt null, 0x0
	s_barrier
	buffer_gl0_inv
	s_and_saveexec_b32 s3, s0
	s_cbranch_execz .LBB45_388
; %bb.379:
	s_and_not1_b32 vcc_lo, exec_lo, s2
	s_cbranch_vccnz .LBB45_381
; %bb.380:
	scratch_load_b64 v[93:94], v97, off
	ds_load_b64 v[101:102], v96
	s_waitcnt vmcnt(0) lgkmcnt(0)
	v_mul_f64 v[93:94], v[93:94], v[101:102]
	s_cbranch_execz .LBB45_382
	s_branch .LBB45_383
.LBB45_381:
                                        ; implicit-def: $vgpr93_vgpr94
.LBB45_382:
	ds_load_b64 v[93:94], v96
.LBB45_383:
	s_and_saveexec_b32 s4, s1
	s_cbranch_execz .LBB45_387
; %bb.384:
	v_add_nc_u32_e64 v101, 0, 56
	v_add_nc_u32_e32 v102, -7, v0
	s_movk_i32 s5, 0x1a8
	s_mov_b32 s1, 0
.LBB45_385:                             ; =>This Inner Loop Header: Depth=1
	scratch_load_b64 v[103:104], v101, off
	v_dual_mov_b32 v105, s5 :: v_dual_add_nc_u32 v102, -1, v102
	v_add_nc_u32_e32 v101, 8, v101
	s_add_i32 s5, s5, 8
	ds_load_b64 v[105:106], v105
	v_cmp_eq_u32_e32 vcc_lo, 0, v102
	s_or_b32 s1, vcc_lo, s1
	s_waitcnt vmcnt(0) lgkmcnt(0)
	v_fma_f64 v[93:94], v[103:104], v[105:106], v[93:94]
	s_and_not1_b32 exec_lo, exec_lo, s1
	s_cbranch_execnz .LBB45_385
; %bb.386:
	s_or_b32 exec_lo, exec_lo, s1
.LBB45_387:
	s_delay_alu instid0(SALU_CYCLE_1)
	s_or_b32 exec_lo, exec_lo, s4
	v_mov_b32_e32 v101, 0
	ds_load_b64 v[101:102], v101 offset:48
	s_waitcnt lgkmcnt(0)
	v_mul_f64 v[93:94], v[93:94], v[101:102]
	scratch_store_b64 off, v[93:94], off offset:48
.LBB45_388:
	s_or_b32 exec_lo, exec_lo, s3
	scratch_load_b64 v[93:94], off, off offset:40
	v_cmp_lt_u32_e64 s1, 5, v0
	s_waitcnt vmcnt(0)
	ds_store_b64 v96, v[93:94]
	s_waitcnt lgkmcnt(0)
	s_waitcnt_vscnt null, 0x0
	s_barrier
	buffer_gl0_inv
	s_and_saveexec_b32 s3, s1
	s_cbranch_execz .LBB45_398
; %bb.389:
	s_and_not1_b32 vcc_lo, exec_lo, s2
	s_cbranch_vccnz .LBB45_391
; %bb.390:
	scratch_load_b64 v[93:94], v97, off
	ds_load_b64 v[101:102], v96
	s_waitcnt vmcnt(0) lgkmcnt(0)
	v_mul_f64 v[93:94], v[93:94], v[101:102]
	s_cbranch_execz .LBB45_392
	s_branch .LBB45_393
.LBB45_391:
                                        ; implicit-def: $vgpr93_vgpr94
.LBB45_392:
	ds_load_b64 v[93:94], v96
.LBB45_393:
	s_and_saveexec_b32 s4, s0
	s_cbranch_execz .LBB45_397
; %bb.394:
	v_add_nc_u32_e32 v101, -6, v0
	s_movk_i32 s5, 0x1a0
	s_mov_b32 s0, 0
.LBB45_395:                             ; =>This Inner Loop Header: Depth=1
	scratch_load_b64 v[102:103], v100, off
	v_dual_mov_b32 v104, s5 :: v_dual_add_nc_u32 v101, -1, v101
	v_add_nc_u32_e32 v100, 8, v100
	s_add_i32 s5, s5, 8
	ds_load_b64 v[104:105], v104
	v_cmp_eq_u32_e32 vcc_lo, 0, v101
	s_or_b32 s0, vcc_lo, s0
	s_waitcnt vmcnt(0) lgkmcnt(0)
	v_fma_f64 v[93:94], v[102:103], v[104:105], v[93:94]
	s_and_not1_b32 exec_lo, exec_lo, s0
	s_cbranch_execnz .LBB45_395
; %bb.396:
	s_or_b32 exec_lo, exec_lo, s0
.LBB45_397:
	s_delay_alu instid0(SALU_CYCLE_1)
	s_or_b32 exec_lo, exec_lo, s4
	v_mov_b32_e32 v100, 0
	ds_load_b64 v[100:101], v100 offset:40
	s_waitcnt lgkmcnt(0)
	v_mul_f64 v[93:94], v[93:94], v[100:101]
	scratch_store_b64 off, v[93:94], off offset:40
.LBB45_398:
	s_or_b32 exec_lo, exec_lo, s3
	scratch_load_b64 v[93:94], off, off offset:32
	v_cmp_lt_u32_e64 s0, 4, v0
	s_waitcnt vmcnt(0)
	ds_store_b64 v96, v[93:94]
	s_waitcnt lgkmcnt(0)
	s_waitcnt_vscnt null, 0x0
	s_barrier
	buffer_gl0_inv
	s_and_saveexec_b32 s3, s0
	s_cbranch_execz .LBB45_408
; %bb.399:
	s_and_not1_b32 vcc_lo, exec_lo, s2
	s_cbranch_vccnz .LBB45_401
; %bb.400:
	scratch_load_b64 v[93:94], v97, off
	ds_load_b64 v[100:101], v96
	s_waitcnt vmcnt(0) lgkmcnt(0)
	v_mul_f64 v[93:94], v[93:94], v[100:101]
	s_cbranch_execz .LBB45_402
	s_branch .LBB45_403
.LBB45_401:
                                        ; implicit-def: $vgpr93_vgpr94
.LBB45_402:
	ds_load_b64 v[93:94], v96
.LBB45_403:
	s_and_saveexec_b32 s4, s1
	s_cbranch_execz .LBB45_407
; %bb.404:
	v_add_nc_u32_e64 v100, 0, 40
	v_add_nc_u32_e32 v101, -5, v0
	s_movk_i32 s5, 0x198
	s_mov_b32 s1, 0
.LBB45_405:                             ; =>This Inner Loop Header: Depth=1
	scratch_load_b64 v[102:103], v100, off
	v_dual_mov_b32 v104, s5 :: v_dual_add_nc_u32 v101, -1, v101
	v_add_nc_u32_e32 v100, 8, v100
	s_add_i32 s5, s5, 8
	ds_load_b64 v[104:105], v104
	v_cmp_eq_u32_e32 vcc_lo, 0, v101
	s_or_b32 s1, vcc_lo, s1
	s_waitcnt vmcnt(0) lgkmcnt(0)
	v_fma_f64 v[93:94], v[102:103], v[104:105], v[93:94]
	s_and_not1_b32 exec_lo, exec_lo, s1
	s_cbranch_execnz .LBB45_405
; %bb.406:
	s_or_b32 exec_lo, exec_lo, s1
.LBB45_407:
	s_delay_alu instid0(SALU_CYCLE_1)
	s_or_b32 exec_lo, exec_lo, s4
	v_mov_b32_e32 v100, 0
	ds_load_b64 v[100:101], v100 offset:32
	s_waitcnt lgkmcnt(0)
	v_mul_f64 v[93:94], v[93:94], v[100:101]
	scratch_store_b64 off, v[93:94], off offset:32
.LBB45_408:
	s_or_b32 exec_lo, exec_lo, s3
	scratch_load_b64 v[93:94], off, off offset:24
	v_cmp_lt_u32_e64 s1, 3, v0
	s_waitcnt vmcnt(0)
	ds_store_b64 v96, v[93:94]
	s_waitcnt lgkmcnt(0)
	s_waitcnt_vscnt null, 0x0
	s_barrier
	buffer_gl0_inv
	s_and_saveexec_b32 s3, s1
	s_cbranch_execz .LBB45_418
; %bb.409:
	s_and_not1_b32 vcc_lo, exec_lo, s2
	s_cbranch_vccnz .LBB45_411
; %bb.410:
	scratch_load_b64 v[93:94], v97, off
	ds_load_b64 v[100:101], v96
	s_waitcnt vmcnt(0) lgkmcnt(0)
	v_mul_f64 v[93:94], v[93:94], v[100:101]
	s_cbranch_execz .LBB45_412
	s_branch .LBB45_413
.LBB45_411:
                                        ; implicit-def: $vgpr93_vgpr94
.LBB45_412:
	ds_load_b64 v[93:94], v96
.LBB45_413:
	s_and_saveexec_b32 s4, s0
	s_cbranch_execz .LBB45_417
; %bb.414:
	v_add_nc_u32_e32 v100, -4, v0
	s_movk_i32 s5, 0x190
	s_mov_b32 s0, 0
.LBB45_415:                             ; =>This Inner Loop Header: Depth=1
	scratch_load_b64 v[101:102], v99, off
	v_dual_mov_b32 v103, s5 :: v_dual_add_nc_u32 v100, -1, v100
	v_add_nc_u32_e32 v99, 8, v99
	s_add_i32 s5, s5, 8
	ds_load_b64 v[103:104], v103
	v_cmp_eq_u32_e32 vcc_lo, 0, v100
	s_or_b32 s0, vcc_lo, s0
	s_waitcnt vmcnt(0) lgkmcnt(0)
	v_fma_f64 v[93:94], v[101:102], v[103:104], v[93:94]
	s_and_not1_b32 exec_lo, exec_lo, s0
	s_cbranch_execnz .LBB45_415
; %bb.416:
	s_or_b32 exec_lo, exec_lo, s0
.LBB45_417:
	s_delay_alu instid0(SALU_CYCLE_1)
	s_or_b32 exec_lo, exec_lo, s4
	v_mov_b32_e32 v99, 0
	ds_load_b64 v[99:100], v99 offset:24
	s_waitcnt lgkmcnt(0)
	v_mul_f64 v[93:94], v[93:94], v[99:100]
	scratch_store_b64 off, v[93:94], off offset:24
.LBB45_418:
	s_or_b32 exec_lo, exec_lo, s3
	scratch_load_b64 v[93:94], off, off offset:16
	v_cmp_lt_u32_e64 s0, 2, v0
	s_waitcnt vmcnt(0)
	ds_store_b64 v96, v[93:94]
	s_waitcnt lgkmcnt(0)
	s_waitcnt_vscnt null, 0x0
	s_barrier
	buffer_gl0_inv
	s_and_saveexec_b32 s3, s0
	s_cbranch_execz .LBB45_428
; %bb.419:
	s_and_not1_b32 vcc_lo, exec_lo, s2
	s_cbranch_vccnz .LBB45_421
; %bb.420:
	scratch_load_b64 v[93:94], v97, off
	ds_load_b64 v[99:100], v96
	s_waitcnt vmcnt(0) lgkmcnt(0)
	v_mul_f64 v[93:94], v[93:94], v[99:100]
	s_cbranch_execz .LBB45_422
	s_branch .LBB45_423
.LBB45_421:
                                        ; implicit-def: $vgpr93_vgpr94
.LBB45_422:
	ds_load_b64 v[93:94], v96
.LBB45_423:
	s_and_saveexec_b32 s4, s1
	s_cbranch_execz .LBB45_427
; %bb.424:
	v_add_nc_u32_e64 v99, 0, 24
	v_add_nc_u32_e32 v100, -3, v0
	s_movk_i32 s5, 0x188
	s_mov_b32 s1, 0
.LBB45_425:                             ; =>This Inner Loop Header: Depth=1
	scratch_load_b64 v[101:102], v99, off
	v_dual_mov_b32 v103, s5 :: v_dual_add_nc_u32 v100, -1, v100
	v_add_nc_u32_e32 v99, 8, v99
	s_add_i32 s5, s5, 8
	ds_load_b64 v[103:104], v103
	v_cmp_eq_u32_e32 vcc_lo, 0, v100
	s_or_b32 s1, vcc_lo, s1
	s_waitcnt vmcnt(0) lgkmcnt(0)
	v_fma_f64 v[93:94], v[101:102], v[103:104], v[93:94]
	s_and_not1_b32 exec_lo, exec_lo, s1
	s_cbranch_execnz .LBB45_425
; %bb.426:
	s_or_b32 exec_lo, exec_lo, s1
.LBB45_427:
	s_delay_alu instid0(SALU_CYCLE_1)
	s_or_b32 exec_lo, exec_lo, s4
	v_mov_b32_e32 v99, 0
	ds_load_b64 v[99:100], v99 offset:16
	s_waitcnt lgkmcnt(0)
	v_mul_f64 v[93:94], v[93:94], v[99:100]
	scratch_store_b64 off, v[93:94], off offset:16
.LBB45_428:
	s_or_b32 exec_lo, exec_lo, s3
	scratch_load_b64 v[93:94], off, off offset:8
	v_cmp_lt_u32_e64 s1, 1, v0
	s_waitcnt vmcnt(0)
	ds_store_b64 v96, v[93:94]
	s_waitcnt lgkmcnt(0)
	s_waitcnt_vscnt null, 0x0
	s_barrier
	buffer_gl0_inv
	s_and_saveexec_b32 s3, s1
	s_cbranch_execz .LBB45_438
; %bb.429:
	s_and_not1_b32 vcc_lo, exec_lo, s2
	s_cbranch_vccnz .LBB45_431
; %bb.430:
	scratch_load_b64 v[93:94], v97, off
	ds_load_b64 v[99:100], v96
	s_waitcnt vmcnt(0) lgkmcnt(0)
	v_mul_f64 v[93:94], v[93:94], v[99:100]
	s_cbranch_execz .LBB45_432
	s_branch .LBB45_433
.LBB45_431:
                                        ; implicit-def: $vgpr93_vgpr94
.LBB45_432:
	ds_load_b64 v[93:94], v96
.LBB45_433:
	s_and_saveexec_b32 s4, s0
	s_cbranch_execz .LBB45_437
; %bb.434:
	v_add_nc_u32_e32 v99, -2, v0
	s_movk_i32 s5, 0x180
	s_mov_b32 s0, 0
.LBB45_435:                             ; =>This Inner Loop Header: Depth=1
	scratch_load_b64 v[100:101], v98, off
	v_dual_mov_b32 v102, s5 :: v_dual_add_nc_u32 v99, -1, v99
	v_add_nc_u32_e32 v98, 8, v98
	s_add_i32 s5, s5, 8
	ds_load_b64 v[102:103], v102
	v_cmp_eq_u32_e32 vcc_lo, 0, v99
	s_or_b32 s0, vcc_lo, s0
	s_waitcnt vmcnt(0) lgkmcnt(0)
	v_fma_f64 v[93:94], v[100:101], v[102:103], v[93:94]
	s_and_not1_b32 exec_lo, exec_lo, s0
	s_cbranch_execnz .LBB45_435
; %bb.436:
	s_or_b32 exec_lo, exec_lo, s0
.LBB45_437:
	s_delay_alu instid0(SALU_CYCLE_1)
	s_or_b32 exec_lo, exec_lo, s4
	v_mov_b32_e32 v98, 0
	ds_load_b64 v[98:99], v98 offset:8
	s_waitcnt lgkmcnt(0)
	v_mul_f64 v[93:94], v[93:94], v[98:99]
	scratch_store_b64 off, v[93:94], off offset:8
.LBB45_438:
	s_or_b32 exec_lo, exec_lo, s3
	scratch_load_b64 v[93:94], off, off
	s_mov_b32 s0, 0
	s_mov_b32 s3, exec_lo
	s_waitcnt vmcnt(0)
	ds_store_b64 v96, v[93:94]
	s_waitcnt lgkmcnt(0)
	s_waitcnt_vscnt null, 0x0
	s_barrier
	buffer_gl0_inv
	v_cmpx_ne_u32_e32 0, v0
	s_cbranch_execz .LBB45_448
; %bb.439:
	s_and_not1_b32 vcc_lo, exec_lo, s2
	s_cbranch_vccnz .LBB45_441
; %bb.440:
	scratch_load_b64 v[93:94], v97, off
	ds_load_b64 v[98:99], v96
	s_waitcnt vmcnt(0) lgkmcnt(0)
	v_mul_f64 v[93:94], v[93:94], v[98:99]
	s_cbranch_execz .LBB45_442
	s_branch .LBB45_443
.LBB45_441:
                                        ; implicit-def: $vgpr93_vgpr94
.LBB45_442:
	ds_load_b64 v[93:94], v96
.LBB45_443:
	s_and_saveexec_b32 s4, s1
	s_cbranch_execz .LBB45_447
; %bb.444:
	v_or_b32_e64 v98, 0, 8
	v_add_nc_u32_e32 v99, -1, v0
	s_movk_i32 s5, 0x178
	s_mov_b32 s1, 0
.LBB45_445:                             ; =>This Inner Loop Header: Depth=1
	scratch_load_b64 v[100:101], v98, off
	v_dual_mov_b32 v102, s5 :: v_dual_add_nc_u32 v99, -1, v99
	v_add_nc_u32_e32 v98, 8, v98
	s_add_i32 s5, s5, 8
	ds_load_b64 v[102:103], v102
	v_cmp_eq_u32_e32 vcc_lo, 0, v99
	s_or_b32 s1, vcc_lo, s1
	s_waitcnt vmcnt(0) lgkmcnt(0)
	v_fma_f64 v[93:94], v[100:101], v[102:103], v[93:94]
	s_and_not1_b32 exec_lo, exec_lo, s1
	s_cbranch_execnz .LBB45_445
; %bb.446:
	s_or_b32 exec_lo, exec_lo, s1
.LBB45_447:
	s_delay_alu instid0(SALU_CYCLE_1)
	s_or_b32 exec_lo, exec_lo, s4
	v_mov_b32_e32 v98, 0
	ds_load_b64 v[98:99], v98
	s_waitcnt lgkmcnt(0)
	v_mul_f64 v[93:94], v[93:94], v[98:99]
	scratch_store_b64 off, v[93:94], off
.LBB45_448:
	s_or_b32 exec_lo, exec_lo, s3
.LBB45_449:
	s_delay_alu instid0(SALU_CYCLE_1)
	s_and_b32 vcc_lo, exec_lo, s0
	s_cbranch_vccz .LBB45_895
; %bb.450:
	scratch_load_b64 v[93:94], off, off offset:8
	v_cmp_eq_u32_e64 s0, 0, v0
	s_waitcnt vmcnt(0)
	ds_store_b64 v96, v[93:94]
	s_waitcnt lgkmcnt(0)
	s_waitcnt_vscnt null, 0x0
	s_barrier
	buffer_gl0_inv
	s_and_saveexec_b32 s1, s0
	s_cbranch_execz .LBB45_456
; %bb.451:
	s_and_b32 vcc_lo, exec_lo, s2
	s_cbranch_vccz .LBB45_453
; %bb.452:
	scratch_load_b64 v[93:94], v97, off
	ds_load_b64 v[98:99], v96
	s_waitcnt vmcnt(0) lgkmcnt(0)
	v_mul_f64 v[93:94], v[93:94], v[98:99]
	s_cbranch_execz .LBB45_454
	s_branch .LBB45_455
.LBB45_453:
                                        ; implicit-def: $vgpr93_vgpr94
.LBB45_454:
	ds_load_b64 v[93:94], v96
.LBB45_455:
	v_mov_b32_e32 v98, 0
	ds_load_b64 v[98:99], v98 offset:8
	s_waitcnt lgkmcnt(0)
	v_mul_f64 v[93:94], v[93:94], v[98:99]
	scratch_store_b64 off, v[93:94], off offset:8
.LBB45_456:
	s_or_b32 exec_lo, exec_lo, s1
	scratch_load_b64 v[93:94], off, off offset:16
	v_cndmask_b32_e64 v98, 0, 1, s2
	s_mov_b32 s1, exec_lo
	s_waitcnt vmcnt(0)
	ds_store_b64 v96, v[93:94]
	s_waitcnt lgkmcnt(0)
	s_waitcnt_vscnt null, 0x0
	s_barrier
	buffer_gl0_inv
	v_cmpx_gt_u32_e32 2, v0
	s_cbranch_execz .LBB45_464
; %bb.457:
	s_and_not1_b32 vcc_lo, exec_lo, s2
	s_cbranch_vccnz .LBB45_459
; %bb.458:
	scratch_load_b64 v[93:94], v97, off
	ds_load_b64 v[99:100], v96
	s_waitcnt vmcnt(0) lgkmcnt(0)
	v_mul_f64 v[93:94], v[93:94], v[99:100]
	s_cbranch_execz .LBB45_460
	s_branch .LBB45_461
.LBB45_459:
                                        ; implicit-def: $vgpr93_vgpr94
.LBB45_460:
	ds_load_b64 v[93:94], v96
.LBB45_461:
	s_and_saveexec_b32 s2, s0
	s_cbranch_execz .LBB45_463
; %bb.462:
	scratch_load_b64 v[99:100], v97, off offset:8
	ds_load_b64 v[101:102], v96 offset:8
	s_waitcnt vmcnt(0) lgkmcnt(0)
	v_fma_f64 v[93:94], v[99:100], v[101:102], v[93:94]
.LBB45_463:
	s_or_b32 exec_lo, exec_lo, s2
	v_mov_b32_e32 v99, 0
	ds_load_b64 v[99:100], v99 offset:16
	s_waitcnt lgkmcnt(0)
	v_mul_f64 v[93:94], v[93:94], v[99:100]
	scratch_store_b64 off, v[93:94], off offset:16
.LBB45_464:
	s_or_b32 exec_lo, exec_lo, s1
	scratch_load_b64 v[93:94], off, off offset:24
	s_mov_b32 s1, exec_lo
	s_waitcnt vmcnt(0)
	ds_store_b64 v96, v[93:94]
	s_waitcnt lgkmcnt(0)
	s_waitcnt_vscnt null, 0x0
	s_barrier
	buffer_gl0_inv
	v_cmpx_gt_u32_e32 3, v0
	s_cbranch_execz .LBB45_474
; %bb.465:
	v_cmp_ne_u32_e32 vcc_lo, 1, v98
	s_cbranch_vccnz .LBB45_467
; %bb.466:
	scratch_load_b64 v[93:94], v97, off
	ds_load_b64 v[99:100], v96
	s_waitcnt vmcnt(0) lgkmcnt(0)
	v_mul_f64 v[93:94], v[93:94], v[99:100]
	s_cbranch_execz .LBB45_468
	s_branch .LBB45_469
.LBB45_467:
                                        ; implicit-def: $vgpr93_vgpr94
.LBB45_468:
	ds_load_b64 v[93:94], v96
.LBB45_469:
	s_mov_b32 s2, exec_lo
	v_cmpx_ne_u32_e32 2, v0
	s_cbranch_execz .LBB45_473
; %bb.470:
	scratch_load_b64 v[99:100], v97, off offset:8
	ds_load_b64 v[101:102], v96 offset:8
	s_waitcnt vmcnt(0) lgkmcnt(0)
	v_fma_f64 v[93:94], v[99:100], v[101:102], v[93:94]
	s_and_saveexec_b32 s3, s0
	s_cbranch_execz .LBB45_472
; %bb.471:
	scratch_load_b64 v[99:100], off, off offset:16
	v_mov_b32_e32 v101, 0
	ds_load_b64 v[101:102], v101 offset:384
	s_waitcnt vmcnt(0) lgkmcnt(0)
	v_fma_f64 v[93:94], v[99:100], v[101:102], v[93:94]
.LBB45_472:
	s_or_b32 exec_lo, exec_lo, s3
.LBB45_473:
	s_delay_alu instid0(SALU_CYCLE_1)
	s_or_b32 exec_lo, exec_lo, s2
	v_mov_b32_e32 v99, 0
	ds_load_b64 v[99:100], v99 offset:24
	s_waitcnt lgkmcnt(0)
	v_mul_f64 v[93:94], v[93:94], v[99:100]
	scratch_store_b64 off, v[93:94], off offset:24
.LBB45_474:
	s_or_b32 exec_lo, exec_lo, s1
	scratch_load_b64 v[93:94], off, off offset:32
	s_mov_b32 s0, exec_lo
	s_waitcnt vmcnt(0)
	ds_store_b64 v96, v[93:94]
	s_waitcnt lgkmcnt(0)
	s_waitcnt_vscnt null, 0x0
	s_barrier
	buffer_gl0_inv
	v_cmpx_gt_u32_e32 4, v0
	s_cbranch_execz .LBB45_484
; %bb.475:
	v_cmp_ne_u32_e32 vcc_lo, 1, v98
	s_cbranch_vccnz .LBB45_477
; %bb.476:
	scratch_load_b64 v[93:94], v97, off
	ds_load_b64 v[99:100], v96
	s_waitcnt vmcnt(0) lgkmcnt(0)
	v_mul_f64 v[93:94], v[93:94], v[99:100]
	s_cbranch_execz .LBB45_478
	s_branch .LBB45_479
.LBB45_477:
                                        ; implicit-def: $vgpr93_vgpr94
.LBB45_478:
	ds_load_b64 v[93:94], v96
.LBB45_479:
	s_mov_b32 s1, exec_lo
	v_cmpx_ne_u32_e32 3, v0
	s_cbranch_execz .LBB45_483
; %bb.480:
	v_add_nc_u32_e32 v99, 0x178, v95
	v_add3_u32 v100, 0, v95, 8
	v_mov_b32_e32 v101, v0
	s_mov_b32 s2, 0
.LBB45_481:                             ; =>This Inner Loop Header: Depth=1
	scratch_load_b64 v[102:103], v100, off
	ds_load_b64 v[104:105], v99
	v_add_nc_u32_e32 v101, 1, v101
	v_add_nc_u32_e32 v99, 8, v99
	v_add_nc_u32_e32 v100, 8, v100
	s_delay_alu instid0(VALU_DEP_3)
	v_cmp_lt_u32_e32 vcc_lo, 2, v101
	s_or_b32 s2, vcc_lo, s2
	s_waitcnt vmcnt(0) lgkmcnt(0)
	v_fma_f64 v[93:94], v[102:103], v[104:105], v[93:94]
	s_and_not1_b32 exec_lo, exec_lo, s2
	s_cbranch_execnz .LBB45_481
; %bb.482:
	s_or_b32 exec_lo, exec_lo, s2
.LBB45_483:
	s_delay_alu instid0(SALU_CYCLE_1)
	s_or_b32 exec_lo, exec_lo, s1
	v_mov_b32_e32 v99, 0
	ds_load_b64 v[99:100], v99 offset:32
	s_waitcnt lgkmcnt(0)
	v_mul_f64 v[93:94], v[93:94], v[99:100]
	scratch_store_b64 off, v[93:94], off offset:32
.LBB45_484:
	s_or_b32 exec_lo, exec_lo, s0
	scratch_load_b64 v[93:94], off, off offset:40
	s_mov_b32 s0, exec_lo
	s_waitcnt vmcnt(0)
	ds_store_b64 v96, v[93:94]
	s_waitcnt lgkmcnt(0)
	s_waitcnt_vscnt null, 0x0
	s_barrier
	buffer_gl0_inv
	v_cmpx_gt_u32_e32 5, v0
	s_cbranch_execz .LBB45_494
; %bb.485:
	v_cmp_ne_u32_e32 vcc_lo, 1, v98
	s_cbranch_vccnz .LBB45_487
; %bb.486:
	scratch_load_b64 v[93:94], v97, off
	ds_load_b64 v[99:100], v96
	s_waitcnt vmcnt(0) lgkmcnt(0)
	v_mul_f64 v[93:94], v[93:94], v[99:100]
	s_cbranch_execz .LBB45_488
	s_branch .LBB45_489
.LBB45_487:
                                        ; implicit-def: $vgpr93_vgpr94
.LBB45_488:
	ds_load_b64 v[93:94], v96
.LBB45_489:
	s_mov_b32 s1, exec_lo
	v_cmpx_ne_u32_e32 4, v0
	s_cbranch_execz .LBB45_493
; %bb.490:
	v_add_nc_u32_e32 v99, 0x178, v95
	v_add3_u32 v100, 0, v95, 8
	v_mov_b32_e32 v101, v0
	s_mov_b32 s2, 0
.LBB45_491:                             ; =>This Inner Loop Header: Depth=1
	scratch_load_b64 v[102:103], v100, off
	ds_load_b64 v[104:105], v99
	v_add_nc_u32_e32 v101, 1, v101
	v_add_nc_u32_e32 v99, 8, v99
	v_add_nc_u32_e32 v100, 8, v100
	s_delay_alu instid0(VALU_DEP_3)
	v_cmp_lt_u32_e32 vcc_lo, 3, v101
	s_or_b32 s2, vcc_lo, s2
	s_waitcnt vmcnt(0) lgkmcnt(0)
	v_fma_f64 v[93:94], v[102:103], v[104:105], v[93:94]
	s_and_not1_b32 exec_lo, exec_lo, s2
	s_cbranch_execnz .LBB45_491
; %bb.492:
	s_or_b32 exec_lo, exec_lo, s2
.LBB45_493:
	s_delay_alu instid0(SALU_CYCLE_1)
	s_or_b32 exec_lo, exec_lo, s1
	v_mov_b32_e32 v99, 0
	ds_load_b64 v[99:100], v99 offset:40
	s_waitcnt lgkmcnt(0)
	v_mul_f64 v[93:94], v[93:94], v[99:100]
	scratch_store_b64 off, v[93:94], off offset:40
.LBB45_494:
	;; [unrolled: 58-line block ×40, first 2 shown]
	s_or_b32 exec_lo, exec_lo, s0
	scratch_load_b64 v[93:94], off, off offset:352
	v_cmp_gt_u32_e64 s0, 44, v0
	s_waitcnt vmcnt(0)
	ds_store_b64 v96, v[93:94]
	s_waitcnt lgkmcnt(0)
	s_waitcnt_vscnt null, 0x0
	s_barrier
	buffer_gl0_inv
	s_and_saveexec_b32 s1, s0
	s_cbranch_execz .LBB45_884
; %bb.875:
	v_cmp_ne_u32_e32 vcc_lo, 1, v98
	s_cbranch_vccnz .LBB45_877
; %bb.876:
	scratch_load_b64 v[93:94], v97, off
	ds_load_b64 v[99:100], v96
	s_waitcnt vmcnt(0) lgkmcnt(0)
	v_mul_f64 v[93:94], v[93:94], v[99:100]
	s_cbranch_execz .LBB45_878
	s_branch .LBB45_879
.LBB45_877:
                                        ; implicit-def: $vgpr93_vgpr94
.LBB45_878:
	ds_load_b64 v[93:94], v96
.LBB45_879:
	s_mov_b32 s2, exec_lo
	v_cmpx_ne_u32_e32 43, v0
	s_cbranch_execz .LBB45_883
; %bb.880:
	v_add_nc_u32_e32 v99, 0x178, v95
	v_add3_u32 v100, 0, v95, 8
	v_mov_b32_e32 v101, v0
	s_mov_b32 s3, 0
.LBB45_881:                             ; =>This Inner Loop Header: Depth=1
	scratch_load_b64 v[102:103], v100, off
	ds_load_b64 v[104:105], v99
	v_add_nc_u32_e32 v101, 1, v101
	v_add_nc_u32_e32 v99, 8, v99
	;; [unrolled: 1-line block ×3, first 2 shown]
	s_delay_alu instid0(VALU_DEP_3)
	v_cmp_lt_u32_e32 vcc_lo, 42, v101
	s_or_b32 s3, vcc_lo, s3
	s_waitcnt vmcnt(0) lgkmcnt(0)
	v_fma_f64 v[93:94], v[102:103], v[104:105], v[93:94]
	s_and_not1_b32 exec_lo, exec_lo, s3
	s_cbranch_execnz .LBB45_881
; %bb.882:
	s_or_b32 exec_lo, exec_lo, s3
.LBB45_883:
	s_delay_alu instid0(SALU_CYCLE_1)
	s_or_b32 exec_lo, exec_lo, s2
	v_mov_b32_e32 v99, 0
	ds_load_b64 v[99:100], v99 offset:352
	s_waitcnt lgkmcnt(0)
	v_mul_f64 v[93:94], v[93:94], v[99:100]
	scratch_store_b64 off, v[93:94], off offset:352
.LBB45_884:
	s_or_b32 exec_lo, exec_lo, s1
	scratch_load_b64 v[93:94], off, off offset:360
	s_mov_b32 s1, exec_lo
	s_waitcnt vmcnt(0)
	ds_store_b64 v96, v[93:94]
	s_waitcnt lgkmcnt(0)
	s_waitcnt_vscnt null, 0x0
	s_barrier
	buffer_gl0_inv
	v_cmpx_ne_u32_e32 45, v0
	s_cbranch_execz .LBB45_894
; %bb.885:
	v_cmp_ne_u32_e32 vcc_lo, 1, v98
	s_cbranch_vccnz .LBB45_887
; %bb.886:
	scratch_load_b64 v[93:94], v97, off
	ds_load_b64 v[97:98], v96
	s_waitcnt vmcnt(0) lgkmcnt(0)
	v_mul_f64 v[93:94], v[93:94], v[97:98]
	s_cbranch_execz .LBB45_888
	s_branch .LBB45_889
.LBB45_887:
                                        ; implicit-def: $vgpr93_vgpr94
.LBB45_888:
	ds_load_b64 v[93:94], v96
.LBB45_889:
	s_and_saveexec_b32 s2, s0
	s_cbranch_execz .LBB45_893
; %bb.890:
	v_add_nc_u32_e32 v96, 0x178, v95
	v_add3_u32 v95, 0, v95, 8
	s_mov_b32 s0, 0
.LBB45_891:                             ; =>This Inner Loop Header: Depth=1
	scratch_load_b64 v[97:98], v95, off
	ds_load_b64 v[99:100], v96
	v_add_nc_u32_e32 v0, 1, v0
	v_add_nc_u32_e32 v96, 8, v96
	;; [unrolled: 1-line block ×3, first 2 shown]
	s_delay_alu instid0(VALU_DEP_3)
	v_cmp_lt_u32_e32 vcc_lo, 43, v0
	s_or_b32 s0, vcc_lo, s0
	s_waitcnt vmcnt(0) lgkmcnt(0)
	v_fma_f64 v[93:94], v[97:98], v[99:100], v[93:94]
	s_and_not1_b32 exec_lo, exec_lo, s0
	s_cbranch_execnz .LBB45_891
; %bb.892:
	s_or_b32 exec_lo, exec_lo, s0
.LBB45_893:
	s_delay_alu instid0(SALU_CYCLE_1)
	s_or_b32 exec_lo, exec_lo, s2
	v_mov_b32_e32 v0, 0
	ds_load_b64 v[95:96], v0 offset:360
	s_waitcnt lgkmcnt(0)
	v_mul_f64 v[93:94], v[93:94], v[95:96]
	scratch_store_b64 off, v[93:94], off offset:360
.LBB45_894:
	s_or_b32 exec_lo, exec_lo, s1
.LBB45_895:
	s_clause 0xb
	scratch_load_b128 v[93:96], off, off
	scratch_load_b128 v[97:100], off, off offset:16
	scratch_load_b128 v[101:104], off, off offset:32
	;; [unrolled: 1-line block ×11, first 2 shown]
	s_waitcnt vmcnt(11)
	s_clause 0x1
	global_store_b64 v[9:10], v[93:94], off
	global_store_b64 v[15:16], v[95:96], off
	s_clause 0x1
	scratch_load_b128 v[93:96], off, off offset:192
	scratch_load_b128 v[141:144], off, off offset:208
	s_waitcnt vmcnt(12)
	s_clause 0x1
	global_store_b64 v[1:2], v[97:98], off
	global_store_b64 v[3:4], v[99:100], off
	s_clause 0x1
	scratch_load_b128 v[0:3], off, off offset:224
	scratch_load_b128 v[97:100], off, off offset:240
	;; [unrolled: 7-line block ×5, first 2 shown]
	s_waitcnt vmcnt(16)
	s_clause 0x1
	global_store_b64 v[5:6], v[113:114], off
	global_store_b64 v[17:18], v[115:116], off
	scratch_load_b128 v[109:112], off, off offset:352
	s_waitcnt vmcnt(16)
	s_clause 0x1
	global_store_b64 v[11:12], v[117:118], off
	global_store_b64 v[23:24], v[119:120], off
	s_waitcnt vmcnt(15)
	s_clause 0x1
	global_store_b64 v[27:28], v[121:122], off
	global_store_b64 v[31:32], v[123:124], off
	;; [unrolled: 4-line block ×17, first 2 shown]
.LBB45_896:
	s_endpgm
	.section	.rodata,"a",@progbits
	.p2align	6, 0x0
	.amdhsa_kernel _ZN9rocsolver6v33100L18trti2_kernel_smallILi46EdPdEEv13rocblas_fill_17rocblas_diagonal_T1_iil
		.amdhsa_group_segment_fixed_size 736
		.amdhsa_private_segment_fixed_size 384
		.amdhsa_kernarg_size 32
		.amdhsa_user_sgpr_count 15
		.amdhsa_user_sgpr_dispatch_ptr 0
		.amdhsa_user_sgpr_queue_ptr 0
		.amdhsa_user_sgpr_kernarg_segment_ptr 1
		.amdhsa_user_sgpr_dispatch_id 0
		.amdhsa_user_sgpr_private_segment_size 0
		.amdhsa_wavefront_size32 1
		.amdhsa_uses_dynamic_stack 0
		.amdhsa_enable_private_segment 1
		.amdhsa_system_sgpr_workgroup_id_x 1
		.amdhsa_system_sgpr_workgroup_id_y 0
		.amdhsa_system_sgpr_workgroup_id_z 0
		.amdhsa_system_sgpr_workgroup_info 0
		.amdhsa_system_vgpr_workitem_id 0
		.amdhsa_next_free_vgpr 149
		.amdhsa_next_free_sgpr 20
		.amdhsa_reserve_vcc 1
		.amdhsa_float_round_mode_32 0
		.amdhsa_float_round_mode_16_64 0
		.amdhsa_float_denorm_mode_32 3
		.amdhsa_float_denorm_mode_16_64 3
		.amdhsa_dx10_clamp 1
		.amdhsa_ieee_mode 1
		.amdhsa_fp16_overflow 0
		.amdhsa_workgroup_processor_mode 1
		.amdhsa_memory_ordered 1
		.amdhsa_forward_progress 0
		.amdhsa_shared_vgpr_count 0
		.amdhsa_exception_fp_ieee_invalid_op 0
		.amdhsa_exception_fp_denorm_src 0
		.amdhsa_exception_fp_ieee_div_zero 0
		.amdhsa_exception_fp_ieee_overflow 0
		.amdhsa_exception_fp_ieee_underflow 0
		.amdhsa_exception_fp_ieee_inexact 0
		.amdhsa_exception_int_div_zero 0
	.end_amdhsa_kernel
	.section	.text._ZN9rocsolver6v33100L18trti2_kernel_smallILi46EdPdEEv13rocblas_fill_17rocblas_diagonal_T1_iil,"axG",@progbits,_ZN9rocsolver6v33100L18trti2_kernel_smallILi46EdPdEEv13rocblas_fill_17rocblas_diagonal_T1_iil,comdat
.Lfunc_end45:
	.size	_ZN9rocsolver6v33100L18trti2_kernel_smallILi46EdPdEEv13rocblas_fill_17rocblas_diagonal_T1_iil, .Lfunc_end45-_ZN9rocsolver6v33100L18trti2_kernel_smallILi46EdPdEEv13rocblas_fill_17rocblas_diagonal_T1_iil
                                        ; -- End function
	.section	.AMDGPU.csdata,"",@progbits
; Kernel info:
; codeLenInByte = 25152
; NumSgprs: 22
; NumVgprs: 149
; ScratchSize: 384
; MemoryBound: 0
; FloatMode: 240
; IeeeMode: 1
; LDSByteSize: 736 bytes/workgroup (compile time only)
; SGPRBlocks: 2
; VGPRBlocks: 18
; NumSGPRsForWavesPerEU: 22
; NumVGPRsForWavesPerEU: 149
; Occupancy: 9
; WaveLimiterHint : 0
; COMPUTE_PGM_RSRC2:SCRATCH_EN: 1
; COMPUTE_PGM_RSRC2:USER_SGPR: 15
; COMPUTE_PGM_RSRC2:TRAP_HANDLER: 0
; COMPUTE_PGM_RSRC2:TGID_X_EN: 1
; COMPUTE_PGM_RSRC2:TGID_Y_EN: 0
; COMPUTE_PGM_RSRC2:TGID_Z_EN: 0
; COMPUTE_PGM_RSRC2:TIDIG_COMP_CNT: 0
	.section	.text._ZN9rocsolver6v33100L18trti2_kernel_smallILi47EdPdEEv13rocblas_fill_17rocblas_diagonal_T1_iil,"axG",@progbits,_ZN9rocsolver6v33100L18trti2_kernel_smallILi47EdPdEEv13rocblas_fill_17rocblas_diagonal_T1_iil,comdat
	.globl	_ZN9rocsolver6v33100L18trti2_kernel_smallILi47EdPdEEv13rocblas_fill_17rocblas_diagonal_T1_iil ; -- Begin function _ZN9rocsolver6v33100L18trti2_kernel_smallILi47EdPdEEv13rocblas_fill_17rocblas_diagonal_T1_iil
	.p2align	8
	.type	_ZN9rocsolver6v33100L18trti2_kernel_smallILi47EdPdEEv13rocblas_fill_17rocblas_diagonal_T1_iil,@function
_ZN9rocsolver6v33100L18trti2_kernel_smallILi47EdPdEEv13rocblas_fill_17rocblas_diagonal_T1_iil: ; @_ZN9rocsolver6v33100L18trti2_kernel_smallILi47EdPdEEv13rocblas_fill_17rocblas_diagonal_T1_iil
; %bb.0:
	s_mov_b32 s2, exec_lo
	v_cmpx_gt_u32_e32 47, v0
	s_cbranch_execz .LBB46_916
; %bb.1:
	s_load_b256 s[0:7], s[0:1], 0x0
	s_ashr_i32 s8, s15, 31
	v_lshlrev_b32_e32 v97, 3, v0
	s_waitcnt lgkmcnt(0)
	s_mul_i32 s7, s15, s7
	s_mul_hi_u32 s10, s15, s6
	s_mul_i32 s8, s8, s6
	s_add_i32 s7, s10, s7
	s_mul_i32 s6, s15, s6
	s_add_i32 s7, s7, s8
	v_add3_u32 v1, s5, s5, v0
	s_lshl_b64 s[6:7], s[6:7], 3
	s_ashr_i32 s9, s4, 31
	s_mov_b32 s8, s4
	s_add_u32 s4, s2, s6
	s_addc_u32 s6, s3, s7
	s_lshl_b64 s[2:3], s[8:9], 3
	v_add_nc_u32_e32 v3, s5, v1
	s_add_u32 s2, s4, s2
	s_addc_u32 s3, s6, s3
	v_add_co_u32 v21, s4, s2, v97
	s_mov_b32 s10, s5
	s_ashr_i32 s11, s5, 31
	v_add_co_ci_u32_e64 v22, null, s3, 0, s4
	s_lshl_b64 s[6:7], s[10:11], 3
	v_ashrrev_i32_e32 v2, 31, v1
	v_add_nc_u32_e32 v5, s5, v3
	v_add_co_u32 v11, vcc_lo, v21, s6
	v_add_co_ci_u32_e32 v12, vcc_lo, s7, v22, vcc_lo
	v_ashrrev_i32_e32 v4, 31, v3
	v_lshlrev_b64 v[1:2], 3, v[1:2]
	v_add_nc_u32_e32 v13, s5, v5
	s_clause 0x1
	global_load_b64 v[47:48], v97, s[2:3]
	global_load_b64 v[49:50], v[11:12], off
	v_ashrrev_i32_e32 v6, 31, v5
	v_lshlrev_b64 v[3:4], 3, v[3:4]
	s_cmpk_lg_i32 s1, 0x84
	v_add_co_u32 v7, vcc_lo, s2, v1
	v_ashrrev_i32_e32 v14, 31, v13
	v_add_co_ci_u32_e32 v8, vcc_lo, s3, v2, vcc_lo
	v_lshlrev_b64 v[1:2], 3, v[5:6]
	v_add_co_u32 v9, vcc_lo, s2, v3
	s_delay_alu instid0(VALU_DEP_4) | instskip(SKIP_1) | instid1(VALU_DEP_4)
	v_lshlrev_b64 v[5:6], 3, v[13:14]
	v_add_co_ci_u32_e32 v10, vcc_lo, s3, v4, vcc_lo
	v_add_co_u32 v3, vcc_lo, s2, v1
	v_add_co_ci_u32_e32 v4, vcc_lo, s3, v2, vcc_lo
	s_delay_alu instid0(VALU_DEP_4)
	v_add_co_u32 v1, vcc_lo, s2, v5
	v_add_co_ci_u32_e32 v2, vcc_lo, s3, v6, vcc_lo
	s_clause 0x3
	global_load_b64 v[55:56], v[7:8], off
	global_load_b64 v[57:58], v[9:10], off
	;; [unrolled: 1-line block ×4, first 2 shown]
	v_add_nc_u32_e32 v5, s5, v13
	s_delay_alu instid0(VALU_DEP_1) | instskip(SKIP_1) | instid1(VALU_DEP_2)
	v_add_nc_u32_e32 v13, s5, v5
	v_ashrrev_i32_e32 v6, 31, v5
	v_add_nc_u32_e32 v15, s5, v13
	v_ashrrev_i32_e32 v14, 31, v13
	s_delay_alu instid0(VALU_DEP_3) | instskip(NEXT) | instid1(VALU_DEP_3)
	v_lshlrev_b64 v[5:6], 3, v[5:6]
	v_add_nc_u32_e32 v17, s5, v15
	s_delay_alu instid0(VALU_DEP_3) | instskip(SKIP_1) | instid1(VALU_DEP_4)
	v_lshlrev_b64 v[13:14], 3, v[13:14]
	v_ashrrev_i32_e32 v16, 31, v15
	v_add_co_u32 v29, vcc_lo, s2, v5
	s_delay_alu instid0(VALU_DEP_4) | instskip(SKIP_3) | instid1(VALU_DEP_4)
	v_add_nc_u32_e32 v19, s5, v17
	v_ashrrev_i32_e32 v18, 31, v17
	v_add_co_ci_u32_e32 v30, vcc_lo, s3, v6, vcc_lo
	v_lshlrev_b64 v[5:6], 3, v[15:16]
	v_add_nc_u32_e32 v31, s5, v19
	v_add_co_u32 v27, vcc_lo, s2, v13
	v_add_co_ci_u32_e32 v28, vcc_lo, s3, v14, vcc_lo
	s_delay_alu instid0(VALU_DEP_3) | instskip(SKIP_3) | instid1(VALU_DEP_4)
	v_add_nc_u32_e32 v33, s5, v31
	v_lshlrev_b64 v[13:14], 3, v[17:18]
	v_ashrrev_i32_e32 v20, 31, v19
	v_add_co_u32 v25, vcc_lo, s2, v5
	v_add_nc_u32_e32 v35, s5, v33
	v_ashrrev_i32_e32 v32, 31, v31
	v_add_co_ci_u32_e32 v26, vcc_lo, s3, v6, vcc_lo
	v_lshlrev_b64 v[5:6], 3, v[19:20]
	s_delay_alu instid0(VALU_DEP_4) | instskip(SKIP_2) | instid1(VALU_DEP_3)
	v_add_nc_u32_e32 v37, s5, v35
	v_add_co_u32 v23, vcc_lo, s2, v13
	v_add_co_ci_u32_e32 v24, vcc_lo, s3, v14, vcc_lo
	v_add_nc_u32_e32 v39, s5, v37
	v_lshlrev_b64 v[13:14], 3, v[31:32]
	v_ashrrev_i32_e32 v34, 31, v33
	v_add_co_u32 v15, vcc_lo, s2, v5
	s_delay_alu instid0(VALU_DEP_4) | instskip(SKIP_3) | instid1(VALU_DEP_4)
	v_add_nc_u32_e32 v41, s5, v39
	v_ashrrev_i32_e32 v36, 31, v35
	v_add_co_ci_u32_e32 v16, vcc_lo, s3, v6, vcc_lo
	v_lshlrev_b64 v[5:6], 3, v[33:34]
	v_add_nc_u32_e32 v43, s5, v41
	v_add_co_u32 v17, vcc_lo, s2, v13
	v_ashrrev_i32_e32 v38, 31, v37
	v_add_co_ci_u32_e32 v18, vcc_lo, s3, v14, vcc_lo
	s_delay_alu instid0(VALU_DEP_4)
	v_add_nc_u32_e32 v45, s5, v43
	v_lshlrev_b64 v[13:14], 3, v[35:36]
	v_ashrrev_i32_e32 v40, 31, v39
	s_clause 0x2
	global_load_b64 v[63:64], v[29:30], off
	global_load_b64 v[65:66], v[27:28], off
	;; [unrolled: 1-line block ×3, first 2 shown]
	v_add_co_u32 v5, vcc_lo, s2, v5
	v_add_nc_u32_e32 v51, s5, v45
	v_lshlrev_b64 v[19:20], 3, v[37:38]
	global_load_b64 v[69:70], v[23:24], off
	v_ashrrev_i32_e32 v42, 31, v41
	v_add_co_ci_u32_e32 v6, vcc_lo, s3, v6, vcc_lo
	v_add_nc_u32_e32 v53, s5, v51
	v_add_co_u32 v13, vcc_lo, s2, v13
	v_lshlrev_b64 v[31:32], 3, v[39:40]
	v_ashrrev_i32_e32 v44, 31, v43
	s_delay_alu instid0(VALU_DEP_4) | instskip(SKIP_2) | instid1(VALU_DEP_3)
	v_add_nc_u32_e32 v87, s5, v53
	v_add_co_ci_u32_e32 v14, vcc_lo, s3, v14, vcc_lo
	v_add_co_u32 v19, vcc_lo, s2, v19
	v_add_nc_u32_e32 v95, s5, v87
	v_lshlrev_b64 v[33:34], 3, v[41:42]
	v_ashrrev_i32_e32 v46, 31, v45
	v_add_co_ci_u32_e32 v20, vcc_lo, s3, v20, vcc_lo
	s_delay_alu instid0(VALU_DEP_4) | instskip(SKIP_3) | instid1(VALU_DEP_4)
	v_add_nc_u32_e32 v98, s5, v95
	v_add_co_u32 v31, vcc_lo, s2, v31
	v_lshlrev_b64 v[35:36], 3, v[43:44]
	v_add_co_ci_u32_e32 v32, vcc_lo, s3, v32, vcc_lo
	v_add_nc_u32_e32 v100, s5, v98
	s_clause 0x2
	global_load_b64 v[71:72], v[15:16], off
	global_load_b64 v[73:74], v[17:18], off
	;; [unrolled: 1-line block ×3, first 2 shown]
	v_add_co_u32 v33, vcc_lo, s2, v33
	v_lshlrev_b64 v[37:38], 3, v[45:46]
	v_add_nc_u32_e32 v102, s5, v100
	v_ashrrev_i32_e32 v52, 31, v51
	global_load_b64 v[77:78], v[13:14], off
	v_add_co_ci_u32_e32 v34, vcc_lo, s3, v34, vcc_lo
	v_add_nc_u32_e32 v106, s5, v102
	v_add_co_u32 v35, vcc_lo, s2, v35
	v_ashrrev_i32_e32 v54, 31, v53
	v_add_co_ci_u32_e32 v36, vcc_lo, s3, v36, vcc_lo
	s_delay_alu instid0(VALU_DEP_4) | instskip(SKIP_3) | instid1(VALU_DEP_4)
	v_add_nc_u32_e32 v108, s5, v106
	v_lshlrev_b64 v[41:42], 3, v[51:52]
	v_add_co_u32 v39, vcc_lo, s2, v37
	v_add_co_ci_u32_e32 v40, vcc_lo, s3, v38, vcc_lo
	v_add_nc_u32_e32 v110, s5, v108
	v_lshlrev_b64 v[37:38], 3, v[53:54]
	v_ashrrev_i32_e32 v88, 31, v87
	v_add_co_u32 v41, vcc_lo, s2, v41
	s_delay_alu instid0(VALU_DEP_4)
	v_add_nc_u32_e32 v112, s5, v110
	s_clause 0x3
	global_load_b64 v[79:80], v[19:20], off
	global_load_b64 v[81:82], v[31:32], off
	;; [unrolled: 1-line block ×4, first 2 shown]
	v_add_co_ci_u32_e32 v42, vcc_lo, s3, v42, vcc_lo
	v_add_nc_u32_e32 v114, s5, v112
	v_lshlrev_b64 v[45:46], 3, v[87:88]
	v_ashrrev_i32_e32 v96, 31, v95
	v_ashrrev_i32_e32 v99, 31, v98
	;; [unrolled: 1-line block ×3, first 2 shown]
	v_add_nc_u32_e32 v116, s5, v114
	v_ashrrev_i32_e32 v103, 31, v102
	v_ashrrev_i32_e32 v107, 31, v106
	;; [unrolled: 1-line block ×4, first 2 shown]
	v_add_nc_u32_e32 v118, s5, v116
	v_lshlrev_b64 v[53:54], 3, v[102:103]
	v_ashrrev_i32_e32 v113, 31, v112
	v_ashrrev_i32_e32 v115, 31, v114
	;; [unrolled: 1-line block ×3, first 2 shown]
	v_add_nc_u32_e32 v120, s5, v118
	v_ashrrev_i32_e32 v119, 31, v118
	s_delay_alu instid0(VALU_DEP_2) | instskip(SKIP_1) | instid1(VALU_DEP_2)
	v_add_nc_u32_e32 v122, s5, v120
	v_ashrrev_i32_e32 v121, 31, v120
	v_add_nc_u32_e32 v124, s5, v122
	v_ashrrev_i32_e32 v123, 31, v122
	s_delay_alu instid0(VALU_DEP_2) | instskip(SKIP_1) | instid1(VALU_DEP_2)
	v_add_nc_u32_e32 v126, s5, v124
	v_ashrrev_i32_e32 v125, 31, v124
	;; [unrolled: 5-line block ×7, first 2 shown]
	v_ashrrev_i32_e32 v44, 31, v43
	s_delay_alu instid0(VALU_DEP_1) | instskip(SKIP_2) | instid1(VALU_DEP_3)
	v_lshlrev_b64 v[51:52], 3, v[43:44]
	v_add_co_u32 v43, vcc_lo, s2, v37
	v_add_co_ci_u32_e32 v44, vcc_lo, s3, v38, vcc_lo
	v_add_co_u32 v37, vcc_lo, s2, v51
	s_delay_alu instid0(VALU_DEP_4)
	v_add_co_ci_u32_e32 v38, vcc_lo, s3, v52, vcc_lo
	v_add_co_u32 v45, vcc_lo, s2, v45
	v_add_co_ci_u32_e32 v46, vcc_lo, s3, v46, vcc_lo
	global_load_b64 v[146:147], v[37:38], off
	v_lshlrev_b64 v[51:52], 3, v[100:101]
	s_waitcnt vmcnt(17)
	scratch_store_b128 off, v[47:50], off
	v_lshlrev_b64 v[47:48], 3, v[95:96]
	v_lshlrev_b64 v[49:50], 3, v[98:99]
	s_clause 0x3
	global_load_b64 v[87:88], v[39:40], off
	global_load_b64 v[89:90], v[41:42], off
	;; [unrolled: 1-line block ×4, first 2 shown]
	s_waitcnt vmcnt(19)
	scratch_store_b128 off, v[55:58], off offset:16
	s_waitcnt vmcnt(17)
	scratch_store_b128 off, v[59:62], off offset:32
	v_add_co_u32 v47, vcc_lo, s2, v47
	v_add_co_ci_u32_e32 v48, vcc_lo, s3, v48, vcc_lo
	v_add_co_u32 v49, vcc_lo, s2, v49
	v_add_co_ci_u32_e32 v50, vcc_lo, s3, v50, vcc_lo
	;; [unrolled: 2-line block ×4, first 2 shown]
	s_clause 0x3
	global_load_b64 v[98:99], v[47:48], off
	global_load_b64 v[100:101], v[49:50], off
	;; [unrolled: 1-line block ×4, first 2 shown]
	v_lshlrev_b64 v[55:56], 3, v[106:107]
	v_lshlrev_b64 v[57:58], 3, v[108:109]
	;; [unrolled: 1-line block ×5, first 2 shown]
	s_waitcnt vmcnt(19)
	scratch_store_b128 off, v[63:66], off offset:48
	s_waitcnt vmcnt(17)
	scratch_store_b128 off, v[67:70], off offset:64
	v_add_co_u32 v55, vcc_lo, s2, v55
	v_add_co_ci_u32_e32 v56, vcc_lo, s3, v56, vcc_lo
	v_add_co_u32 v57, vcc_lo, s2, v57
	v_add_co_ci_u32_e32 v58, vcc_lo, s3, v58, vcc_lo
	;; [unrolled: 2-line block ×3, first 2 shown]
	v_add_co_u32 v61, vcc_lo, s2, v61
	v_lshlrev_b64 v[65:66], 3, v[116:117]
	v_add_co_ci_u32_e32 v62, vcc_lo, s3, v62, vcc_lo
	v_add_co_u32 v63, vcc_lo, s2, v95
	v_lshlrev_b64 v[67:68], 3, v[118:119]
	v_add_co_ci_u32_e32 v64, vcc_lo, s3, v96, vcc_lo
	;; [unrolled: 3-line block ×4, first 2 shown]
	s_clause 0x2
	global_load_b64 v[106:107], v[55:56], off
	global_load_b64 v[108:109], v[57:58], off
	;; [unrolled: 1-line block ×3, first 2 shown]
	s_waitcnt vmcnt(18)
	scratch_store_b128 off, v[71:74], off offset:80
	s_waitcnt vmcnt(16)
	scratch_store_b128 off, v[75:78], off offset:96
	v_add_co_u32 v69, vcc_lo, s2, v69
	v_lshlrev_b64 v[73:74], 3, v[124:125]
	v_add_co_ci_u32_e32 v70, vcc_lo, s3, v70, vcc_lo
	v_add_co_u32 v71, vcc_lo, s2, v95
	v_lshlrev_b64 v[75:76], 3, v[126:127]
	v_add_co_ci_u32_e32 v72, vcc_lo, s3, v96, vcc_lo
	;; [unrolled: 3-line block ×4, first 2 shown]
	s_clause 0x3
	global_load_b64 v[112:113], v[61:62], off
	global_load_b64 v[114:115], v[63:64], off
	;; [unrolled: 1-line block ×4, first 2 shown]
	s_waitcnt vmcnt(18)
	scratch_store_b128 off, v[79:82], off offset:112
	s_waitcnt vmcnt(16)
	scratch_store_b128 off, v[83:86], off offset:128
	v_add_co_u32 v77, vcc_lo, s2, v77
	v_lshlrev_b64 v[81:82], 3, v[132:133]
	v_add_co_ci_u32_e32 v78, vcc_lo, s3, v78, vcc_lo
	v_add_co_u32 v79, vcc_lo, s2, v95
	v_lshlrev_b64 v[83:84], 3, v[134:135]
	v_add_co_ci_u32_e32 v80, vcc_lo, s3, v96, vcc_lo
	;; [unrolled: 3-line block ×4, first 2 shown]
	s_clause 0x3
	global_load_b64 v[120:121], v[69:70], off
	global_load_b64 v[122:123], v[71:72], off
	global_load_b64 v[124:125], v[73:74], off
	global_load_b64 v[126:127], v[75:76], off
	v_add_co_u32 v85, vcc_lo, s2, v85
	v_add_co_ci_u32_e32 v86, vcc_lo, s3, v86, vcc_lo
	s_waitcnt vmcnt(17)
	scratch_store_b128 off, v[87:90], off offset:144
	s_waitcnt vmcnt(15)
	scratch_store_b128 off, v[91:94], off offset:160
	v_lshlrev_b64 v[89:90], 3, v[140:141]
	v_add_co_u32 v87, vcc_lo, s2, v95
	v_lshlrev_b64 v[91:92], 3, v[142:143]
	v_add_co_ci_u32_e32 v88, vcc_lo, s3, v96, vcc_lo
	s_delay_alu instid0(VALU_DEP_4) | instskip(SKIP_4) | instid1(VALU_DEP_4)
	v_add_co_u32 v89, vcc_lo, s2, v89
	v_lshlrev_b64 v[93:94], 3, v[144:145]
	v_add_co_ci_u32_e32 v90, vcc_lo, s3, v90, vcc_lo
	v_add_co_u32 v91, vcc_lo, s2, v91
	v_add_co_ci_u32_e32 v92, vcc_lo, s3, v92, vcc_lo
	v_add_co_u32 v93, vcc_lo, s2, v93
	s_clause 0x3
	global_load_b64 v[128:129], v[77:78], off
	global_load_b64 v[130:131], v[79:80], off
	;; [unrolled: 1-line block ×4, first 2 shown]
	v_add_co_ci_u32_e32 v94, vcc_lo, s3, v94, vcc_lo
	s_waitcnt vmcnt(17)
	scratch_store_b128 off, v[98:101], off offset:176
	s_waitcnt vmcnt(15)
	scratch_store_b128 off, v[102:105], off offset:192
	s_clause 0x4
	global_load_b64 v[136:137], v[85:86], off
	global_load_b64 v[98:99], v[87:88], off
	;; [unrolled: 1-line block ×5, first 2 shown]
	v_mov_b32_e32 v95, 0
	v_mov_b32_e32 v96, 0xbff00000
	s_cselect_b32 s3, -1, 0
	s_cmpk_eq_i32 s1, 0x84
	s_waitcnt vmcnt(18)
	scratch_store_b128 off, v[106:109], off offset:208
	s_waitcnt vmcnt(16)
	scratch_store_b128 off, v[110:113], off offset:224
	;; [unrolled: 2-line block ×9, first 2 shown]
	s_waitcnt vmcnt(0)
	s_clause 0x1
	scratch_store_b128 off, v[102:105], off offset:352
	scratch_store_b64 off, v[146:147], off offset:368
	s_cbranch_scc1 .LBB46_3
; %bb.2:
	scratch_load_b64 v[95:96], v97, off
	s_waitcnt vmcnt(0)
	v_div_scale_f64 v[98:99], null, v[95:96], v[95:96], 1.0
	v_div_scale_f64 v[104:105], vcc_lo, 1.0, v[95:96], 1.0
	s_delay_alu instid0(VALU_DEP_2) | instskip(SKIP_2) | instid1(VALU_DEP_1)
	v_rcp_f64_e32 v[100:101], v[98:99]
	s_waitcnt_depctr 0xfff
	v_fma_f64 v[102:103], -v[98:99], v[100:101], 1.0
	v_fma_f64 v[100:101], v[100:101], v[102:103], v[100:101]
	s_delay_alu instid0(VALU_DEP_1) | instskip(NEXT) | instid1(VALU_DEP_1)
	v_fma_f64 v[102:103], -v[98:99], v[100:101], 1.0
	v_fma_f64 v[100:101], v[100:101], v[102:103], v[100:101]
	s_delay_alu instid0(VALU_DEP_1) | instskip(NEXT) | instid1(VALU_DEP_1)
	v_mul_f64 v[102:103], v[104:105], v[100:101]
	v_fma_f64 v[98:99], -v[98:99], v[102:103], v[104:105]
	s_delay_alu instid0(VALU_DEP_1) | instskip(NEXT) | instid1(VALU_DEP_1)
	v_div_fmas_f64 v[98:99], v[98:99], v[100:101], v[102:103]
	v_div_fixup_f64 v[95:96], v[98:99], v[95:96], 1.0
	scratch_store_b64 v97, v[95:96], off
	v_xor_b32_e32 v96, 0x80000000, v96
.LBB46_3:
	v_add_nc_u32_e32 v98, 0x180, v97
	v_add_nc_u32_e32 v99, 0, v97
	s_cmpk_eq_i32 s0, 0x79
	s_mov_b32 s0, -1
	ds_store_b64 v97, v[95:96]
	s_cbranch_scc1 .LBB46_459
; %bb.4:
	scratch_load_b64 v[95:96], off, off offset:360
	v_cmp_eq_u32_e64 s0, 46, v0
	s_movk_i32 s1, 0x50
	s_movk_i32 s2, 0x60
	;; [unrolled: 1-line block ×18, first 2 shown]
	s_waitcnt vmcnt(0)
	ds_store_b64 v98, v[95:96]
	s_waitcnt lgkmcnt(0)
	s_waitcnt_vscnt null, 0x0
	s_barrier
	buffer_gl0_inv
	s_and_saveexec_b32 s20, s0
	s_cbranch_execz .LBB46_10
; %bb.5:
	s_and_b32 vcc_lo, exec_lo, s3
	s_cbranch_vccz .LBB46_7
; %bb.6:
	scratch_load_b64 v[95:96], v99, off
	ds_load_b64 v[100:101], v98
	s_waitcnt vmcnt(0) lgkmcnt(0)
	v_mul_f64 v[95:96], v[95:96], v[100:101]
	s_cbranch_execz .LBB46_8
	s_branch .LBB46_9
.LBB46_7:
                                        ; implicit-def: $vgpr95_vgpr96
.LBB46_8:
	ds_load_b64 v[95:96], v98
.LBB46_9:
	v_mov_b32_e32 v100, 0
	ds_load_b64 v[100:101], v100 offset:360
	s_waitcnt lgkmcnt(0)
	v_mul_f64 v[95:96], v[95:96], v[100:101]
	scratch_store_b64 off, v[95:96], off offset:360
.LBB46_10:
	s_or_b32 exec_lo, exec_lo, s20
	scratch_load_b64 v[95:96], off, off offset:352
	v_add_nc_u32_e64 v100, 0, 16
	v_add_nc_u32_e64 v101, 0, 32
	;; [unrolled: 1-line block ×22, first 2 shown]
	v_cmp_lt_u32_e64 s2, 44, v0
	s_waitcnt vmcnt(0)
	ds_store_b64 v98, v[95:96]
	s_waitcnt lgkmcnt(0)
	s_waitcnt_vscnt null, 0x0
	s_barrier
	buffer_gl0_inv
	s_and_saveexec_b32 s1, s2
	s_cbranch_execz .LBB46_18
; %bb.11:
	s_and_not1_b32 vcc_lo, exec_lo, s3
	s_cbranch_vccnz .LBB46_13
; %bb.12:
	scratch_load_b64 v[95:96], v99, off
	ds_load_b64 v[122:123], v98
	s_waitcnt vmcnt(0) lgkmcnt(0)
	v_mul_f64 v[95:96], v[95:96], v[122:123]
	s_cbranch_execz .LBB46_14
	s_branch .LBB46_15
.LBB46_13:
                                        ; implicit-def: $vgpr95_vgpr96
.LBB46_14:
	ds_load_b64 v[95:96], v98
.LBB46_15:
	s_and_saveexec_b32 s4, s0
	s_cbranch_execz .LBB46_17
; %bb.16:
	scratch_load_b64 v[122:123], off, off offset:360
	v_mov_b32_e32 v124, 0
	ds_load_b64 v[124:125], v124 offset:744
	s_waitcnt vmcnt(0) lgkmcnt(0)
	v_fma_f64 v[95:96], v[122:123], v[124:125], v[95:96]
.LBB46_17:
	s_or_b32 exec_lo, exec_lo, s4
	v_mov_b32_e32 v122, 0
	ds_load_b64 v[122:123], v122 offset:352
	s_waitcnt lgkmcnt(0)
	v_mul_f64 v[95:96], v[95:96], v[122:123]
	scratch_store_b64 off, v[95:96], off offset:352
.LBB46_18:
	s_or_b32 exec_lo, exec_lo, s1
	scratch_load_b64 v[95:96], off, off offset:344
	v_cmp_lt_u32_e64 s1, 43, v0
	s_waitcnt vmcnt(0)
	ds_store_b64 v98, v[95:96]
	s_waitcnt lgkmcnt(0)
	s_waitcnt_vscnt null, 0x0
	s_barrier
	buffer_gl0_inv
	s_and_saveexec_b32 s0, s1
	s_cbranch_execz .LBB46_28
; %bb.19:
	s_and_not1_b32 vcc_lo, exec_lo, s3
	s_cbranch_vccnz .LBB46_21
; %bb.20:
	scratch_load_b64 v[95:96], v99, off
	ds_load_b64 v[122:123], v98
	s_waitcnt vmcnt(0) lgkmcnt(0)
	v_mul_f64 v[95:96], v[95:96], v[122:123]
	s_cbranch_execz .LBB46_22
	s_branch .LBB46_23
.LBB46_21:
                                        ; implicit-def: $vgpr95_vgpr96
.LBB46_22:
	ds_load_b64 v[95:96], v98
.LBB46_23:
	s_and_saveexec_b32 s4, s2
	s_cbranch_execz .LBB46_27
; %bb.24:
	v_subrev_nc_u32_e32 v122, 44, v0
	s_movk_i32 s5, 0x2e0
	s_mov_b32 s2, 0
.LBB46_25:                              ; =>This Inner Loop Header: Depth=1
	scratch_load_b64 v[123:124], v121, off
	v_dual_mov_b32 v125, s5 :: v_dual_add_nc_u32 v122, -1, v122
	v_add_nc_u32_e32 v121, 8, v121
	s_add_i32 s5, s5, 8
	ds_load_b64 v[125:126], v125
	v_cmp_eq_u32_e32 vcc_lo, 0, v122
	s_or_b32 s2, vcc_lo, s2
	s_waitcnt vmcnt(0) lgkmcnt(0)
	v_fma_f64 v[95:96], v[123:124], v[125:126], v[95:96]
	s_and_not1_b32 exec_lo, exec_lo, s2
	s_cbranch_execnz .LBB46_25
; %bb.26:
	s_or_b32 exec_lo, exec_lo, s2
.LBB46_27:
	s_delay_alu instid0(SALU_CYCLE_1)
	s_or_b32 exec_lo, exec_lo, s4
	v_mov_b32_e32 v121, 0
	ds_load_b64 v[121:122], v121 offset:344
	s_waitcnt lgkmcnt(0)
	v_mul_f64 v[95:96], v[95:96], v[121:122]
	scratch_store_b64 off, v[95:96], off offset:344
.LBB46_28:
	s_or_b32 exec_lo, exec_lo, s0
	scratch_load_b64 v[95:96], off, off offset:336
	v_cmp_lt_u32_e64 s0, 42, v0
	s_waitcnt vmcnt(0)
	ds_store_b64 v98, v[95:96]
	s_waitcnt lgkmcnt(0)
	s_waitcnt_vscnt null, 0x0
	s_barrier
	buffer_gl0_inv
	s_and_saveexec_b32 s2, s0
	s_cbranch_execz .LBB46_38
; %bb.29:
	s_and_not1_b32 vcc_lo, exec_lo, s3
	s_cbranch_vccnz .LBB46_31
; %bb.30:
	scratch_load_b64 v[95:96], v99, off
	ds_load_b64 v[121:122], v98
	s_waitcnt vmcnt(0) lgkmcnt(0)
	v_mul_f64 v[95:96], v[95:96], v[121:122]
	s_cbranch_execz .LBB46_32
	s_branch .LBB46_33
.LBB46_31:
                                        ; implicit-def: $vgpr95_vgpr96
.LBB46_32:
	ds_load_b64 v[95:96], v98
.LBB46_33:
	s_and_saveexec_b32 s4, s1
	s_cbranch_execz .LBB46_37
; %bb.34:
	v_mov_b32_e32 v121, 0
	v_subrev_nc_u32_e32 v122, 43, v0
	s_movk_i32 s5, 0x2d8
	s_mov_b32 s1, 0
	s_delay_alu instid0(VALU_DEP_2)
	v_add_nc_u32_e32 v121, 0x158, v121
.LBB46_35:                              ; =>This Inner Loop Header: Depth=1
	scratch_load_b64 v[123:124], v121, off
	v_dual_mov_b32 v125, s5 :: v_dual_add_nc_u32 v122, -1, v122
	v_add_nc_u32_e32 v121, 8, v121
	s_add_i32 s5, s5, 8
	ds_load_b64 v[125:126], v125
	v_cmp_eq_u32_e32 vcc_lo, 0, v122
	s_or_b32 s1, vcc_lo, s1
	s_waitcnt vmcnt(0) lgkmcnt(0)
	v_fma_f64 v[95:96], v[123:124], v[125:126], v[95:96]
	s_and_not1_b32 exec_lo, exec_lo, s1
	s_cbranch_execnz .LBB46_35
; %bb.36:
	s_or_b32 exec_lo, exec_lo, s1
.LBB46_37:
	s_delay_alu instid0(SALU_CYCLE_1)
	s_or_b32 exec_lo, exec_lo, s4
	v_mov_b32_e32 v121, 0
	ds_load_b64 v[121:122], v121 offset:336
	s_waitcnt lgkmcnt(0)
	v_mul_f64 v[95:96], v[95:96], v[121:122]
	scratch_store_b64 off, v[95:96], off offset:336
.LBB46_38:
	s_or_b32 exec_lo, exec_lo, s2
	scratch_load_b64 v[95:96], off, off offset:328
	v_cmp_lt_u32_e64 s1, 41, v0
	s_waitcnt vmcnt(0)
	ds_store_b64 v98, v[95:96]
	s_waitcnt lgkmcnt(0)
	s_waitcnt_vscnt null, 0x0
	s_barrier
	buffer_gl0_inv
	s_and_saveexec_b32 s2, s1
	s_cbranch_execz .LBB46_48
; %bb.39:
	s_and_not1_b32 vcc_lo, exec_lo, s3
	s_cbranch_vccnz .LBB46_41
; %bb.40:
	scratch_load_b64 v[95:96], v99, off
	ds_load_b64 v[121:122], v98
	s_waitcnt vmcnt(0) lgkmcnt(0)
	v_mul_f64 v[95:96], v[95:96], v[121:122]
	s_cbranch_execz .LBB46_42
	s_branch .LBB46_43
.LBB46_41:
                                        ; implicit-def: $vgpr95_vgpr96
.LBB46_42:
	ds_load_b64 v[95:96], v98
.LBB46_43:
	s_and_saveexec_b32 s4, s0
	s_cbranch_execz .LBB46_47
; %bb.44:
	v_subrev_nc_u32_e32 v121, 42, v0
	s_movk_i32 s5, 0x2d0
	s_mov_b32 s0, 0
.LBB46_45:                              ; =>This Inner Loop Header: Depth=1
	scratch_load_b64 v[122:123], v120, off
	v_dual_mov_b32 v124, s5 :: v_dual_add_nc_u32 v121, -1, v121
	v_add_nc_u32_e32 v120, 8, v120
	s_add_i32 s5, s5, 8
	ds_load_b64 v[124:125], v124
	v_cmp_eq_u32_e32 vcc_lo, 0, v121
	s_or_b32 s0, vcc_lo, s0
	s_waitcnt vmcnt(0) lgkmcnt(0)
	v_fma_f64 v[95:96], v[122:123], v[124:125], v[95:96]
	s_and_not1_b32 exec_lo, exec_lo, s0
	s_cbranch_execnz .LBB46_45
; %bb.46:
	s_or_b32 exec_lo, exec_lo, s0
.LBB46_47:
	s_delay_alu instid0(SALU_CYCLE_1)
	s_or_b32 exec_lo, exec_lo, s4
	v_mov_b32_e32 v120, 0
	ds_load_b64 v[120:121], v120 offset:328
	s_waitcnt lgkmcnt(0)
	v_mul_f64 v[95:96], v[95:96], v[120:121]
	scratch_store_b64 off, v[95:96], off offset:328
.LBB46_48:
	s_or_b32 exec_lo, exec_lo, s2
	scratch_load_b64 v[95:96], off, off offset:320
	v_cmp_lt_u32_e64 s0, 40, v0
	s_waitcnt vmcnt(0)
	ds_store_b64 v98, v[95:96]
	s_waitcnt lgkmcnt(0)
	s_waitcnt_vscnt null, 0x0
	s_barrier
	buffer_gl0_inv
	s_and_saveexec_b32 s2, s0
	s_cbranch_execz .LBB46_58
; %bb.49:
	s_and_not1_b32 vcc_lo, exec_lo, s3
	s_cbranch_vccnz .LBB46_51
; %bb.50:
	scratch_load_b64 v[95:96], v99, off
	ds_load_b64 v[120:121], v98
	s_waitcnt vmcnt(0) lgkmcnt(0)
	v_mul_f64 v[95:96], v[95:96], v[120:121]
	s_cbranch_execz .LBB46_52
	s_branch .LBB46_53
.LBB46_51:
                                        ; implicit-def: $vgpr95_vgpr96
.LBB46_52:
	ds_load_b64 v[95:96], v98
.LBB46_53:
	s_and_saveexec_b32 s4, s1
	s_cbranch_execz .LBB46_57
; %bb.54:
	v_mov_b32_e32 v120, 0
	v_subrev_nc_u32_e32 v121, 41, v0
	s_movk_i32 s5, 0x2c8
	s_mov_b32 s1, 0
	s_delay_alu instid0(VALU_DEP_2)
	v_add_nc_u32_e32 v120, 0x148, v120
.LBB46_55:                              ; =>This Inner Loop Header: Depth=1
	scratch_load_b64 v[122:123], v120, off
	v_dual_mov_b32 v124, s5 :: v_dual_add_nc_u32 v121, -1, v121
	v_add_nc_u32_e32 v120, 8, v120
	s_add_i32 s5, s5, 8
	ds_load_b64 v[124:125], v124
	v_cmp_eq_u32_e32 vcc_lo, 0, v121
	s_or_b32 s1, vcc_lo, s1
	s_waitcnt vmcnt(0) lgkmcnt(0)
	v_fma_f64 v[95:96], v[122:123], v[124:125], v[95:96]
	s_and_not1_b32 exec_lo, exec_lo, s1
	s_cbranch_execnz .LBB46_55
; %bb.56:
	s_or_b32 exec_lo, exec_lo, s1
.LBB46_57:
	s_delay_alu instid0(SALU_CYCLE_1)
	s_or_b32 exec_lo, exec_lo, s4
	v_mov_b32_e32 v120, 0
	ds_load_b64 v[120:121], v120 offset:320
	s_waitcnt lgkmcnt(0)
	v_mul_f64 v[95:96], v[95:96], v[120:121]
	scratch_store_b64 off, v[95:96], off offset:320
.LBB46_58:
	s_or_b32 exec_lo, exec_lo, s2
	scratch_load_b64 v[95:96], off, off offset:312
	v_cmp_lt_u32_e64 s1, 39, v0
	s_waitcnt vmcnt(0)
	ds_store_b64 v98, v[95:96]
	s_waitcnt lgkmcnt(0)
	s_waitcnt_vscnt null, 0x0
	s_barrier
	buffer_gl0_inv
	s_and_saveexec_b32 s2, s1
	s_cbranch_execz .LBB46_68
; %bb.59:
	s_and_not1_b32 vcc_lo, exec_lo, s3
	s_cbranch_vccnz .LBB46_61
; %bb.60:
	scratch_load_b64 v[95:96], v99, off
	ds_load_b64 v[120:121], v98
	s_waitcnt vmcnt(0) lgkmcnt(0)
	v_mul_f64 v[95:96], v[95:96], v[120:121]
	s_cbranch_execz .LBB46_62
	s_branch .LBB46_63
.LBB46_61:
                                        ; implicit-def: $vgpr95_vgpr96
.LBB46_62:
	ds_load_b64 v[95:96], v98
.LBB46_63:
	s_and_saveexec_b32 s4, s0
	s_cbranch_execz .LBB46_67
; %bb.64:
	v_subrev_nc_u32_e32 v120, 40, v0
	s_movk_i32 s5, 0x2c0
	s_mov_b32 s0, 0
.LBB46_65:                              ; =>This Inner Loop Header: Depth=1
	scratch_load_b64 v[121:122], v119, off
	v_dual_mov_b32 v123, s5 :: v_dual_add_nc_u32 v120, -1, v120
	v_add_nc_u32_e32 v119, 8, v119
	s_add_i32 s5, s5, 8
	ds_load_b64 v[123:124], v123
	v_cmp_eq_u32_e32 vcc_lo, 0, v120
	s_or_b32 s0, vcc_lo, s0
	s_waitcnt vmcnt(0) lgkmcnt(0)
	v_fma_f64 v[95:96], v[121:122], v[123:124], v[95:96]
	s_and_not1_b32 exec_lo, exec_lo, s0
	s_cbranch_execnz .LBB46_65
; %bb.66:
	s_or_b32 exec_lo, exec_lo, s0
.LBB46_67:
	s_delay_alu instid0(SALU_CYCLE_1)
	s_or_b32 exec_lo, exec_lo, s4
	v_mov_b32_e32 v119, 0
	ds_load_b64 v[119:120], v119 offset:312
	s_waitcnt lgkmcnt(0)
	v_mul_f64 v[95:96], v[95:96], v[119:120]
	scratch_store_b64 off, v[95:96], off offset:312
.LBB46_68:
	s_or_b32 exec_lo, exec_lo, s2
	scratch_load_b64 v[95:96], off, off offset:304
	v_cmp_lt_u32_e64 s0, 38, v0
	s_waitcnt vmcnt(0)
	ds_store_b64 v98, v[95:96]
	s_waitcnt lgkmcnt(0)
	s_waitcnt_vscnt null, 0x0
	s_barrier
	buffer_gl0_inv
	s_and_saveexec_b32 s2, s0
	s_cbranch_execz .LBB46_78
; %bb.69:
	s_and_not1_b32 vcc_lo, exec_lo, s3
	s_cbranch_vccnz .LBB46_71
; %bb.70:
	scratch_load_b64 v[95:96], v99, off
	ds_load_b64 v[119:120], v98
	s_waitcnt vmcnt(0) lgkmcnt(0)
	v_mul_f64 v[95:96], v[95:96], v[119:120]
	s_cbranch_execz .LBB46_72
	s_branch .LBB46_73
.LBB46_71:
                                        ; implicit-def: $vgpr95_vgpr96
.LBB46_72:
	ds_load_b64 v[95:96], v98
.LBB46_73:
	s_and_saveexec_b32 s4, s1
	s_cbranch_execz .LBB46_77
; %bb.74:
	v_mov_b32_e32 v119, 0
	v_subrev_nc_u32_e32 v120, 39, v0
	s_movk_i32 s5, 0x2b8
	s_mov_b32 s1, 0
	s_delay_alu instid0(VALU_DEP_2)
	v_add_nc_u32_e32 v119, 0x138, v119
.LBB46_75:                              ; =>This Inner Loop Header: Depth=1
	scratch_load_b64 v[121:122], v119, off
	v_dual_mov_b32 v123, s5 :: v_dual_add_nc_u32 v120, -1, v120
	v_add_nc_u32_e32 v119, 8, v119
	s_add_i32 s5, s5, 8
	ds_load_b64 v[123:124], v123
	v_cmp_eq_u32_e32 vcc_lo, 0, v120
	s_or_b32 s1, vcc_lo, s1
	s_waitcnt vmcnt(0) lgkmcnt(0)
	v_fma_f64 v[95:96], v[121:122], v[123:124], v[95:96]
	s_and_not1_b32 exec_lo, exec_lo, s1
	s_cbranch_execnz .LBB46_75
; %bb.76:
	s_or_b32 exec_lo, exec_lo, s1
.LBB46_77:
	s_delay_alu instid0(SALU_CYCLE_1)
	s_or_b32 exec_lo, exec_lo, s4
	v_mov_b32_e32 v119, 0
	ds_load_b64 v[119:120], v119 offset:304
	s_waitcnt lgkmcnt(0)
	v_mul_f64 v[95:96], v[95:96], v[119:120]
	scratch_store_b64 off, v[95:96], off offset:304
.LBB46_78:
	s_or_b32 exec_lo, exec_lo, s2
	scratch_load_b64 v[95:96], off, off offset:296
	v_cmp_lt_u32_e64 s1, 37, v0
	s_waitcnt vmcnt(0)
	ds_store_b64 v98, v[95:96]
	s_waitcnt lgkmcnt(0)
	s_waitcnt_vscnt null, 0x0
	s_barrier
	buffer_gl0_inv
	s_and_saveexec_b32 s2, s1
	s_cbranch_execz .LBB46_88
; %bb.79:
	s_and_not1_b32 vcc_lo, exec_lo, s3
	s_cbranch_vccnz .LBB46_81
; %bb.80:
	scratch_load_b64 v[95:96], v99, off
	ds_load_b64 v[119:120], v98
	s_waitcnt vmcnt(0) lgkmcnt(0)
	v_mul_f64 v[95:96], v[95:96], v[119:120]
	s_cbranch_execz .LBB46_82
	s_branch .LBB46_83
.LBB46_81:
                                        ; implicit-def: $vgpr95_vgpr96
.LBB46_82:
	ds_load_b64 v[95:96], v98
.LBB46_83:
	s_and_saveexec_b32 s4, s0
	s_cbranch_execz .LBB46_87
; %bb.84:
	v_subrev_nc_u32_e32 v119, 38, v0
	s_movk_i32 s5, 0x2b0
	s_mov_b32 s0, 0
.LBB46_85:                              ; =>This Inner Loop Header: Depth=1
	scratch_load_b64 v[120:121], v118, off
	v_dual_mov_b32 v122, s5 :: v_dual_add_nc_u32 v119, -1, v119
	v_add_nc_u32_e32 v118, 8, v118
	s_add_i32 s5, s5, 8
	ds_load_b64 v[122:123], v122
	v_cmp_eq_u32_e32 vcc_lo, 0, v119
	s_or_b32 s0, vcc_lo, s0
	s_waitcnt vmcnt(0) lgkmcnt(0)
	v_fma_f64 v[95:96], v[120:121], v[122:123], v[95:96]
	s_and_not1_b32 exec_lo, exec_lo, s0
	s_cbranch_execnz .LBB46_85
; %bb.86:
	s_or_b32 exec_lo, exec_lo, s0
.LBB46_87:
	s_delay_alu instid0(SALU_CYCLE_1)
	s_or_b32 exec_lo, exec_lo, s4
	v_mov_b32_e32 v118, 0
	ds_load_b64 v[118:119], v118 offset:296
	s_waitcnt lgkmcnt(0)
	v_mul_f64 v[95:96], v[95:96], v[118:119]
	scratch_store_b64 off, v[95:96], off offset:296
.LBB46_88:
	s_or_b32 exec_lo, exec_lo, s2
	scratch_load_b64 v[95:96], off, off offset:288
	v_cmp_lt_u32_e64 s0, 36, v0
	s_waitcnt vmcnt(0)
	ds_store_b64 v98, v[95:96]
	s_waitcnt lgkmcnt(0)
	s_waitcnt_vscnt null, 0x0
	s_barrier
	buffer_gl0_inv
	s_and_saveexec_b32 s2, s0
	s_cbranch_execz .LBB46_98
; %bb.89:
	s_and_not1_b32 vcc_lo, exec_lo, s3
	s_cbranch_vccnz .LBB46_91
; %bb.90:
	scratch_load_b64 v[95:96], v99, off
	ds_load_b64 v[118:119], v98
	s_waitcnt vmcnt(0) lgkmcnt(0)
	v_mul_f64 v[95:96], v[95:96], v[118:119]
	s_cbranch_execz .LBB46_92
	s_branch .LBB46_93
.LBB46_91:
                                        ; implicit-def: $vgpr95_vgpr96
.LBB46_92:
	ds_load_b64 v[95:96], v98
.LBB46_93:
	s_and_saveexec_b32 s4, s1
	s_cbranch_execz .LBB46_97
; %bb.94:
	v_mov_b32_e32 v118, 0
	v_subrev_nc_u32_e32 v119, 37, v0
	s_movk_i32 s5, 0x2a8
	s_mov_b32 s1, 0
	s_delay_alu instid0(VALU_DEP_2)
	v_add_nc_u32_e32 v118, 0x128, v118
.LBB46_95:                              ; =>This Inner Loop Header: Depth=1
	scratch_load_b64 v[120:121], v118, off
	v_dual_mov_b32 v122, s5 :: v_dual_add_nc_u32 v119, -1, v119
	v_add_nc_u32_e32 v118, 8, v118
	s_add_i32 s5, s5, 8
	ds_load_b64 v[122:123], v122
	v_cmp_eq_u32_e32 vcc_lo, 0, v119
	s_or_b32 s1, vcc_lo, s1
	s_waitcnt vmcnt(0) lgkmcnt(0)
	v_fma_f64 v[95:96], v[120:121], v[122:123], v[95:96]
	s_and_not1_b32 exec_lo, exec_lo, s1
	s_cbranch_execnz .LBB46_95
; %bb.96:
	s_or_b32 exec_lo, exec_lo, s1
.LBB46_97:
	s_delay_alu instid0(SALU_CYCLE_1)
	s_or_b32 exec_lo, exec_lo, s4
	v_mov_b32_e32 v118, 0
	ds_load_b64 v[118:119], v118 offset:288
	s_waitcnt lgkmcnt(0)
	v_mul_f64 v[95:96], v[95:96], v[118:119]
	scratch_store_b64 off, v[95:96], off offset:288
.LBB46_98:
	s_or_b32 exec_lo, exec_lo, s2
	scratch_load_b64 v[95:96], off, off offset:280
	v_cmp_lt_u32_e64 s1, 35, v0
	s_waitcnt vmcnt(0)
	ds_store_b64 v98, v[95:96]
	s_waitcnt lgkmcnt(0)
	s_waitcnt_vscnt null, 0x0
	s_barrier
	buffer_gl0_inv
	s_and_saveexec_b32 s2, s1
	s_cbranch_execz .LBB46_108
; %bb.99:
	s_and_not1_b32 vcc_lo, exec_lo, s3
	s_cbranch_vccnz .LBB46_101
; %bb.100:
	scratch_load_b64 v[95:96], v99, off
	ds_load_b64 v[118:119], v98
	s_waitcnt vmcnt(0) lgkmcnt(0)
	v_mul_f64 v[95:96], v[95:96], v[118:119]
	s_cbranch_execz .LBB46_102
	s_branch .LBB46_103
.LBB46_101:
                                        ; implicit-def: $vgpr95_vgpr96
.LBB46_102:
	ds_load_b64 v[95:96], v98
.LBB46_103:
	s_and_saveexec_b32 s4, s0
	s_cbranch_execz .LBB46_107
; %bb.104:
	v_subrev_nc_u32_e32 v118, 36, v0
	s_movk_i32 s5, 0x2a0
	s_mov_b32 s0, 0
.LBB46_105:                             ; =>This Inner Loop Header: Depth=1
	scratch_load_b64 v[119:120], v117, off
	v_dual_mov_b32 v121, s5 :: v_dual_add_nc_u32 v118, -1, v118
	v_add_nc_u32_e32 v117, 8, v117
	s_add_i32 s5, s5, 8
	ds_load_b64 v[121:122], v121
	v_cmp_eq_u32_e32 vcc_lo, 0, v118
	s_or_b32 s0, vcc_lo, s0
	s_waitcnt vmcnt(0) lgkmcnt(0)
	v_fma_f64 v[95:96], v[119:120], v[121:122], v[95:96]
	s_and_not1_b32 exec_lo, exec_lo, s0
	s_cbranch_execnz .LBB46_105
; %bb.106:
	s_or_b32 exec_lo, exec_lo, s0
.LBB46_107:
	s_delay_alu instid0(SALU_CYCLE_1)
	s_or_b32 exec_lo, exec_lo, s4
	v_mov_b32_e32 v117, 0
	ds_load_b64 v[117:118], v117 offset:280
	s_waitcnt lgkmcnt(0)
	v_mul_f64 v[95:96], v[95:96], v[117:118]
	scratch_store_b64 off, v[95:96], off offset:280
.LBB46_108:
	s_or_b32 exec_lo, exec_lo, s2
	scratch_load_b64 v[95:96], off, off offset:272
	v_cmp_lt_u32_e64 s0, 34, v0
	s_waitcnt vmcnt(0)
	ds_store_b64 v98, v[95:96]
	s_waitcnt lgkmcnt(0)
	s_waitcnt_vscnt null, 0x0
	s_barrier
	buffer_gl0_inv
	s_and_saveexec_b32 s2, s0
	s_cbranch_execz .LBB46_118
; %bb.109:
	s_and_not1_b32 vcc_lo, exec_lo, s3
	s_cbranch_vccnz .LBB46_111
; %bb.110:
	scratch_load_b64 v[95:96], v99, off
	ds_load_b64 v[117:118], v98
	s_waitcnt vmcnt(0) lgkmcnt(0)
	v_mul_f64 v[95:96], v[95:96], v[117:118]
	s_cbranch_execz .LBB46_112
	s_branch .LBB46_113
.LBB46_111:
                                        ; implicit-def: $vgpr95_vgpr96
.LBB46_112:
	ds_load_b64 v[95:96], v98
.LBB46_113:
	s_and_saveexec_b32 s4, s1
	s_cbranch_execz .LBB46_117
; %bb.114:
	v_mov_b32_e32 v117, 0
	v_subrev_nc_u32_e32 v118, 35, v0
	s_movk_i32 s5, 0x298
	s_mov_b32 s1, 0
	s_delay_alu instid0(VALU_DEP_2)
	v_add_nc_u32_e32 v117, 0x118, v117
.LBB46_115:                             ; =>This Inner Loop Header: Depth=1
	scratch_load_b64 v[119:120], v117, off
	v_dual_mov_b32 v121, s5 :: v_dual_add_nc_u32 v118, -1, v118
	v_add_nc_u32_e32 v117, 8, v117
	s_add_i32 s5, s5, 8
	ds_load_b64 v[121:122], v121
	v_cmp_eq_u32_e32 vcc_lo, 0, v118
	s_or_b32 s1, vcc_lo, s1
	s_waitcnt vmcnt(0) lgkmcnt(0)
	v_fma_f64 v[95:96], v[119:120], v[121:122], v[95:96]
	s_and_not1_b32 exec_lo, exec_lo, s1
	s_cbranch_execnz .LBB46_115
; %bb.116:
	s_or_b32 exec_lo, exec_lo, s1
.LBB46_117:
	s_delay_alu instid0(SALU_CYCLE_1)
	s_or_b32 exec_lo, exec_lo, s4
	v_mov_b32_e32 v117, 0
	ds_load_b64 v[117:118], v117 offset:272
	s_waitcnt lgkmcnt(0)
	v_mul_f64 v[95:96], v[95:96], v[117:118]
	scratch_store_b64 off, v[95:96], off offset:272
.LBB46_118:
	s_or_b32 exec_lo, exec_lo, s2
	scratch_load_b64 v[95:96], off, off offset:264
	v_cmp_lt_u32_e64 s1, 33, v0
	s_waitcnt vmcnt(0)
	ds_store_b64 v98, v[95:96]
	s_waitcnt lgkmcnt(0)
	s_waitcnt_vscnt null, 0x0
	s_barrier
	buffer_gl0_inv
	s_and_saveexec_b32 s2, s1
	s_cbranch_execz .LBB46_128
; %bb.119:
	s_and_not1_b32 vcc_lo, exec_lo, s3
	s_cbranch_vccnz .LBB46_121
; %bb.120:
	scratch_load_b64 v[95:96], v99, off
	ds_load_b64 v[117:118], v98
	s_waitcnt vmcnt(0) lgkmcnt(0)
	v_mul_f64 v[95:96], v[95:96], v[117:118]
	s_cbranch_execz .LBB46_122
	s_branch .LBB46_123
.LBB46_121:
                                        ; implicit-def: $vgpr95_vgpr96
.LBB46_122:
	ds_load_b64 v[95:96], v98
.LBB46_123:
	s_and_saveexec_b32 s4, s0
	s_cbranch_execz .LBB46_127
; %bb.124:
	v_subrev_nc_u32_e32 v117, 34, v0
	s_movk_i32 s5, 0x290
	s_mov_b32 s0, 0
.LBB46_125:                             ; =>This Inner Loop Header: Depth=1
	scratch_load_b64 v[118:119], v116, off
	v_dual_mov_b32 v120, s5 :: v_dual_add_nc_u32 v117, -1, v117
	v_add_nc_u32_e32 v116, 8, v116
	s_add_i32 s5, s5, 8
	ds_load_b64 v[120:121], v120
	v_cmp_eq_u32_e32 vcc_lo, 0, v117
	s_or_b32 s0, vcc_lo, s0
	s_waitcnt vmcnt(0) lgkmcnt(0)
	v_fma_f64 v[95:96], v[118:119], v[120:121], v[95:96]
	s_and_not1_b32 exec_lo, exec_lo, s0
	s_cbranch_execnz .LBB46_125
; %bb.126:
	s_or_b32 exec_lo, exec_lo, s0
.LBB46_127:
	s_delay_alu instid0(SALU_CYCLE_1)
	s_or_b32 exec_lo, exec_lo, s4
	v_mov_b32_e32 v116, 0
	ds_load_b64 v[116:117], v116 offset:264
	s_waitcnt lgkmcnt(0)
	v_mul_f64 v[95:96], v[95:96], v[116:117]
	scratch_store_b64 off, v[95:96], off offset:264
.LBB46_128:
	s_or_b32 exec_lo, exec_lo, s2
	scratch_load_b64 v[95:96], off, off offset:256
	v_cmp_lt_u32_e64 s0, 32, v0
	s_waitcnt vmcnt(0)
	ds_store_b64 v98, v[95:96]
	s_waitcnt lgkmcnt(0)
	s_waitcnt_vscnt null, 0x0
	s_barrier
	buffer_gl0_inv
	s_and_saveexec_b32 s2, s0
	s_cbranch_execz .LBB46_138
; %bb.129:
	s_and_not1_b32 vcc_lo, exec_lo, s3
	s_cbranch_vccnz .LBB46_131
; %bb.130:
	scratch_load_b64 v[95:96], v99, off
	ds_load_b64 v[116:117], v98
	s_waitcnt vmcnt(0) lgkmcnt(0)
	v_mul_f64 v[95:96], v[95:96], v[116:117]
	s_cbranch_execz .LBB46_132
	s_branch .LBB46_133
.LBB46_131:
                                        ; implicit-def: $vgpr95_vgpr96
.LBB46_132:
	ds_load_b64 v[95:96], v98
.LBB46_133:
	s_and_saveexec_b32 s4, s1
	s_cbranch_execz .LBB46_137
; %bb.134:
	v_mov_b32_e32 v116, 0
	v_subrev_nc_u32_e32 v117, 33, v0
	s_movk_i32 s5, 0x288
	s_mov_b32 s1, 0
	s_delay_alu instid0(VALU_DEP_2)
	v_add_nc_u32_e32 v116, 0x108, v116
.LBB46_135:                             ; =>This Inner Loop Header: Depth=1
	scratch_load_b64 v[118:119], v116, off
	v_dual_mov_b32 v120, s5 :: v_dual_add_nc_u32 v117, -1, v117
	v_add_nc_u32_e32 v116, 8, v116
	s_add_i32 s5, s5, 8
	ds_load_b64 v[120:121], v120
	v_cmp_eq_u32_e32 vcc_lo, 0, v117
	s_or_b32 s1, vcc_lo, s1
	s_waitcnt vmcnt(0) lgkmcnt(0)
	v_fma_f64 v[95:96], v[118:119], v[120:121], v[95:96]
	s_and_not1_b32 exec_lo, exec_lo, s1
	s_cbranch_execnz .LBB46_135
; %bb.136:
	s_or_b32 exec_lo, exec_lo, s1
.LBB46_137:
	s_delay_alu instid0(SALU_CYCLE_1)
	s_or_b32 exec_lo, exec_lo, s4
	v_mov_b32_e32 v116, 0
	ds_load_b64 v[116:117], v116 offset:256
	s_waitcnt lgkmcnt(0)
	v_mul_f64 v[95:96], v[95:96], v[116:117]
	scratch_store_b64 off, v[95:96], off offset:256
.LBB46_138:
	s_or_b32 exec_lo, exec_lo, s2
	scratch_load_b64 v[95:96], off, off offset:248
	v_cmp_lt_u32_e64 s1, 31, v0
	s_waitcnt vmcnt(0)
	ds_store_b64 v98, v[95:96]
	s_waitcnt lgkmcnt(0)
	s_waitcnt_vscnt null, 0x0
	s_barrier
	buffer_gl0_inv
	s_and_saveexec_b32 s2, s1
	s_cbranch_execz .LBB46_148
; %bb.139:
	s_and_not1_b32 vcc_lo, exec_lo, s3
	s_cbranch_vccnz .LBB46_141
; %bb.140:
	scratch_load_b64 v[95:96], v99, off
	ds_load_b64 v[116:117], v98
	s_waitcnt vmcnt(0) lgkmcnt(0)
	v_mul_f64 v[95:96], v[95:96], v[116:117]
	s_cbranch_execz .LBB46_142
	s_branch .LBB46_143
.LBB46_141:
                                        ; implicit-def: $vgpr95_vgpr96
.LBB46_142:
	ds_load_b64 v[95:96], v98
.LBB46_143:
	s_and_saveexec_b32 s4, s0
	s_cbranch_execz .LBB46_147
; %bb.144:
	v_subrev_nc_u32_e32 v116, 32, v0
	s_movk_i32 s5, 0x280
	s_mov_b32 s0, 0
.LBB46_145:                             ; =>This Inner Loop Header: Depth=1
	scratch_load_b64 v[117:118], v115, off
	v_dual_mov_b32 v119, s5 :: v_dual_add_nc_u32 v116, -1, v116
	v_add_nc_u32_e32 v115, 8, v115
	s_add_i32 s5, s5, 8
	ds_load_b64 v[119:120], v119
	v_cmp_eq_u32_e32 vcc_lo, 0, v116
	s_or_b32 s0, vcc_lo, s0
	s_waitcnt vmcnt(0) lgkmcnt(0)
	v_fma_f64 v[95:96], v[117:118], v[119:120], v[95:96]
	s_and_not1_b32 exec_lo, exec_lo, s0
	s_cbranch_execnz .LBB46_145
; %bb.146:
	s_or_b32 exec_lo, exec_lo, s0
.LBB46_147:
	s_delay_alu instid0(SALU_CYCLE_1)
	s_or_b32 exec_lo, exec_lo, s4
	v_mov_b32_e32 v115, 0
	ds_load_b64 v[115:116], v115 offset:248
	s_waitcnt lgkmcnt(0)
	v_mul_f64 v[95:96], v[95:96], v[115:116]
	scratch_store_b64 off, v[95:96], off offset:248
.LBB46_148:
	s_or_b32 exec_lo, exec_lo, s2
	scratch_load_b64 v[95:96], off, off offset:240
	v_cmp_lt_u32_e64 s0, 30, v0
	s_waitcnt vmcnt(0)
	ds_store_b64 v98, v[95:96]
	s_waitcnt lgkmcnt(0)
	s_waitcnt_vscnt null, 0x0
	s_barrier
	buffer_gl0_inv
	s_and_saveexec_b32 s2, s0
	s_cbranch_execz .LBB46_158
; %bb.149:
	s_and_not1_b32 vcc_lo, exec_lo, s3
	s_cbranch_vccnz .LBB46_151
; %bb.150:
	scratch_load_b64 v[95:96], v99, off
	ds_load_b64 v[115:116], v98
	s_waitcnt vmcnt(0) lgkmcnt(0)
	v_mul_f64 v[95:96], v[95:96], v[115:116]
	s_cbranch_execz .LBB46_152
	s_branch .LBB46_153
.LBB46_151:
                                        ; implicit-def: $vgpr95_vgpr96
.LBB46_152:
	ds_load_b64 v[95:96], v98
.LBB46_153:
	s_and_saveexec_b32 s4, s1
	s_cbranch_execz .LBB46_157
; %bb.154:
	v_mov_b32_e32 v115, 0
	v_subrev_nc_u32_e32 v116, 31, v0
	s_movk_i32 s5, 0x278
	s_mov_b32 s1, 0
	s_delay_alu instid0(VALU_DEP_2)
	v_add_nc_u32_e32 v115, 0xf8, v115
.LBB46_155:                             ; =>This Inner Loop Header: Depth=1
	scratch_load_b64 v[117:118], v115, off
	v_dual_mov_b32 v119, s5 :: v_dual_add_nc_u32 v116, -1, v116
	v_add_nc_u32_e32 v115, 8, v115
	s_add_i32 s5, s5, 8
	ds_load_b64 v[119:120], v119
	v_cmp_eq_u32_e32 vcc_lo, 0, v116
	s_or_b32 s1, vcc_lo, s1
	s_waitcnt vmcnt(0) lgkmcnt(0)
	v_fma_f64 v[95:96], v[117:118], v[119:120], v[95:96]
	s_and_not1_b32 exec_lo, exec_lo, s1
	s_cbranch_execnz .LBB46_155
; %bb.156:
	s_or_b32 exec_lo, exec_lo, s1
.LBB46_157:
	s_delay_alu instid0(SALU_CYCLE_1)
	s_or_b32 exec_lo, exec_lo, s4
	v_mov_b32_e32 v115, 0
	ds_load_b64 v[115:116], v115 offset:240
	s_waitcnt lgkmcnt(0)
	v_mul_f64 v[95:96], v[95:96], v[115:116]
	scratch_store_b64 off, v[95:96], off offset:240
.LBB46_158:
	s_or_b32 exec_lo, exec_lo, s2
	scratch_load_b64 v[95:96], off, off offset:232
	v_cmp_lt_u32_e64 s1, 29, v0
	s_waitcnt vmcnt(0)
	ds_store_b64 v98, v[95:96]
	s_waitcnt lgkmcnt(0)
	s_waitcnt_vscnt null, 0x0
	s_barrier
	buffer_gl0_inv
	s_and_saveexec_b32 s2, s1
	s_cbranch_execz .LBB46_168
; %bb.159:
	s_and_not1_b32 vcc_lo, exec_lo, s3
	s_cbranch_vccnz .LBB46_161
; %bb.160:
	scratch_load_b64 v[95:96], v99, off
	ds_load_b64 v[115:116], v98
	s_waitcnt vmcnt(0) lgkmcnt(0)
	v_mul_f64 v[95:96], v[95:96], v[115:116]
	s_cbranch_execz .LBB46_162
	s_branch .LBB46_163
.LBB46_161:
                                        ; implicit-def: $vgpr95_vgpr96
.LBB46_162:
	ds_load_b64 v[95:96], v98
.LBB46_163:
	s_and_saveexec_b32 s4, s0
	s_cbranch_execz .LBB46_167
; %bb.164:
	v_subrev_nc_u32_e32 v115, 30, v0
	s_movk_i32 s5, 0x270
	s_mov_b32 s0, 0
.LBB46_165:                             ; =>This Inner Loop Header: Depth=1
	scratch_load_b64 v[116:117], v114, off
	v_dual_mov_b32 v118, s5 :: v_dual_add_nc_u32 v115, -1, v115
	v_add_nc_u32_e32 v114, 8, v114
	s_add_i32 s5, s5, 8
	ds_load_b64 v[118:119], v118
	v_cmp_eq_u32_e32 vcc_lo, 0, v115
	s_or_b32 s0, vcc_lo, s0
	s_waitcnt vmcnt(0) lgkmcnt(0)
	v_fma_f64 v[95:96], v[116:117], v[118:119], v[95:96]
	s_and_not1_b32 exec_lo, exec_lo, s0
	s_cbranch_execnz .LBB46_165
; %bb.166:
	s_or_b32 exec_lo, exec_lo, s0
.LBB46_167:
	s_delay_alu instid0(SALU_CYCLE_1)
	s_or_b32 exec_lo, exec_lo, s4
	v_mov_b32_e32 v114, 0
	ds_load_b64 v[114:115], v114 offset:232
	s_waitcnt lgkmcnt(0)
	v_mul_f64 v[95:96], v[95:96], v[114:115]
	scratch_store_b64 off, v[95:96], off offset:232
.LBB46_168:
	s_or_b32 exec_lo, exec_lo, s2
	scratch_load_b64 v[95:96], off, off offset:224
	v_cmp_lt_u32_e64 s0, 28, v0
	s_waitcnt vmcnt(0)
	ds_store_b64 v98, v[95:96]
	s_waitcnt lgkmcnt(0)
	s_waitcnt_vscnt null, 0x0
	s_barrier
	buffer_gl0_inv
	s_and_saveexec_b32 s2, s0
	s_cbranch_execz .LBB46_178
; %bb.169:
	s_and_not1_b32 vcc_lo, exec_lo, s3
	s_cbranch_vccnz .LBB46_171
; %bb.170:
	scratch_load_b64 v[95:96], v99, off
	ds_load_b64 v[114:115], v98
	s_waitcnt vmcnt(0) lgkmcnt(0)
	v_mul_f64 v[95:96], v[95:96], v[114:115]
	s_cbranch_execz .LBB46_172
	s_branch .LBB46_173
.LBB46_171:
                                        ; implicit-def: $vgpr95_vgpr96
.LBB46_172:
	ds_load_b64 v[95:96], v98
.LBB46_173:
	s_and_saveexec_b32 s4, s1
	s_cbranch_execz .LBB46_177
; %bb.174:
	v_mov_b32_e32 v114, 0
	v_subrev_nc_u32_e32 v115, 29, v0
	s_movk_i32 s5, 0x268
	s_mov_b32 s1, 0
	s_delay_alu instid0(VALU_DEP_2)
	v_add_nc_u32_e32 v114, 0xe8, v114
.LBB46_175:                             ; =>This Inner Loop Header: Depth=1
	scratch_load_b64 v[116:117], v114, off
	v_dual_mov_b32 v118, s5 :: v_dual_add_nc_u32 v115, -1, v115
	v_add_nc_u32_e32 v114, 8, v114
	s_add_i32 s5, s5, 8
	ds_load_b64 v[118:119], v118
	v_cmp_eq_u32_e32 vcc_lo, 0, v115
	s_or_b32 s1, vcc_lo, s1
	s_waitcnt vmcnt(0) lgkmcnt(0)
	v_fma_f64 v[95:96], v[116:117], v[118:119], v[95:96]
	s_and_not1_b32 exec_lo, exec_lo, s1
	s_cbranch_execnz .LBB46_175
; %bb.176:
	s_or_b32 exec_lo, exec_lo, s1
.LBB46_177:
	s_delay_alu instid0(SALU_CYCLE_1)
	s_or_b32 exec_lo, exec_lo, s4
	v_mov_b32_e32 v114, 0
	ds_load_b64 v[114:115], v114 offset:224
	s_waitcnt lgkmcnt(0)
	v_mul_f64 v[95:96], v[95:96], v[114:115]
	scratch_store_b64 off, v[95:96], off offset:224
.LBB46_178:
	s_or_b32 exec_lo, exec_lo, s2
	scratch_load_b64 v[95:96], off, off offset:216
	v_cmp_lt_u32_e64 s1, 27, v0
	s_waitcnt vmcnt(0)
	ds_store_b64 v98, v[95:96]
	s_waitcnt lgkmcnt(0)
	s_waitcnt_vscnt null, 0x0
	s_barrier
	buffer_gl0_inv
	s_and_saveexec_b32 s2, s1
	s_cbranch_execz .LBB46_188
; %bb.179:
	s_and_not1_b32 vcc_lo, exec_lo, s3
	s_cbranch_vccnz .LBB46_181
; %bb.180:
	scratch_load_b64 v[95:96], v99, off
	ds_load_b64 v[114:115], v98
	s_waitcnt vmcnt(0) lgkmcnt(0)
	v_mul_f64 v[95:96], v[95:96], v[114:115]
	s_cbranch_execz .LBB46_182
	s_branch .LBB46_183
.LBB46_181:
                                        ; implicit-def: $vgpr95_vgpr96
.LBB46_182:
	ds_load_b64 v[95:96], v98
.LBB46_183:
	s_and_saveexec_b32 s4, s0
	s_cbranch_execz .LBB46_187
; %bb.184:
	v_subrev_nc_u32_e32 v114, 28, v0
	s_movk_i32 s5, 0x260
	s_mov_b32 s0, 0
.LBB46_185:                             ; =>This Inner Loop Header: Depth=1
	scratch_load_b64 v[115:116], v113, off
	v_dual_mov_b32 v117, s5 :: v_dual_add_nc_u32 v114, -1, v114
	v_add_nc_u32_e32 v113, 8, v113
	s_add_i32 s5, s5, 8
	ds_load_b64 v[117:118], v117
	v_cmp_eq_u32_e32 vcc_lo, 0, v114
	s_or_b32 s0, vcc_lo, s0
	s_waitcnt vmcnt(0) lgkmcnt(0)
	v_fma_f64 v[95:96], v[115:116], v[117:118], v[95:96]
	s_and_not1_b32 exec_lo, exec_lo, s0
	s_cbranch_execnz .LBB46_185
; %bb.186:
	s_or_b32 exec_lo, exec_lo, s0
.LBB46_187:
	s_delay_alu instid0(SALU_CYCLE_1)
	s_or_b32 exec_lo, exec_lo, s4
	v_mov_b32_e32 v113, 0
	ds_load_b64 v[113:114], v113 offset:216
	s_waitcnt lgkmcnt(0)
	v_mul_f64 v[95:96], v[95:96], v[113:114]
	scratch_store_b64 off, v[95:96], off offset:216
.LBB46_188:
	s_or_b32 exec_lo, exec_lo, s2
	scratch_load_b64 v[95:96], off, off offset:208
	v_cmp_lt_u32_e64 s0, 26, v0
	s_waitcnt vmcnt(0)
	ds_store_b64 v98, v[95:96]
	s_waitcnt lgkmcnt(0)
	s_waitcnt_vscnt null, 0x0
	s_barrier
	buffer_gl0_inv
	s_and_saveexec_b32 s2, s0
	s_cbranch_execz .LBB46_198
; %bb.189:
	s_and_not1_b32 vcc_lo, exec_lo, s3
	s_cbranch_vccnz .LBB46_191
; %bb.190:
	scratch_load_b64 v[95:96], v99, off
	ds_load_b64 v[113:114], v98
	s_waitcnt vmcnt(0) lgkmcnt(0)
	v_mul_f64 v[95:96], v[95:96], v[113:114]
	s_cbranch_execz .LBB46_192
	s_branch .LBB46_193
.LBB46_191:
                                        ; implicit-def: $vgpr95_vgpr96
.LBB46_192:
	ds_load_b64 v[95:96], v98
.LBB46_193:
	s_and_saveexec_b32 s4, s1
	s_cbranch_execz .LBB46_197
; %bb.194:
	v_mov_b32_e32 v113, 0
	v_subrev_nc_u32_e32 v114, 27, v0
	s_movk_i32 s5, 0x258
	s_mov_b32 s1, 0
	s_delay_alu instid0(VALU_DEP_2)
	v_add_nc_u32_e32 v113, 0xd8, v113
.LBB46_195:                             ; =>This Inner Loop Header: Depth=1
	scratch_load_b64 v[115:116], v113, off
	v_dual_mov_b32 v117, s5 :: v_dual_add_nc_u32 v114, -1, v114
	v_add_nc_u32_e32 v113, 8, v113
	s_add_i32 s5, s5, 8
	ds_load_b64 v[117:118], v117
	v_cmp_eq_u32_e32 vcc_lo, 0, v114
	s_or_b32 s1, vcc_lo, s1
	s_waitcnt vmcnt(0) lgkmcnt(0)
	v_fma_f64 v[95:96], v[115:116], v[117:118], v[95:96]
	s_and_not1_b32 exec_lo, exec_lo, s1
	s_cbranch_execnz .LBB46_195
; %bb.196:
	s_or_b32 exec_lo, exec_lo, s1
.LBB46_197:
	s_delay_alu instid0(SALU_CYCLE_1)
	s_or_b32 exec_lo, exec_lo, s4
	v_mov_b32_e32 v113, 0
	ds_load_b64 v[113:114], v113 offset:208
	s_waitcnt lgkmcnt(0)
	v_mul_f64 v[95:96], v[95:96], v[113:114]
	scratch_store_b64 off, v[95:96], off offset:208
.LBB46_198:
	s_or_b32 exec_lo, exec_lo, s2
	scratch_load_b64 v[95:96], off, off offset:200
	v_cmp_lt_u32_e64 s1, 25, v0
	s_waitcnt vmcnt(0)
	ds_store_b64 v98, v[95:96]
	s_waitcnt lgkmcnt(0)
	s_waitcnt_vscnt null, 0x0
	s_barrier
	buffer_gl0_inv
	s_and_saveexec_b32 s2, s1
	s_cbranch_execz .LBB46_208
; %bb.199:
	s_and_not1_b32 vcc_lo, exec_lo, s3
	s_cbranch_vccnz .LBB46_201
; %bb.200:
	scratch_load_b64 v[95:96], v99, off
	ds_load_b64 v[113:114], v98
	s_waitcnt vmcnt(0) lgkmcnt(0)
	v_mul_f64 v[95:96], v[95:96], v[113:114]
	s_cbranch_execz .LBB46_202
	s_branch .LBB46_203
.LBB46_201:
                                        ; implicit-def: $vgpr95_vgpr96
.LBB46_202:
	ds_load_b64 v[95:96], v98
.LBB46_203:
	s_and_saveexec_b32 s4, s0
	s_cbranch_execz .LBB46_207
; %bb.204:
	v_subrev_nc_u32_e32 v113, 26, v0
	s_movk_i32 s5, 0x250
	s_mov_b32 s0, 0
.LBB46_205:                             ; =>This Inner Loop Header: Depth=1
	scratch_load_b64 v[114:115], v112, off
	v_dual_mov_b32 v116, s5 :: v_dual_add_nc_u32 v113, -1, v113
	v_add_nc_u32_e32 v112, 8, v112
	s_add_i32 s5, s5, 8
	ds_load_b64 v[116:117], v116
	v_cmp_eq_u32_e32 vcc_lo, 0, v113
	s_or_b32 s0, vcc_lo, s0
	s_waitcnt vmcnt(0) lgkmcnt(0)
	v_fma_f64 v[95:96], v[114:115], v[116:117], v[95:96]
	s_and_not1_b32 exec_lo, exec_lo, s0
	s_cbranch_execnz .LBB46_205
; %bb.206:
	s_or_b32 exec_lo, exec_lo, s0
.LBB46_207:
	s_delay_alu instid0(SALU_CYCLE_1)
	s_or_b32 exec_lo, exec_lo, s4
	v_mov_b32_e32 v112, 0
	ds_load_b64 v[112:113], v112 offset:200
	s_waitcnt lgkmcnt(0)
	v_mul_f64 v[95:96], v[95:96], v[112:113]
	scratch_store_b64 off, v[95:96], off offset:200
.LBB46_208:
	s_or_b32 exec_lo, exec_lo, s2
	scratch_load_b64 v[95:96], off, off offset:192
	v_cmp_lt_u32_e64 s0, 24, v0
	s_waitcnt vmcnt(0)
	ds_store_b64 v98, v[95:96]
	s_waitcnt lgkmcnt(0)
	s_waitcnt_vscnt null, 0x0
	s_barrier
	buffer_gl0_inv
	s_and_saveexec_b32 s2, s0
	s_cbranch_execz .LBB46_218
; %bb.209:
	s_and_not1_b32 vcc_lo, exec_lo, s3
	s_cbranch_vccnz .LBB46_211
; %bb.210:
	scratch_load_b64 v[95:96], v99, off
	ds_load_b64 v[112:113], v98
	s_waitcnt vmcnt(0) lgkmcnt(0)
	v_mul_f64 v[95:96], v[95:96], v[112:113]
	s_cbranch_execz .LBB46_212
	s_branch .LBB46_213
.LBB46_211:
                                        ; implicit-def: $vgpr95_vgpr96
.LBB46_212:
	ds_load_b64 v[95:96], v98
.LBB46_213:
	s_and_saveexec_b32 s4, s1
	s_cbranch_execz .LBB46_217
; %bb.214:
	v_mov_b32_e32 v112, 0
	v_subrev_nc_u32_e32 v113, 25, v0
	s_movk_i32 s5, 0x248
	s_mov_b32 s1, 0
	s_delay_alu instid0(VALU_DEP_2)
	v_add_nc_u32_e32 v112, 0xc8, v112
.LBB46_215:                             ; =>This Inner Loop Header: Depth=1
	scratch_load_b64 v[114:115], v112, off
	v_dual_mov_b32 v116, s5 :: v_dual_add_nc_u32 v113, -1, v113
	v_add_nc_u32_e32 v112, 8, v112
	s_add_i32 s5, s5, 8
	ds_load_b64 v[116:117], v116
	v_cmp_eq_u32_e32 vcc_lo, 0, v113
	s_or_b32 s1, vcc_lo, s1
	s_waitcnt vmcnt(0) lgkmcnt(0)
	v_fma_f64 v[95:96], v[114:115], v[116:117], v[95:96]
	s_and_not1_b32 exec_lo, exec_lo, s1
	s_cbranch_execnz .LBB46_215
; %bb.216:
	s_or_b32 exec_lo, exec_lo, s1
.LBB46_217:
	s_delay_alu instid0(SALU_CYCLE_1)
	s_or_b32 exec_lo, exec_lo, s4
	v_mov_b32_e32 v112, 0
	ds_load_b64 v[112:113], v112 offset:192
	s_waitcnt lgkmcnt(0)
	v_mul_f64 v[95:96], v[95:96], v[112:113]
	scratch_store_b64 off, v[95:96], off offset:192
.LBB46_218:
	s_or_b32 exec_lo, exec_lo, s2
	scratch_load_b64 v[95:96], off, off offset:184
	v_cmp_lt_u32_e64 s1, 23, v0
	s_waitcnt vmcnt(0)
	ds_store_b64 v98, v[95:96]
	s_waitcnt lgkmcnt(0)
	s_waitcnt_vscnt null, 0x0
	s_barrier
	buffer_gl0_inv
	s_and_saveexec_b32 s2, s1
	s_cbranch_execz .LBB46_228
; %bb.219:
	s_and_not1_b32 vcc_lo, exec_lo, s3
	s_cbranch_vccnz .LBB46_221
; %bb.220:
	scratch_load_b64 v[95:96], v99, off
	ds_load_b64 v[112:113], v98
	s_waitcnt vmcnt(0) lgkmcnt(0)
	v_mul_f64 v[95:96], v[95:96], v[112:113]
	s_cbranch_execz .LBB46_222
	s_branch .LBB46_223
.LBB46_221:
                                        ; implicit-def: $vgpr95_vgpr96
.LBB46_222:
	ds_load_b64 v[95:96], v98
.LBB46_223:
	s_and_saveexec_b32 s4, s0
	s_cbranch_execz .LBB46_227
; %bb.224:
	v_subrev_nc_u32_e32 v112, 24, v0
	s_movk_i32 s5, 0x240
	s_mov_b32 s0, 0
.LBB46_225:                             ; =>This Inner Loop Header: Depth=1
	scratch_load_b64 v[113:114], v111, off
	v_dual_mov_b32 v115, s5 :: v_dual_add_nc_u32 v112, -1, v112
	v_add_nc_u32_e32 v111, 8, v111
	s_add_i32 s5, s5, 8
	ds_load_b64 v[115:116], v115
	v_cmp_eq_u32_e32 vcc_lo, 0, v112
	s_or_b32 s0, vcc_lo, s0
	s_waitcnt vmcnt(0) lgkmcnt(0)
	v_fma_f64 v[95:96], v[113:114], v[115:116], v[95:96]
	s_and_not1_b32 exec_lo, exec_lo, s0
	s_cbranch_execnz .LBB46_225
; %bb.226:
	s_or_b32 exec_lo, exec_lo, s0
.LBB46_227:
	s_delay_alu instid0(SALU_CYCLE_1)
	s_or_b32 exec_lo, exec_lo, s4
	v_mov_b32_e32 v111, 0
	ds_load_b64 v[111:112], v111 offset:184
	s_waitcnt lgkmcnt(0)
	v_mul_f64 v[95:96], v[95:96], v[111:112]
	scratch_store_b64 off, v[95:96], off offset:184
.LBB46_228:
	s_or_b32 exec_lo, exec_lo, s2
	scratch_load_b64 v[95:96], off, off offset:176
	v_cmp_lt_u32_e64 s0, 22, v0
	s_waitcnt vmcnt(0)
	ds_store_b64 v98, v[95:96]
	s_waitcnt lgkmcnt(0)
	s_waitcnt_vscnt null, 0x0
	s_barrier
	buffer_gl0_inv
	s_and_saveexec_b32 s2, s0
	s_cbranch_execz .LBB46_238
; %bb.229:
	s_and_not1_b32 vcc_lo, exec_lo, s3
	s_cbranch_vccnz .LBB46_231
; %bb.230:
	scratch_load_b64 v[95:96], v99, off
	ds_load_b64 v[111:112], v98
	s_waitcnt vmcnt(0) lgkmcnt(0)
	v_mul_f64 v[95:96], v[95:96], v[111:112]
	s_cbranch_execz .LBB46_232
	s_branch .LBB46_233
.LBB46_231:
                                        ; implicit-def: $vgpr95_vgpr96
.LBB46_232:
	ds_load_b64 v[95:96], v98
.LBB46_233:
	s_and_saveexec_b32 s4, s1
	s_cbranch_execz .LBB46_237
; %bb.234:
	v_mov_b32_e32 v111, 0
	v_subrev_nc_u32_e32 v112, 23, v0
	s_movk_i32 s5, 0x238
	s_mov_b32 s1, 0
	s_delay_alu instid0(VALU_DEP_2)
	v_add_nc_u32_e32 v111, 0xb8, v111
.LBB46_235:                             ; =>This Inner Loop Header: Depth=1
	scratch_load_b64 v[113:114], v111, off
	v_dual_mov_b32 v115, s5 :: v_dual_add_nc_u32 v112, -1, v112
	v_add_nc_u32_e32 v111, 8, v111
	s_add_i32 s5, s5, 8
	ds_load_b64 v[115:116], v115
	v_cmp_eq_u32_e32 vcc_lo, 0, v112
	s_or_b32 s1, vcc_lo, s1
	s_waitcnt vmcnt(0) lgkmcnt(0)
	v_fma_f64 v[95:96], v[113:114], v[115:116], v[95:96]
	s_and_not1_b32 exec_lo, exec_lo, s1
	s_cbranch_execnz .LBB46_235
; %bb.236:
	s_or_b32 exec_lo, exec_lo, s1
.LBB46_237:
	s_delay_alu instid0(SALU_CYCLE_1)
	s_or_b32 exec_lo, exec_lo, s4
	v_mov_b32_e32 v111, 0
	ds_load_b64 v[111:112], v111 offset:176
	s_waitcnt lgkmcnt(0)
	v_mul_f64 v[95:96], v[95:96], v[111:112]
	scratch_store_b64 off, v[95:96], off offset:176
.LBB46_238:
	s_or_b32 exec_lo, exec_lo, s2
	scratch_load_b64 v[95:96], off, off offset:168
	v_cmp_lt_u32_e64 s1, 21, v0
	s_waitcnt vmcnt(0)
	ds_store_b64 v98, v[95:96]
	s_waitcnt lgkmcnt(0)
	s_waitcnt_vscnt null, 0x0
	s_barrier
	buffer_gl0_inv
	s_and_saveexec_b32 s2, s1
	s_cbranch_execz .LBB46_248
; %bb.239:
	s_and_not1_b32 vcc_lo, exec_lo, s3
	s_cbranch_vccnz .LBB46_241
; %bb.240:
	scratch_load_b64 v[95:96], v99, off
	ds_load_b64 v[111:112], v98
	s_waitcnt vmcnt(0) lgkmcnt(0)
	v_mul_f64 v[95:96], v[95:96], v[111:112]
	s_cbranch_execz .LBB46_242
	s_branch .LBB46_243
.LBB46_241:
                                        ; implicit-def: $vgpr95_vgpr96
.LBB46_242:
	ds_load_b64 v[95:96], v98
.LBB46_243:
	s_and_saveexec_b32 s4, s0
	s_cbranch_execz .LBB46_247
; %bb.244:
	v_subrev_nc_u32_e32 v111, 22, v0
	s_movk_i32 s5, 0x230
	s_mov_b32 s0, 0
.LBB46_245:                             ; =>This Inner Loop Header: Depth=1
	scratch_load_b64 v[112:113], v110, off
	v_dual_mov_b32 v114, s5 :: v_dual_add_nc_u32 v111, -1, v111
	v_add_nc_u32_e32 v110, 8, v110
	s_add_i32 s5, s5, 8
	ds_load_b64 v[114:115], v114
	v_cmp_eq_u32_e32 vcc_lo, 0, v111
	s_or_b32 s0, vcc_lo, s0
	s_waitcnt vmcnt(0) lgkmcnt(0)
	v_fma_f64 v[95:96], v[112:113], v[114:115], v[95:96]
	s_and_not1_b32 exec_lo, exec_lo, s0
	s_cbranch_execnz .LBB46_245
; %bb.246:
	s_or_b32 exec_lo, exec_lo, s0
.LBB46_247:
	s_delay_alu instid0(SALU_CYCLE_1)
	s_or_b32 exec_lo, exec_lo, s4
	v_mov_b32_e32 v110, 0
	ds_load_b64 v[110:111], v110 offset:168
	s_waitcnt lgkmcnt(0)
	v_mul_f64 v[95:96], v[95:96], v[110:111]
	scratch_store_b64 off, v[95:96], off offset:168
.LBB46_248:
	s_or_b32 exec_lo, exec_lo, s2
	scratch_load_b64 v[95:96], off, off offset:160
	v_cmp_lt_u32_e64 s0, 20, v0
	s_waitcnt vmcnt(0)
	ds_store_b64 v98, v[95:96]
	s_waitcnt lgkmcnt(0)
	s_waitcnt_vscnt null, 0x0
	s_barrier
	buffer_gl0_inv
	s_and_saveexec_b32 s2, s0
	s_cbranch_execz .LBB46_258
; %bb.249:
	s_and_not1_b32 vcc_lo, exec_lo, s3
	s_cbranch_vccnz .LBB46_251
; %bb.250:
	scratch_load_b64 v[95:96], v99, off
	ds_load_b64 v[110:111], v98
	s_waitcnt vmcnt(0) lgkmcnt(0)
	v_mul_f64 v[95:96], v[95:96], v[110:111]
	s_cbranch_execz .LBB46_252
	s_branch .LBB46_253
.LBB46_251:
                                        ; implicit-def: $vgpr95_vgpr96
.LBB46_252:
	ds_load_b64 v[95:96], v98
.LBB46_253:
	s_and_saveexec_b32 s4, s1
	s_cbranch_execz .LBB46_257
; %bb.254:
	v_mov_b32_e32 v110, 0
	v_subrev_nc_u32_e32 v111, 21, v0
	s_movk_i32 s5, 0x228
	s_mov_b32 s1, 0
	s_delay_alu instid0(VALU_DEP_2)
	v_add_nc_u32_e32 v110, 0xa8, v110
.LBB46_255:                             ; =>This Inner Loop Header: Depth=1
	scratch_load_b64 v[112:113], v110, off
	v_dual_mov_b32 v114, s5 :: v_dual_add_nc_u32 v111, -1, v111
	v_add_nc_u32_e32 v110, 8, v110
	s_add_i32 s5, s5, 8
	ds_load_b64 v[114:115], v114
	v_cmp_eq_u32_e32 vcc_lo, 0, v111
	s_or_b32 s1, vcc_lo, s1
	s_waitcnt vmcnt(0) lgkmcnt(0)
	v_fma_f64 v[95:96], v[112:113], v[114:115], v[95:96]
	s_and_not1_b32 exec_lo, exec_lo, s1
	s_cbranch_execnz .LBB46_255
; %bb.256:
	s_or_b32 exec_lo, exec_lo, s1
.LBB46_257:
	s_delay_alu instid0(SALU_CYCLE_1)
	s_or_b32 exec_lo, exec_lo, s4
	v_mov_b32_e32 v110, 0
	ds_load_b64 v[110:111], v110 offset:160
	s_waitcnt lgkmcnt(0)
	v_mul_f64 v[95:96], v[95:96], v[110:111]
	scratch_store_b64 off, v[95:96], off offset:160
.LBB46_258:
	s_or_b32 exec_lo, exec_lo, s2
	scratch_load_b64 v[95:96], off, off offset:152
	v_cmp_lt_u32_e64 s1, 19, v0
	s_waitcnt vmcnt(0)
	ds_store_b64 v98, v[95:96]
	s_waitcnt lgkmcnt(0)
	s_waitcnt_vscnt null, 0x0
	s_barrier
	buffer_gl0_inv
	s_and_saveexec_b32 s2, s1
	s_cbranch_execz .LBB46_268
; %bb.259:
	s_and_not1_b32 vcc_lo, exec_lo, s3
	s_cbranch_vccnz .LBB46_261
; %bb.260:
	scratch_load_b64 v[95:96], v99, off
	ds_load_b64 v[110:111], v98
	s_waitcnt vmcnt(0) lgkmcnt(0)
	v_mul_f64 v[95:96], v[95:96], v[110:111]
	s_cbranch_execz .LBB46_262
	s_branch .LBB46_263
.LBB46_261:
                                        ; implicit-def: $vgpr95_vgpr96
.LBB46_262:
	ds_load_b64 v[95:96], v98
.LBB46_263:
	s_and_saveexec_b32 s4, s0
	s_cbranch_execz .LBB46_267
; %bb.264:
	v_subrev_nc_u32_e32 v110, 20, v0
	s_movk_i32 s5, 0x220
	s_mov_b32 s0, 0
.LBB46_265:                             ; =>This Inner Loop Header: Depth=1
	scratch_load_b64 v[111:112], v109, off
	v_dual_mov_b32 v113, s5 :: v_dual_add_nc_u32 v110, -1, v110
	v_add_nc_u32_e32 v109, 8, v109
	s_add_i32 s5, s5, 8
	ds_load_b64 v[113:114], v113
	v_cmp_eq_u32_e32 vcc_lo, 0, v110
	s_or_b32 s0, vcc_lo, s0
	s_waitcnt vmcnt(0) lgkmcnt(0)
	v_fma_f64 v[95:96], v[111:112], v[113:114], v[95:96]
	s_and_not1_b32 exec_lo, exec_lo, s0
	s_cbranch_execnz .LBB46_265
; %bb.266:
	s_or_b32 exec_lo, exec_lo, s0
.LBB46_267:
	s_delay_alu instid0(SALU_CYCLE_1)
	s_or_b32 exec_lo, exec_lo, s4
	v_mov_b32_e32 v109, 0
	ds_load_b64 v[109:110], v109 offset:152
	s_waitcnt lgkmcnt(0)
	v_mul_f64 v[95:96], v[95:96], v[109:110]
	scratch_store_b64 off, v[95:96], off offset:152
.LBB46_268:
	s_or_b32 exec_lo, exec_lo, s2
	scratch_load_b64 v[95:96], off, off offset:144
	v_cmp_lt_u32_e64 s0, 18, v0
	s_waitcnt vmcnt(0)
	ds_store_b64 v98, v[95:96]
	s_waitcnt lgkmcnt(0)
	s_waitcnt_vscnt null, 0x0
	s_barrier
	buffer_gl0_inv
	s_and_saveexec_b32 s2, s0
	s_cbranch_execz .LBB46_278
; %bb.269:
	s_and_not1_b32 vcc_lo, exec_lo, s3
	s_cbranch_vccnz .LBB46_271
; %bb.270:
	scratch_load_b64 v[95:96], v99, off
	ds_load_b64 v[109:110], v98
	s_waitcnt vmcnt(0) lgkmcnt(0)
	v_mul_f64 v[95:96], v[95:96], v[109:110]
	s_cbranch_execz .LBB46_272
	s_branch .LBB46_273
.LBB46_271:
                                        ; implicit-def: $vgpr95_vgpr96
.LBB46_272:
	ds_load_b64 v[95:96], v98
.LBB46_273:
	s_and_saveexec_b32 s4, s1
	s_cbranch_execz .LBB46_277
; %bb.274:
	v_mov_b32_e32 v109, 0
	v_subrev_nc_u32_e32 v110, 19, v0
	s_movk_i32 s5, 0x218
	s_mov_b32 s1, 0
	s_delay_alu instid0(VALU_DEP_2)
	v_add_nc_u32_e32 v109, 0x98, v109
.LBB46_275:                             ; =>This Inner Loop Header: Depth=1
	scratch_load_b64 v[111:112], v109, off
	v_dual_mov_b32 v113, s5 :: v_dual_add_nc_u32 v110, -1, v110
	v_add_nc_u32_e32 v109, 8, v109
	s_add_i32 s5, s5, 8
	ds_load_b64 v[113:114], v113
	v_cmp_eq_u32_e32 vcc_lo, 0, v110
	s_or_b32 s1, vcc_lo, s1
	s_waitcnt vmcnt(0) lgkmcnt(0)
	v_fma_f64 v[95:96], v[111:112], v[113:114], v[95:96]
	s_and_not1_b32 exec_lo, exec_lo, s1
	s_cbranch_execnz .LBB46_275
; %bb.276:
	s_or_b32 exec_lo, exec_lo, s1
.LBB46_277:
	s_delay_alu instid0(SALU_CYCLE_1)
	s_or_b32 exec_lo, exec_lo, s4
	v_mov_b32_e32 v109, 0
	ds_load_b64 v[109:110], v109 offset:144
	s_waitcnt lgkmcnt(0)
	v_mul_f64 v[95:96], v[95:96], v[109:110]
	scratch_store_b64 off, v[95:96], off offset:144
.LBB46_278:
	s_or_b32 exec_lo, exec_lo, s2
	scratch_load_b64 v[95:96], off, off offset:136
	v_cmp_lt_u32_e64 s1, 17, v0
	s_waitcnt vmcnt(0)
	ds_store_b64 v98, v[95:96]
	s_waitcnt lgkmcnt(0)
	s_waitcnt_vscnt null, 0x0
	s_barrier
	buffer_gl0_inv
	s_and_saveexec_b32 s2, s1
	s_cbranch_execz .LBB46_288
; %bb.279:
	s_and_not1_b32 vcc_lo, exec_lo, s3
	s_cbranch_vccnz .LBB46_281
; %bb.280:
	scratch_load_b64 v[95:96], v99, off
	ds_load_b64 v[109:110], v98
	s_waitcnt vmcnt(0) lgkmcnt(0)
	v_mul_f64 v[95:96], v[95:96], v[109:110]
	s_cbranch_execz .LBB46_282
	s_branch .LBB46_283
.LBB46_281:
                                        ; implicit-def: $vgpr95_vgpr96
.LBB46_282:
	ds_load_b64 v[95:96], v98
.LBB46_283:
	s_and_saveexec_b32 s4, s0
	s_cbranch_execz .LBB46_287
; %bb.284:
	v_subrev_nc_u32_e32 v109, 18, v0
	s_movk_i32 s5, 0x210
	s_mov_b32 s0, 0
.LBB46_285:                             ; =>This Inner Loop Header: Depth=1
	scratch_load_b64 v[110:111], v108, off
	v_dual_mov_b32 v112, s5 :: v_dual_add_nc_u32 v109, -1, v109
	v_add_nc_u32_e32 v108, 8, v108
	s_add_i32 s5, s5, 8
	ds_load_b64 v[112:113], v112
	v_cmp_eq_u32_e32 vcc_lo, 0, v109
	s_or_b32 s0, vcc_lo, s0
	s_waitcnt vmcnt(0) lgkmcnt(0)
	v_fma_f64 v[95:96], v[110:111], v[112:113], v[95:96]
	s_and_not1_b32 exec_lo, exec_lo, s0
	s_cbranch_execnz .LBB46_285
; %bb.286:
	s_or_b32 exec_lo, exec_lo, s0
.LBB46_287:
	s_delay_alu instid0(SALU_CYCLE_1)
	s_or_b32 exec_lo, exec_lo, s4
	v_mov_b32_e32 v108, 0
	ds_load_b64 v[108:109], v108 offset:136
	s_waitcnt lgkmcnt(0)
	v_mul_f64 v[95:96], v[95:96], v[108:109]
	scratch_store_b64 off, v[95:96], off offset:136
.LBB46_288:
	s_or_b32 exec_lo, exec_lo, s2
	scratch_load_b64 v[95:96], off, off offset:128
	v_cmp_lt_u32_e64 s0, 16, v0
	s_waitcnt vmcnt(0)
	ds_store_b64 v98, v[95:96]
	s_waitcnt lgkmcnt(0)
	s_waitcnt_vscnt null, 0x0
	s_barrier
	buffer_gl0_inv
	s_and_saveexec_b32 s2, s0
	s_cbranch_execz .LBB46_298
; %bb.289:
	s_and_not1_b32 vcc_lo, exec_lo, s3
	s_cbranch_vccnz .LBB46_291
; %bb.290:
	scratch_load_b64 v[95:96], v99, off
	ds_load_b64 v[108:109], v98
	s_waitcnt vmcnt(0) lgkmcnt(0)
	v_mul_f64 v[95:96], v[95:96], v[108:109]
	s_cbranch_execz .LBB46_292
	s_branch .LBB46_293
.LBB46_291:
                                        ; implicit-def: $vgpr95_vgpr96
.LBB46_292:
	ds_load_b64 v[95:96], v98
.LBB46_293:
	s_and_saveexec_b32 s4, s1
	s_cbranch_execz .LBB46_297
; %bb.294:
	v_mov_b32_e32 v108, 0
	v_subrev_nc_u32_e32 v109, 17, v0
	s_movk_i32 s5, 0x208
	s_mov_b32 s1, 0
	s_delay_alu instid0(VALU_DEP_2)
	v_add_nc_u32_e32 v108, 0x88, v108
.LBB46_295:                             ; =>This Inner Loop Header: Depth=1
	scratch_load_b64 v[110:111], v108, off
	v_dual_mov_b32 v112, s5 :: v_dual_add_nc_u32 v109, -1, v109
	v_add_nc_u32_e32 v108, 8, v108
	s_add_i32 s5, s5, 8
	ds_load_b64 v[112:113], v112
	v_cmp_eq_u32_e32 vcc_lo, 0, v109
	s_or_b32 s1, vcc_lo, s1
	s_waitcnt vmcnt(0) lgkmcnt(0)
	v_fma_f64 v[95:96], v[110:111], v[112:113], v[95:96]
	s_and_not1_b32 exec_lo, exec_lo, s1
	s_cbranch_execnz .LBB46_295
; %bb.296:
	s_or_b32 exec_lo, exec_lo, s1
.LBB46_297:
	s_delay_alu instid0(SALU_CYCLE_1)
	s_or_b32 exec_lo, exec_lo, s4
	v_mov_b32_e32 v108, 0
	ds_load_b64 v[108:109], v108 offset:128
	s_waitcnt lgkmcnt(0)
	v_mul_f64 v[95:96], v[95:96], v[108:109]
	scratch_store_b64 off, v[95:96], off offset:128
.LBB46_298:
	s_or_b32 exec_lo, exec_lo, s2
	scratch_load_b64 v[95:96], off, off offset:120
	v_cmp_lt_u32_e64 s1, 15, v0
	s_waitcnt vmcnt(0)
	ds_store_b64 v98, v[95:96]
	s_waitcnt lgkmcnt(0)
	s_waitcnt_vscnt null, 0x0
	s_barrier
	buffer_gl0_inv
	s_and_saveexec_b32 s2, s1
	s_cbranch_execz .LBB46_308
; %bb.299:
	s_and_not1_b32 vcc_lo, exec_lo, s3
	s_cbranch_vccnz .LBB46_301
; %bb.300:
	scratch_load_b64 v[95:96], v99, off
	ds_load_b64 v[108:109], v98
	s_waitcnt vmcnt(0) lgkmcnt(0)
	v_mul_f64 v[95:96], v[95:96], v[108:109]
	s_cbranch_execz .LBB46_302
	s_branch .LBB46_303
.LBB46_301:
                                        ; implicit-def: $vgpr95_vgpr96
.LBB46_302:
	ds_load_b64 v[95:96], v98
.LBB46_303:
	s_and_saveexec_b32 s4, s0
	s_cbranch_execz .LBB46_307
; %bb.304:
	v_add_nc_u32_e32 v108, -16, v0
	s_movk_i32 s5, 0x200
	s_mov_b32 s0, 0
.LBB46_305:                             ; =>This Inner Loop Header: Depth=1
	scratch_load_b64 v[109:110], v107, off
	v_dual_mov_b32 v111, s5 :: v_dual_add_nc_u32 v108, -1, v108
	v_add_nc_u32_e32 v107, 8, v107
	s_add_i32 s5, s5, 8
	ds_load_b64 v[111:112], v111
	v_cmp_eq_u32_e32 vcc_lo, 0, v108
	s_or_b32 s0, vcc_lo, s0
	s_waitcnt vmcnt(0) lgkmcnt(0)
	v_fma_f64 v[95:96], v[109:110], v[111:112], v[95:96]
	s_and_not1_b32 exec_lo, exec_lo, s0
	s_cbranch_execnz .LBB46_305
; %bb.306:
	s_or_b32 exec_lo, exec_lo, s0
.LBB46_307:
	s_delay_alu instid0(SALU_CYCLE_1)
	s_or_b32 exec_lo, exec_lo, s4
	v_mov_b32_e32 v107, 0
	ds_load_b64 v[107:108], v107 offset:120
	s_waitcnt lgkmcnt(0)
	v_mul_f64 v[95:96], v[95:96], v[107:108]
	scratch_store_b64 off, v[95:96], off offset:120
.LBB46_308:
	s_or_b32 exec_lo, exec_lo, s2
	scratch_load_b64 v[95:96], off, off offset:112
	v_cmp_lt_u32_e64 s0, 14, v0
	s_waitcnt vmcnt(0)
	ds_store_b64 v98, v[95:96]
	s_waitcnt lgkmcnt(0)
	s_waitcnt_vscnt null, 0x0
	s_barrier
	buffer_gl0_inv
	s_and_saveexec_b32 s2, s0
	s_cbranch_execz .LBB46_318
; %bb.309:
	s_and_not1_b32 vcc_lo, exec_lo, s3
	s_cbranch_vccnz .LBB46_311
; %bb.310:
	scratch_load_b64 v[95:96], v99, off
	ds_load_b64 v[107:108], v98
	s_waitcnt vmcnt(0) lgkmcnt(0)
	v_mul_f64 v[95:96], v[95:96], v[107:108]
	s_cbranch_execz .LBB46_312
	s_branch .LBB46_313
.LBB46_311:
                                        ; implicit-def: $vgpr95_vgpr96
.LBB46_312:
	ds_load_b64 v[95:96], v98
.LBB46_313:
	s_and_saveexec_b32 s4, s1
	s_cbranch_execz .LBB46_317
; %bb.314:
	v_dual_mov_b32 v107, 0 :: v_dual_add_nc_u32 v108, -15, v0
	s_movk_i32 s5, 0x1f8
	s_mov_b32 s1, 0
	s_delay_alu instid0(VALU_DEP_1)
	v_add_nc_u32_e32 v107, 0x78, v107
.LBB46_315:                             ; =>This Inner Loop Header: Depth=1
	scratch_load_b64 v[109:110], v107, off
	v_dual_mov_b32 v111, s5 :: v_dual_add_nc_u32 v108, -1, v108
	v_add_nc_u32_e32 v107, 8, v107
	s_add_i32 s5, s5, 8
	ds_load_b64 v[111:112], v111
	v_cmp_eq_u32_e32 vcc_lo, 0, v108
	s_or_b32 s1, vcc_lo, s1
	s_waitcnt vmcnt(0) lgkmcnt(0)
	v_fma_f64 v[95:96], v[109:110], v[111:112], v[95:96]
	s_and_not1_b32 exec_lo, exec_lo, s1
	s_cbranch_execnz .LBB46_315
; %bb.316:
	s_or_b32 exec_lo, exec_lo, s1
.LBB46_317:
	s_delay_alu instid0(SALU_CYCLE_1)
	s_or_b32 exec_lo, exec_lo, s4
	v_mov_b32_e32 v107, 0
	ds_load_b64 v[107:108], v107 offset:112
	s_waitcnt lgkmcnt(0)
	v_mul_f64 v[95:96], v[95:96], v[107:108]
	scratch_store_b64 off, v[95:96], off offset:112
.LBB46_318:
	s_or_b32 exec_lo, exec_lo, s2
	scratch_load_b64 v[95:96], off, off offset:104
	v_cmp_lt_u32_e64 s1, 13, v0
	s_waitcnt vmcnt(0)
	ds_store_b64 v98, v[95:96]
	s_waitcnt lgkmcnt(0)
	s_waitcnt_vscnt null, 0x0
	s_barrier
	buffer_gl0_inv
	s_and_saveexec_b32 s2, s1
	s_cbranch_execz .LBB46_328
; %bb.319:
	s_and_not1_b32 vcc_lo, exec_lo, s3
	s_cbranch_vccnz .LBB46_321
; %bb.320:
	scratch_load_b64 v[95:96], v99, off
	ds_load_b64 v[107:108], v98
	s_waitcnt vmcnt(0) lgkmcnt(0)
	v_mul_f64 v[95:96], v[95:96], v[107:108]
	s_cbranch_execz .LBB46_322
	s_branch .LBB46_323
.LBB46_321:
                                        ; implicit-def: $vgpr95_vgpr96
.LBB46_322:
	ds_load_b64 v[95:96], v98
.LBB46_323:
	s_and_saveexec_b32 s4, s0
	s_cbranch_execz .LBB46_327
; %bb.324:
	v_add_nc_u32_e32 v107, -14, v0
	s_movk_i32 s5, 0x1f0
	s_mov_b32 s0, 0
.LBB46_325:                             ; =>This Inner Loop Header: Depth=1
	scratch_load_b64 v[108:109], v106, off
	v_dual_mov_b32 v110, s5 :: v_dual_add_nc_u32 v107, -1, v107
	v_add_nc_u32_e32 v106, 8, v106
	s_add_i32 s5, s5, 8
	ds_load_b64 v[110:111], v110
	v_cmp_eq_u32_e32 vcc_lo, 0, v107
	s_or_b32 s0, vcc_lo, s0
	s_waitcnt vmcnt(0) lgkmcnt(0)
	v_fma_f64 v[95:96], v[108:109], v[110:111], v[95:96]
	s_and_not1_b32 exec_lo, exec_lo, s0
	s_cbranch_execnz .LBB46_325
; %bb.326:
	s_or_b32 exec_lo, exec_lo, s0
.LBB46_327:
	s_delay_alu instid0(SALU_CYCLE_1)
	s_or_b32 exec_lo, exec_lo, s4
	v_mov_b32_e32 v106, 0
	ds_load_b64 v[106:107], v106 offset:104
	s_waitcnt lgkmcnt(0)
	v_mul_f64 v[95:96], v[95:96], v[106:107]
	scratch_store_b64 off, v[95:96], off offset:104
.LBB46_328:
	s_or_b32 exec_lo, exec_lo, s2
	scratch_load_b64 v[95:96], off, off offset:96
	v_cmp_lt_u32_e64 s0, 12, v0
	s_waitcnt vmcnt(0)
	ds_store_b64 v98, v[95:96]
	s_waitcnt lgkmcnt(0)
	s_waitcnt_vscnt null, 0x0
	s_barrier
	buffer_gl0_inv
	s_and_saveexec_b32 s2, s0
	s_cbranch_execz .LBB46_338
; %bb.329:
	s_and_not1_b32 vcc_lo, exec_lo, s3
	s_cbranch_vccnz .LBB46_331
; %bb.330:
	scratch_load_b64 v[95:96], v99, off
	ds_load_b64 v[106:107], v98
	s_waitcnt vmcnt(0) lgkmcnt(0)
	v_mul_f64 v[95:96], v[95:96], v[106:107]
	s_cbranch_execz .LBB46_332
	s_branch .LBB46_333
.LBB46_331:
                                        ; implicit-def: $vgpr95_vgpr96
.LBB46_332:
	ds_load_b64 v[95:96], v98
.LBB46_333:
	s_and_saveexec_b32 s4, s1
	s_cbranch_execz .LBB46_337
; %bb.334:
	v_dual_mov_b32 v106, 0 :: v_dual_add_nc_u32 v107, -13, v0
	s_movk_i32 s5, 0x1e8
	s_mov_b32 s1, 0
	s_delay_alu instid0(VALU_DEP_1)
	v_add_nc_u32_e32 v106, 0x68, v106
.LBB46_335:                             ; =>This Inner Loop Header: Depth=1
	scratch_load_b64 v[108:109], v106, off
	v_dual_mov_b32 v110, s5 :: v_dual_add_nc_u32 v107, -1, v107
	v_add_nc_u32_e32 v106, 8, v106
	s_add_i32 s5, s5, 8
	ds_load_b64 v[110:111], v110
	v_cmp_eq_u32_e32 vcc_lo, 0, v107
	s_or_b32 s1, vcc_lo, s1
	s_waitcnt vmcnt(0) lgkmcnt(0)
	v_fma_f64 v[95:96], v[108:109], v[110:111], v[95:96]
	s_and_not1_b32 exec_lo, exec_lo, s1
	s_cbranch_execnz .LBB46_335
; %bb.336:
	s_or_b32 exec_lo, exec_lo, s1
.LBB46_337:
	s_delay_alu instid0(SALU_CYCLE_1)
	s_or_b32 exec_lo, exec_lo, s4
	v_mov_b32_e32 v106, 0
	ds_load_b64 v[106:107], v106 offset:96
	s_waitcnt lgkmcnt(0)
	v_mul_f64 v[95:96], v[95:96], v[106:107]
	scratch_store_b64 off, v[95:96], off offset:96
.LBB46_338:
	s_or_b32 exec_lo, exec_lo, s2
	scratch_load_b64 v[95:96], off, off offset:88
	v_cmp_lt_u32_e64 s1, 11, v0
	s_waitcnt vmcnt(0)
	ds_store_b64 v98, v[95:96]
	s_waitcnt lgkmcnt(0)
	s_waitcnt_vscnt null, 0x0
	s_barrier
	buffer_gl0_inv
	s_and_saveexec_b32 s2, s1
	s_cbranch_execz .LBB46_348
; %bb.339:
	s_and_not1_b32 vcc_lo, exec_lo, s3
	s_cbranch_vccnz .LBB46_341
; %bb.340:
	scratch_load_b64 v[95:96], v99, off
	ds_load_b64 v[106:107], v98
	s_waitcnt vmcnt(0) lgkmcnt(0)
	v_mul_f64 v[95:96], v[95:96], v[106:107]
	s_cbranch_execz .LBB46_342
	s_branch .LBB46_343
.LBB46_341:
                                        ; implicit-def: $vgpr95_vgpr96
.LBB46_342:
	ds_load_b64 v[95:96], v98
.LBB46_343:
	s_and_saveexec_b32 s4, s0
	s_cbranch_execz .LBB46_347
; %bb.344:
	v_add_nc_u32_e32 v106, -12, v0
	s_movk_i32 s5, 0x1e0
	s_mov_b32 s0, 0
.LBB46_345:                             ; =>This Inner Loop Header: Depth=1
	scratch_load_b64 v[107:108], v105, off
	v_dual_mov_b32 v109, s5 :: v_dual_add_nc_u32 v106, -1, v106
	v_add_nc_u32_e32 v105, 8, v105
	s_add_i32 s5, s5, 8
	ds_load_b64 v[109:110], v109
	v_cmp_eq_u32_e32 vcc_lo, 0, v106
	s_or_b32 s0, vcc_lo, s0
	s_waitcnt vmcnt(0) lgkmcnt(0)
	v_fma_f64 v[95:96], v[107:108], v[109:110], v[95:96]
	s_and_not1_b32 exec_lo, exec_lo, s0
	s_cbranch_execnz .LBB46_345
; %bb.346:
	s_or_b32 exec_lo, exec_lo, s0
.LBB46_347:
	s_delay_alu instid0(SALU_CYCLE_1)
	s_or_b32 exec_lo, exec_lo, s4
	v_mov_b32_e32 v105, 0
	ds_load_b64 v[105:106], v105 offset:88
	s_waitcnt lgkmcnt(0)
	v_mul_f64 v[95:96], v[95:96], v[105:106]
	scratch_store_b64 off, v[95:96], off offset:88
.LBB46_348:
	s_or_b32 exec_lo, exec_lo, s2
	scratch_load_b64 v[95:96], off, off offset:80
	v_cmp_lt_u32_e64 s0, 10, v0
	s_waitcnt vmcnt(0)
	ds_store_b64 v98, v[95:96]
	s_waitcnt lgkmcnt(0)
	s_waitcnt_vscnt null, 0x0
	s_barrier
	buffer_gl0_inv
	s_and_saveexec_b32 s2, s0
	s_cbranch_execz .LBB46_358
; %bb.349:
	s_and_not1_b32 vcc_lo, exec_lo, s3
	s_cbranch_vccnz .LBB46_351
; %bb.350:
	scratch_load_b64 v[95:96], v99, off
	ds_load_b64 v[105:106], v98
	s_waitcnt vmcnt(0) lgkmcnt(0)
	v_mul_f64 v[95:96], v[95:96], v[105:106]
	s_cbranch_execz .LBB46_352
	s_branch .LBB46_353
.LBB46_351:
                                        ; implicit-def: $vgpr95_vgpr96
.LBB46_352:
	ds_load_b64 v[95:96], v98
.LBB46_353:
	s_and_saveexec_b32 s4, s1
	s_cbranch_execz .LBB46_357
; %bb.354:
	v_dual_mov_b32 v105, 0 :: v_dual_add_nc_u32 v106, -11, v0
	s_movk_i32 s5, 0x1d8
	s_mov_b32 s1, 0
	s_delay_alu instid0(VALU_DEP_1)
	v_add_nc_u32_e32 v105, 0x58, v105
.LBB46_355:                             ; =>This Inner Loop Header: Depth=1
	scratch_load_b64 v[107:108], v105, off
	v_dual_mov_b32 v109, s5 :: v_dual_add_nc_u32 v106, -1, v106
	v_add_nc_u32_e32 v105, 8, v105
	s_add_i32 s5, s5, 8
	ds_load_b64 v[109:110], v109
	v_cmp_eq_u32_e32 vcc_lo, 0, v106
	s_or_b32 s1, vcc_lo, s1
	s_waitcnt vmcnt(0) lgkmcnt(0)
	v_fma_f64 v[95:96], v[107:108], v[109:110], v[95:96]
	s_and_not1_b32 exec_lo, exec_lo, s1
	s_cbranch_execnz .LBB46_355
; %bb.356:
	s_or_b32 exec_lo, exec_lo, s1
.LBB46_357:
	s_delay_alu instid0(SALU_CYCLE_1)
	s_or_b32 exec_lo, exec_lo, s4
	v_mov_b32_e32 v105, 0
	ds_load_b64 v[105:106], v105 offset:80
	s_waitcnt lgkmcnt(0)
	v_mul_f64 v[95:96], v[95:96], v[105:106]
	scratch_store_b64 off, v[95:96], off offset:80
.LBB46_358:
	s_or_b32 exec_lo, exec_lo, s2
	scratch_load_b64 v[95:96], off, off offset:72
	v_cmp_lt_u32_e64 s1, 9, v0
	s_waitcnt vmcnt(0)
	ds_store_b64 v98, v[95:96]
	s_waitcnt lgkmcnt(0)
	s_waitcnt_vscnt null, 0x0
	s_barrier
	buffer_gl0_inv
	s_and_saveexec_b32 s2, s1
	s_cbranch_execz .LBB46_368
; %bb.359:
	s_and_not1_b32 vcc_lo, exec_lo, s3
	s_cbranch_vccnz .LBB46_361
; %bb.360:
	scratch_load_b64 v[95:96], v99, off
	ds_load_b64 v[105:106], v98
	s_waitcnt vmcnt(0) lgkmcnt(0)
	v_mul_f64 v[95:96], v[95:96], v[105:106]
	s_cbranch_execz .LBB46_362
	s_branch .LBB46_363
.LBB46_361:
                                        ; implicit-def: $vgpr95_vgpr96
.LBB46_362:
	ds_load_b64 v[95:96], v98
.LBB46_363:
	s_and_saveexec_b32 s4, s0
	s_cbranch_execz .LBB46_367
; %bb.364:
	v_add_nc_u32_e32 v105, -10, v0
	s_movk_i32 s5, 0x1d0
	s_mov_b32 s0, 0
.LBB46_365:                             ; =>This Inner Loop Header: Depth=1
	scratch_load_b64 v[106:107], v104, off
	v_dual_mov_b32 v108, s5 :: v_dual_add_nc_u32 v105, -1, v105
	v_add_nc_u32_e32 v104, 8, v104
	s_add_i32 s5, s5, 8
	ds_load_b64 v[108:109], v108
	v_cmp_eq_u32_e32 vcc_lo, 0, v105
	s_or_b32 s0, vcc_lo, s0
	s_waitcnt vmcnt(0) lgkmcnt(0)
	v_fma_f64 v[95:96], v[106:107], v[108:109], v[95:96]
	s_and_not1_b32 exec_lo, exec_lo, s0
	s_cbranch_execnz .LBB46_365
; %bb.366:
	s_or_b32 exec_lo, exec_lo, s0
.LBB46_367:
	s_delay_alu instid0(SALU_CYCLE_1)
	s_or_b32 exec_lo, exec_lo, s4
	v_mov_b32_e32 v104, 0
	ds_load_b64 v[104:105], v104 offset:72
	s_waitcnt lgkmcnt(0)
	v_mul_f64 v[95:96], v[95:96], v[104:105]
	scratch_store_b64 off, v[95:96], off offset:72
.LBB46_368:
	s_or_b32 exec_lo, exec_lo, s2
	scratch_load_b64 v[95:96], off, off offset:64
	v_cmp_lt_u32_e64 s0, 8, v0
	s_waitcnt vmcnt(0)
	ds_store_b64 v98, v[95:96]
	s_waitcnt lgkmcnt(0)
	s_waitcnt_vscnt null, 0x0
	s_barrier
	buffer_gl0_inv
	s_and_saveexec_b32 s2, s0
	s_cbranch_execz .LBB46_378
; %bb.369:
	s_and_not1_b32 vcc_lo, exec_lo, s3
	s_cbranch_vccnz .LBB46_371
; %bb.370:
	scratch_load_b64 v[95:96], v99, off
	ds_load_b64 v[104:105], v98
	s_waitcnt vmcnt(0) lgkmcnt(0)
	v_mul_f64 v[95:96], v[95:96], v[104:105]
	s_cbranch_execz .LBB46_372
	s_branch .LBB46_373
.LBB46_371:
                                        ; implicit-def: $vgpr95_vgpr96
.LBB46_372:
	ds_load_b64 v[95:96], v98
.LBB46_373:
	s_and_saveexec_b32 s4, s1
	s_cbranch_execz .LBB46_377
; %bb.374:
	v_dual_mov_b32 v104, 0 :: v_dual_add_nc_u32 v105, -9, v0
	s_movk_i32 s5, 0x1c8
	s_mov_b32 s1, 0
	s_delay_alu instid0(VALU_DEP_1)
	v_add_nc_u32_e32 v104, 0x48, v104
.LBB46_375:                             ; =>This Inner Loop Header: Depth=1
	scratch_load_b64 v[106:107], v104, off
	v_dual_mov_b32 v108, s5 :: v_dual_add_nc_u32 v105, -1, v105
	v_add_nc_u32_e32 v104, 8, v104
	s_add_i32 s5, s5, 8
	ds_load_b64 v[108:109], v108
	v_cmp_eq_u32_e32 vcc_lo, 0, v105
	s_or_b32 s1, vcc_lo, s1
	s_waitcnt vmcnt(0) lgkmcnt(0)
	v_fma_f64 v[95:96], v[106:107], v[108:109], v[95:96]
	s_and_not1_b32 exec_lo, exec_lo, s1
	s_cbranch_execnz .LBB46_375
; %bb.376:
	s_or_b32 exec_lo, exec_lo, s1
.LBB46_377:
	s_delay_alu instid0(SALU_CYCLE_1)
	s_or_b32 exec_lo, exec_lo, s4
	v_mov_b32_e32 v104, 0
	ds_load_b64 v[104:105], v104 offset:64
	s_waitcnt lgkmcnt(0)
	v_mul_f64 v[95:96], v[95:96], v[104:105]
	scratch_store_b64 off, v[95:96], off offset:64
.LBB46_378:
	s_or_b32 exec_lo, exec_lo, s2
	scratch_load_b64 v[95:96], off, off offset:56
	v_cmp_lt_u32_e64 s1, 7, v0
	s_waitcnt vmcnt(0)
	ds_store_b64 v98, v[95:96]
	s_waitcnt lgkmcnt(0)
	s_waitcnt_vscnt null, 0x0
	s_barrier
	buffer_gl0_inv
	s_and_saveexec_b32 s2, s1
	s_cbranch_execz .LBB46_388
; %bb.379:
	s_and_not1_b32 vcc_lo, exec_lo, s3
	s_cbranch_vccnz .LBB46_381
; %bb.380:
	scratch_load_b64 v[95:96], v99, off
	ds_load_b64 v[104:105], v98
	s_waitcnt vmcnt(0) lgkmcnt(0)
	v_mul_f64 v[95:96], v[95:96], v[104:105]
	s_cbranch_execz .LBB46_382
	s_branch .LBB46_383
.LBB46_381:
                                        ; implicit-def: $vgpr95_vgpr96
.LBB46_382:
	ds_load_b64 v[95:96], v98
.LBB46_383:
	s_and_saveexec_b32 s4, s0
	s_cbranch_execz .LBB46_387
; %bb.384:
	v_add_nc_u32_e32 v104, -8, v0
	s_movk_i32 s5, 0x1c0
	s_mov_b32 s0, 0
.LBB46_385:                             ; =>This Inner Loop Header: Depth=1
	scratch_load_b64 v[105:106], v103, off
	v_dual_mov_b32 v107, s5 :: v_dual_add_nc_u32 v104, -1, v104
	v_add_nc_u32_e32 v103, 8, v103
	s_add_i32 s5, s5, 8
	ds_load_b64 v[107:108], v107
	v_cmp_eq_u32_e32 vcc_lo, 0, v104
	s_or_b32 s0, vcc_lo, s0
	s_waitcnt vmcnt(0) lgkmcnt(0)
	v_fma_f64 v[95:96], v[105:106], v[107:108], v[95:96]
	s_and_not1_b32 exec_lo, exec_lo, s0
	s_cbranch_execnz .LBB46_385
; %bb.386:
	s_or_b32 exec_lo, exec_lo, s0
.LBB46_387:
	s_delay_alu instid0(SALU_CYCLE_1)
	s_or_b32 exec_lo, exec_lo, s4
	v_mov_b32_e32 v103, 0
	ds_load_b64 v[103:104], v103 offset:56
	s_waitcnt lgkmcnt(0)
	v_mul_f64 v[95:96], v[95:96], v[103:104]
	scratch_store_b64 off, v[95:96], off offset:56
.LBB46_388:
	s_or_b32 exec_lo, exec_lo, s2
	scratch_load_b64 v[95:96], off, off offset:48
	v_cmp_lt_u32_e64 s0, 6, v0
	s_waitcnt vmcnt(0)
	ds_store_b64 v98, v[95:96]
	s_waitcnt lgkmcnt(0)
	s_waitcnt_vscnt null, 0x0
	s_barrier
	buffer_gl0_inv
	s_and_saveexec_b32 s2, s0
	s_cbranch_execz .LBB46_398
; %bb.389:
	s_and_not1_b32 vcc_lo, exec_lo, s3
	s_cbranch_vccnz .LBB46_391
; %bb.390:
	scratch_load_b64 v[95:96], v99, off
	ds_load_b64 v[103:104], v98
	s_waitcnt vmcnt(0) lgkmcnt(0)
	v_mul_f64 v[95:96], v[95:96], v[103:104]
	s_cbranch_execz .LBB46_392
	s_branch .LBB46_393
.LBB46_391:
                                        ; implicit-def: $vgpr95_vgpr96
.LBB46_392:
	ds_load_b64 v[95:96], v98
.LBB46_393:
	s_and_saveexec_b32 s4, s1
	s_cbranch_execz .LBB46_397
; %bb.394:
	v_add_nc_u32_e64 v103, 0, 56
	v_add_nc_u32_e32 v104, -7, v0
	s_movk_i32 s5, 0x1b8
	s_mov_b32 s1, 0
.LBB46_395:                             ; =>This Inner Loop Header: Depth=1
	scratch_load_b64 v[105:106], v103, off
	v_dual_mov_b32 v107, s5 :: v_dual_add_nc_u32 v104, -1, v104
	v_add_nc_u32_e32 v103, 8, v103
	s_add_i32 s5, s5, 8
	ds_load_b64 v[107:108], v107
	v_cmp_eq_u32_e32 vcc_lo, 0, v104
	s_or_b32 s1, vcc_lo, s1
	s_waitcnt vmcnt(0) lgkmcnt(0)
	v_fma_f64 v[95:96], v[105:106], v[107:108], v[95:96]
	s_and_not1_b32 exec_lo, exec_lo, s1
	s_cbranch_execnz .LBB46_395
; %bb.396:
	s_or_b32 exec_lo, exec_lo, s1
.LBB46_397:
	s_delay_alu instid0(SALU_CYCLE_1)
	s_or_b32 exec_lo, exec_lo, s4
	v_mov_b32_e32 v103, 0
	ds_load_b64 v[103:104], v103 offset:48
	s_waitcnt lgkmcnt(0)
	v_mul_f64 v[95:96], v[95:96], v[103:104]
	scratch_store_b64 off, v[95:96], off offset:48
.LBB46_398:
	s_or_b32 exec_lo, exec_lo, s2
	scratch_load_b64 v[95:96], off, off offset:40
	v_cmp_lt_u32_e64 s1, 5, v0
	s_waitcnt vmcnt(0)
	ds_store_b64 v98, v[95:96]
	s_waitcnt lgkmcnt(0)
	s_waitcnt_vscnt null, 0x0
	s_barrier
	buffer_gl0_inv
	s_and_saveexec_b32 s2, s1
	s_cbranch_execz .LBB46_408
; %bb.399:
	s_and_not1_b32 vcc_lo, exec_lo, s3
	s_cbranch_vccnz .LBB46_401
; %bb.400:
	scratch_load_b64 v[95:96], v99, off
	ds_load_b64 v[103:104], v98
	s_waitcnt vmcnt(0) lgkmcnt(0)
	v_mul_f64 v[95:96], v[95:96], v[103:104]
	s_cbranch_execz .LBB46_402
	s_branch .LBB46_403
.LBB46_401:
                                        ; implicit-def: $vgpr95_vgpr96
.LBB46_402:
	ds_load_b64 v[95:96], v98
.LBB46_403:
	s_and_saveexec_b32 s4, s0
	s_cbranch_execz .LBB46_407
; %bb.404:
	v_add_nc_u32_e32 v103, -6, v0
	s_movk_i32 s5, 0x1b0
	s_mov_b32 s0, 0
.LBB46_405:                             ; =>This Inner Loop Header: Depth=1
	scratch_load_b64 v[104:105], v102, off
	v_dual_mov_b32 v106, s5 :: v_dual_add_nc_u32 v103, -1, v103
	v_add_nc_u32_e32 v102, 8, v102
	s_add_i32 s5, s5, 8
	ds_load_b64 v[106:107], v106
	v_cmp_eq_u32_e32 vcc_lo, 0, v103
	s_or_b32 s0, vcc_lo, s0
	s_waitcnt vmcnt(0) lgkmcnt(0)
	v_fma_f64 v[95:96], v[104:105], v[106:107], v[95:96]
	s_and_not1_b32 exec_lo, exec_lo, s0
	s_cbranch_execnz .LBB46_405
; %bb.406:
	s_or_b32 exec_lo, exec_lo, s0
.LBB46_407:
	s_delay_alu instid0(SALU_CYCLE_1)
	s_or_b32 exec_lo, exec_lo, s4
	v_mov_b32_e32 v102, 0
	ds_load_b64 v[102:103], v102 offset:40
	s_waitcnt lgkmcnt(0)
	v_mul_f64 v[95:96], v[95:96], v[102:103]
	scratch_store_b64 off, v[95:96], off offset:40
.LBB46_408:
	s_or_b32 exec_lo, exec_lo, s2
	scratch_load_b64 v[95:96], off, off offset:32
	v_cmp_lt_u32_e64 s0, 4, v0
	s_waitcnt vmcnt(0)
	ds_store_b64 v98, v[95:96]
	s_waitcnt lgkmcnt(0)
	s_waitcnt_vscnt null, 0x0
	s_barrier
	buffer_gl0_inv
	s_and_saveexec_b32 s2, s0
	s_cbranch_execz .LBB46_418
; %bb.409:
	s_and_not1_b32 vcc_lo, exec_lo, s3
	s_cbranch_vccnz .LBB46_411
; %bb.410:
	scratch_load_b64 v[95:96], v99, off
	ds_load_b64 v[102:103], v98
	s_waitcnt vmcnt(0) lgkmcnt(0)
	v_mul_f64 v[95:96], v[95:96], v[102:103]
	s_cbranch_execz .LBB46_412
	s_branch .LBB46_413
.LBB46_411:
                                        ; implicit-def: $vgpr95_vgpr96
.LBB46_412:
	ds_load_b64 v[95:96], v98
.LBB46_413:
	s_and_saveexec_b32 s4, s1
	s_cbranch_execz .LBB46_417
; %bb.414:
	v_add_nc_u32_e64 v102, 0, 40
	v_add_nc_u32_e32 v103, -5, v0
	s_movk_i32 s5, 0x1a8
	s_mov_b32 s1, 0
.LBB46_415:                             ; =>This Inner Loop Header: Depth=1
	scratch_load_b64 v[104:105], v102, off
	v_dual_mov_b32 v106, s5 :: v_dual_add_nc_u32 v103, -1, v103
	v_add_nc_u32_e32 v102, 8, v102
	s_add_i32 s5, s5, 8
	ds_load_b64 v[106:107], v106
	v_cmp_eq_u32_e32 vcc_lo, 0, v103
	s_or_b32 s1, vcc_lo, s1
	s_waitcnt vmcnt(0) lgkmcnt(0)
	v_fma_f64 v[95:96], v[104:105], v[106:107], v[95:96]
	s_and_not1_b32 exec_lo, exec_lo, s1
	s_cbranch_execnz .LBB46_415
; %bb.416:
	s_or_b32 exec_lo, exec_lo, s1
.LBB46_417:
	s_delay_alu instid0(SALU_CYCLE_1)
	s_or_b32 exec_lo, exec_lo, s4
	v_mov_b32_e32 v102, 0
	ds_load_b64 v[102:103], v102 offset:32
	s_waitcnt lgkmcnt(0)
	v_mul_f64 v[95:96], v[95:96], v[102:103]
	scratch_store_b64 off, v[95:96], off offset:32
.LBB46_418:
	s_or_b32 exec_lo, exec_lo, s2
	scratch_load_b64 v[95:96], off, off offset:24
	v_cmp_lt_u32_e64 s1, 3, v0
	s_waitcnt vmcnt(0)
	ds_store_b64 v98, v[95:96]
	s_waitcnt lgkmcnt(0)
	s_waitcnt_vscnt null, 0x0
	s_barrier
	buffer_gl0_inv
	s_and_saveexec_b32 s2, s1
	s_cbranch_execz .LBB46_428
; %bb.419:
	s_and_not1_b32 vcc_lo, exec_lo, s3
	s_cbranch_vccnz .LBB46_421
; %bb.420:
	scratch_load_b64 v[95:96], v99, off
	ds_load_b64 v[102:103], v98
	s_waitcnt vmcnt(0) lgkmcnt(0)
	v_mul_f64 v[95:96], v[95:96], v[102:103]
	s_cbranch_execz .LBB46_422
	s_branch .LBB46_423
.LBB46_421:
                                        ; implicit-def: $vgpr95_vgpr96
.LBB46_422:
	ds_load_b64 v[95:96], v98
.LBB46_423:
	s_and_saveexec_b32 s4, s0
	s_cbranch_execz .LBB46_427
; %bb.424:
	v_add_nc_u32_e32 v102, -4, v0
	s_movk_i32 s5, 0x1a0
	s_mov_b32 s0, 0
.LBB46_425:                             ; =>This Inner Loop Header: Depth=1
	scratch_load_b64 v[103:104], v101, off
	v_dual_mov_b32 v105, s5 :: v_dual_add_nc_u32 v102, -1, v102
	v_add_nc_u32_e32 v101, 8, v101
	s_add_i32 s5, s5, 8
	ds_load_b64 v[105:106], v105
	v_cmp_eq_u32_e32 vcc_lo, 0, v102
	s_or_b32 s0, vcc_lo, s0
	s_waitcnt vmcnt(0) lgkmcnt(0)
	v_fma_f64 v[95:96], v[103:104], v[105:106], v[95:96]
	s_and_not1_b32 exec_lo, exec_lo, s0
	s_cbranch_execnz .LBB46_425
; %bb.426:
	s_or_b32 exec_lo, exec_lo, s0
.LBB46_427:
	s_delay_alu instid0(SALU_CYCLE_1)
	s_or_b32 exec_lo, exec_lo, s4
	v_mov_b32_e32 v101, 0
	ds_load_b64 v[101:102], v101 offset:24
	s_waitcnt lgkmcnt(0)
	v_mul_f64 v[95:96], v[95:96], v[101:102]
	scratch_store_b64 off, v[95:96], off offset:24
.LBB46_428:
	s_or_b32 exec_lo, exec_lo, s2
	scratch_load_b64 v[95:96], off, off offset:16
	v_cmp_lt_u32_e64 s0, 2, v0
	s_waitcnt vmcnt(0)
	ds_store_b64 v98, v[95:96]
	s_waitcnt lgkmcnt(0)
	s_waitcnt_vscnt null, 0x0
	s_barrier
	buffer_gl0_inv
	s_and_saveexec_b32 s2, s0
	s_cbranch_execz .LBB46_438
; %bb.429:
	s_and_not1_b32 vcc_lo, exec_lo, s3
	s_cbranch_vccnz .LBB46_431
; %bb.430:
	scratch_load_b64 v[95:96], v99, off
	ds_load_b64 v[101:102], v98
	s_waitcnt vmcnt(0) lgkmcnt(0)
	v_mul_f64 v[95:96], v[95:96], v[101:102]
	s_cbranch_execz .LBB46_432
	s_branch .LBB46_433
.LBB46_431:
                                        ; implicit-def: $vgpr95_vgpr96
.LBB46_432:
	ds_load_b64 v[95:96], v98
.LBB46_433:
	s_and_saveexec_b32 s4, s1
	s_cbranch_execz .LBB46_437
; %bb.434:
	v_add_nc_u32_e64 v101, 0, 24
	v_add_nc_u32_e32 v102, -3, v0
	s_movk_i32 s5, 0x198
	s_mov_b32 s1, 0
.LBB46_435:                             ; =>This Inner Loop Header: Depth=1
	scratch_load_b64 v[103:104], v101, off
	v_dual_mov_b32 v105, s5 :: v_dual_add_nc_u32 v102, -1, v102
	v_add_nc_u32_e32 v101, 8, v101
	s_add_i32 s5, s5, 8
	ds_load_b64 v[105:106], v105
	v_cmp_eq_u32_e32 vcc_lo, 0, v102
	s_or_b32 s1, vcc_lo, s1
	s_waitcnt vmcnt(0) lgkmcnt(0)
	v_fma_f64 v[95:96], v[103:104], v[105:106], v[95:96]
	s_and_not1_b32 exec_lo, exec_lo, s1
	s_cbranch_execnz .LBB46_435
; %bb.436:
	s_or_b32 exec_lo, exec_lo, s1
.LBB46_437:
	s_delay_alu instid0(SALU_CYCLE_1)
	s_or_b32 exec_lo, exec_lo, s4
	v_mov_b32_e32 v101, 0
	ds_load_b64 v[101:102], v101 offset:16
	s_waitcnt lgkmcnt(0)
	v_mul_f64 v[95:96], v[95:96], v[101:102]
	scratch_store_b64 off, v[95:96], off offset:16
.LBB46_438:
	s_or_b32 exec_lo, exec_lo, s2
	scratch_load_b64 v[95:96], off, off offset:8
	v_cmp_lt_u32_e64 s1, 1, v0
	s_waitcnt vmcnt(0)
	ds_store_b64 v98, v[95:96]
	s_waitcnt lgkmcnt(0)
	s_waitcnt_vscnt null, 0x0
	s_barrier
	buffer_gl0_inv
	s_and_saveexec_b32 s2, s1
	s_cbranch_execz .LBB46_448
; %bb.439:
	s_and_not1_b32 vcc_lo, exec_lo, s3
	s_cbranch_vccnz .LBB46_441
; %bb.440:
	scratch_load_b64 v[95:96], v99, off
	ds_load_b64 v[101:102], v98
	s_waitcnt vmcnt(0) lgkmcnt(0)
	v_mul_f64 v[95:96], v[95:96], v[101:102]
	s_cbranch_execz .LBB46_442
	s_branch .LBB46_443
.LBB46_441:
                                        ; implicit-def: $vgpr95_vgpr96
.LBB46_442:
	ds_load_b64 v[95:96], v98
.LBB46_443:
	s_and_saveexec_b32 s4, s0
	s_cbranch_execz .LBB46_447
; %bb.444:
	v_add_nc_u32_e32 v101, -2, v0
	s_movk_i32 s5, 0x190
	s_mov_b32 s0, 0
.LBB46_445:                             ; =>This Inner Loop Header: Depth=1
	scratch_load_b64 v[102:103], v100, off
	v_dual_mov_b32 v104, s5 :: v_dual_add_nc_u32 v101, -1, v101
	v_add_nc_u32_e32 v100, 8, v100
	s_add_i32 s5, s5, 8
	ds_load_b64 v[104:105], v104
	v_cmp_eq_u32_e32 vcc_lo, 0, v101
	s_or_b32 s0, vcc_lo, s0
	s_waitcnt vmcnt(0) lgkmcnt(0)
	v_fma_f64 v[95:96], v[102:103], v[104:105], v[95:96]
	s_and_not1_b32 exec_lo, exec_lo, s0
	s_cbranch_execnz .LBB46_445
; %bb.446:
	s_or_b32 exec_lo, exec_lo, s0
.LBB46_447:
	s_delay_alu instid0(SALU_CYCLE_1)
	s_or_b32 exec_lo, exec_lo, s4
	v_mov_b32_e32 v100, 0
	ds_load_b64 v[100:101], v100 offset:8
	s_waitcnt lgkmcnt(0)
	v_mul_f64 v[95:96], v[95:96], v[100:101]
	scratch_store_b64 off, v[95:96], off offset:8
.LBB46_448:
	s_or_b32 exec_lo, exec_lo, s2
	scratch_load_b64 v[95:96], off, off
	s_mov_b32 s0, 0
	s_mov_b32 s2, exec_lo
	s_waitcnt vmcnt(0)
	ds_store_b64 v98, v[95:96]
	s_waitcnt lgkmcnt(0)
	s_waitcnt_vscnt null, 0x0
	s_barrier
	buffer_gl0_inv
	v_cmpx_ne_u32_e32 0, v0
	s_cbranch_execz .LBB46_458
; %bb.449:
	s_and_not1_b32 vcc_lo, exec_lo, s3
	s_cbranch_vccnz .LBB46_451
; %bb.450:
	scratch_load_b64 v[95:96], v99, off
	ds_load_b64 v[100:101], v98
	s_waitcnt vmcnt(0) lgkmcnt(0)
	v_mul_f64 v[95:96], v[95:96], v[100:101]
	s_cbranch_execz .LBB46_452
	s_branch .LBB46_453
.LBB46_451:
                                        ; implicit-def: $vgpr95_vgpr96
.LBB46_452:
	ds_load_b64 v[95:96], v98
.LBB46_453:
	s_and_saveexec_b32 s4, s1
	s_cbranch_execz .LBB46_457
; %bb.454:
	v_or_b32_e64 v100, 0, 8
	v_add_nc_u32_e32 v101, -1, v0
	s_movk_i32 s5, 0x188
	s_mov_b32 s1, 0
.LBB46_455:                             ; =>This Inner Loop Header: Depth=1
	scratch_load_b64 v[102:103], v100, off
	v_dual_mov_b32 v104, s5 :: v_dual_add_nc_u32 v101, -1, v101
	v_add_nc_u32_e32 v100, 8, v100
	s_add_i32 s5, s5, 8
	ds_load_b64 v[104:105], v104
	v_cmp_eq_u32_e32 vcc_lo, 0, v101
	s_or_b32 s1, vcc_lo, s1
	s_waitcnt vmcnt(0) lgkmcnt(0)
	v_fma_f64 v[95:96], v[102:103], v[104:105], v[95:96]
	s_and_not1_b32 exec_lo, exec_lo, s1
	s_cbranch_execnz .LBB46_455
; %bb.456:
	s_or_b32 exec_lo, exec_lo, s1
.LBB46_457:
	s_delay_alu instid0(SALU_CYCLE_1)
	s_or_b32 exec_lo, exec_lo, s4
	v_mov_b32_e32 v100, 0
	ds_load_b64 v[100:101], v100
	s_waitcnt lgkmcnt(0)
	v_mul_f64 v[95:96], v[95:96], v[100:101]
	scratch_store_b64 off, v[95:96], off
.LBB46_458:
	s_or_b32 exec_lo, exec_lo, s2
.LBB46_459:
	s_delay_alu instid0(SALU_CYCLE_1)
	s_and_b32 vcc_lo, exec_lo, s0
	s_cbranch_vccz .LBB46_915
; %bb.460:
	scratch_load_b64 v[95:96], off, off offset:8
	v_cmp_eq_u32_e64 s0, 0, v0
	s_waitcnt vmcnt(0)
	ds_store_b64 v98, v[95:96]
	s_waitcnt lgkmcnt(0)
	s_waitcnt_vscnt null, 0x0
	s_barrier
	buffer_gl0_inv
	s_and_saveexec_b32 s1, s0
	s_cbranch_execz .LBB46_466
; %bb.461:
	s_and_b32 vcc_lo, exec_lo, s3
	s_cbranch_vccz .LBB46_463
; %bb.462:
	scratch_load_b64 v[95:96], v99, off
	ds_load_b64 v[100:101], v98
	s_waitcnt vmcnt(0) lgkmcnt(0)
	v_mul_f64 v[95:96], v[95:96], v[100:101]
	s_cbranch_execz .LBB46_464
	s_branch .LBB46_465
.LBB46_463:
                                        ; implicit-def: $vgpr95_vgpr96
.LBB46_464:
	ds_load_b64 v[95:96], v98
.LBB46_465:
	v_mov_b32_e32 v100, 0
	ds_load_b64 v[100:101], v100 offset:8
	s_waitcnt lgkmcnt(0)
	v_mul_f64 v[95:96], v[95:96], v[100:101]
	scratch_store_b64 off, v[95:96], off offset:8
.LBB46_466:
	s_or_b32 exec_lo, exec_lo, s1
	scratch_load_b64 v[95:96], off, off offset:16
	v_cndmask_b32_e64 v100, 0, 1, s3
	s_mov_b32 s1, exec_lo
	s_waitcnt vmcnt(0)
	ds_store_b64 v98, v[95:96]
	s_waitcnt lgkmcnt(0)
	s_waitcnt_vscnt null, 0x0
	s_barrier
	buffer_gl0_inv
	v_cmpx_gt_u32_e32 2, v0
	s_cbranch_execz .LBB46_474
; %bb.467:
	s_and_not1_b32 vcc_lo, exec_lo, s3
	s_cbranch_vccnz .LBB46_469
; %bb.468:
	scratch_load_b64 v[95:96], v99, off
	ds_load_b64 v[101:102], v98
	s_waitcnt vmcnt(0) lgkmcnt(0)
	v_mul_f64 v[95:96], v[95:96], v[101:102]
	s_cbranch_execz .LBB46_470
	s_branch .LBB46_471
.LBB46_469:
                                        ; implicit-def: $vgpr95_vgpr96
.LBB46_470:
	ds_load_b64 v[95:96], v98
.LBB46_471:
	s_and_saveexec_b32 s2, s0
	s_cbranch_execz .LBB46_473
; %bb.472:
	scratch_load_b64 v[101:102], v99, off offset:8
	ds_load_b64 v[103:104], v98 offset:8
	s_waitcnt vmcnt(0) lgkmcnt(0)
	v_fma_f64 v[95:96], v[101:102], v[103:104], v[95:96]
.LBB46_473:
	s_or_b32 exec_lo, exec_lo, s2
	v_mov_b32_e32 v101, 0
	ds_load_b64 v[101:102], v101 offset:16
	s_waitcnt lgkmcnt(0)
	v_mul_f64 v[95:96], v[95:96], v[101:102]
	scratch_store_b64 off, v[95:96], off offset:16
.LBB46_474:
	s_or_b32 exec_lo, exec_lo, s1
	scratch_load_b64 v[95:96], off, off offset:24
	s_mov_b32 s1, exec_lo
	s_waitcnt vmcnt(0)
	ds_store_b64 v98, v[95:96]
	s_waitcnt lgkmcnt(0)
	s_waitcnt_vscnt null, 0x0
	s_barrier
	buffer_gl0_inv
	v_cmpx_gt_u32_e32 3, v0
	s_cbranch_execz .LBB46_484
; %bb.475:
	v_cmp_ne_u32_e32 vcc_lo, 1, v100
	s_cbranch_vccnz .LBB46_477
; %bb.476:
	scratch_load_b64 v[95:96], v99, off
	ds_load_b64 v[101:102], v98
	s_waitcnt vmcnt(0) lgkmcnt(0)
	v_mul_f64 v[95:96], v[95:96], v[101:102]
	s_cbranch_execz .LBB46_478
	s_branch .LBB46_479
.LBB46_477:
                                        ; implicit-def: $vgpr95_vgpr96
.LBB46_478:
	ds_load_b64 v[95:96], v98
.LBB46_479:
	s_mov_b32 s2, exec_lo
	v_cmpx_ne_u32_e32 2, v0
	s_cbranch_execz .LBB46_483
; %bb.480:
	scratch_load_b64 v[101:102], v99, off offset:8
	ds_load_b64 v[103:104], v98 offset:8
	s_waitcnt vmcnt(0) lgkmcnt(0)
	v_fma_f64 v[95:96], v[101:102], v[103:104], v[95:96]
	s_and_saveexec_b32 s3, s0
	s_cbranch_execz .LBB46_482
; %bb.481:
	scratch_load_b64 v[101:102], off, off offset:16
	v_mov_b32_e32 v103, 0
	ds_load_b64 v[103:104], v103 offset:400
	s_waitcnt vmcnt(0) lgkmcnt(0)
	v_fma_f64 v[95:96], v[101:102], v[103:104], v[95:96]
.LBB46_482:
	s_or_b32 exec_lo, exec_lo, s3
.LBB46_483:
	s_delay_alu instid0(SALU_CYCLE_1)
	s_or_b32 exec_lo, exec_lo, s2
	v_mov_b32_e32 v101, 0
	ds_load_b64 v[101:102], v101 offset:24
	s_waitcnt lgkmcnt(0)
	v_mul_f64 v[95:96], v[95:96], v[101:102]
	scratch_store_b64 off, v[95:96], off offset:24
.LBB46_484:
	s_or_b32 exec_lo, exec_lo, s1
	scratch_load_b64 v[95:96], off, off offset:32
	s_mov_b32 s0, exec_lo
	s_waitcnt vmcnt(0)
	ds_store_b64 v98, v[95:96]
	s_waitcnt lgkmcnt(0)
	s_waitcnt_vscnt null, 0x0
	s_barrier
	buffer_gl0_inv
	v_cmpx_gt_u32_e32 4, v0
	s_cbranch_execz .LBB46_494
; %bb.485:
	v_cmp_ne_u32_e32 vcc_lo, 1, v100
	s_cbranch_vccnz .LBB46_487
; %bb.486:
	scratch_load_b64 v[95:96], v99, off
	ds_load_b64 v[101:102], v98
	s_waitcnt vmcnt(0) lgkmcnt(0)
	v_mul_f64 v[95:96], v[95:96], v[101:102]
	s_cbranch_execz .LBB46_488
	s_branch .LBB46_489
.LBB46_487:
                                        ; implicit-def: $vgpr95_vgpr96
.LBB46_488:
	ds_load_b64 v[95:96], v98
.LBB46_489:
	s_mov_b32 s1, exec_lo
	v_cmpx_ne_u32_e32 3, v0
	s_cbranch_execz .LBB46_493
; %bb.490:
	v_add_nc_u32_e32 v101, 0x188, v97
	v_add3_u32 v102, 0, v97, 8
	v_mov_b32_e32 v103, v0
	s_mov_b32 s2, 0
.LBB46_491:                             ; =>This Inner Loop Header: Depth=1
	scratch_load_b64 v[104:105], v102, off
	ds_load_b64 v[106:107], v101
	v_add_nc_u32_e32 v103, 1, v103
	v_add_nc_u32_e32 v101, 8, v101
	v_add_nc_u32_e32 v102, 8, v102
	s_delay_alu instid0(VALU_DEP_3)
	v_cmp_lt_u32_e32 vcc_lo, 2, v103
	s_or_b32 s2, vcc_lo, s2
	s_waitcnt vmcnt(0) lgkmcnt(0)
	v_fma_f64 v[95:96], v[104:105], v[106:107], v[95:96]
	s_and_not1_b32 exec_lo, exec_lo, s2
	s_cbranch_execnz .LBB46_491
; %bb.492:
	s_or_b32 exec_lo, exec_lo, s2
.LBB46_493:
	s_delay_alu instid0(SALU_CYCLE_1)
	s_or_b32 exec_lo, exec_lo, s1
	v_mov_b32_e32 v101, 0
	ds_load_b64 v[101:102], v101 offset:32
	s_waitcnt lgkmcnt(0)
	v_mul_f64 v[95:96], v[95:96], v[101:102]
	scratch_store_b64 off, v[95:96], off offset:32
.LBB46_494:
	s_or_b32 exec_lo, exec_lo, s0
	scratch_load_b64 v[95:96], off, off offset:40
	s_mov_b32 s0, exec_lo
	s_waitcnt vmcnt(0)
	ds_store_b64 v98, v[95:96]
	s_waitcnt lgkmcnt(0)
	s_waitcnt_vscnt null, 0x0
	s_barrier
	buffer_gl0_inv
	v_cmpx_gt_u32_e32 5, v0
	s_cbranch_execz .LBB46_504
; %bb.495:
	v_cmp_ne_u32_e32 vcc_lo, 1, v100
	s_cbranch_vccnz .LBB46_497
; %bb.496:
	scratch_load_b64 v[95:96], v99, off
	ds_load_b64 v[101:102], v98
	s_waitcnt vmcnt(0) lgkmcnt(0)
	v_mul_f64 v[95:96], v[95:96], v[101:102]
	s_cbranch_execz .LBB46_498
	s_branch .LBB46_499
.LBB46_497:
                                        ; implicit-def: $vgpr95_vgpr96
.LBB46_498:
	ds_load_b64 v[95:96], v98
.LBB46_499:
	s_mov_b32 s1, exec_lo
	v_cmpx_ne_u32_e32 4, v0
	s_cbranch_execz .LBB46_503
; %bb.500:
	v_add_nc_u32_e32 v101, 0x188, v97
	v_add3_u32 v102, 0, v97, 8
	v_mov_b32_e32 v103, v0
	s_mov_b32 s2, 0
.LBB46_501:                             ; =>This Inner Loop Header: Depth=1
	scratch_load_b64 v[104:105], v102, off
	ds_load_b64 v[106:107], v101
	v_add_nc_u32_e32 v103, 1, v103
	v_add_nc_u32_e32 v101, 8, v101
	v_add_nc_u32_e32 v102, 8, v102
	s_delay_alu instid0(VALU_DEP_3)
	v_cmp_lt_u32_e32 vcc_lo, 3, v103
	s_or_b32 s2, vcc_lo, s2
	s_waitcnt vmcnt(0) lgkmcnt(0)
	v_fma_f64 v[95:96], v[104:105], v[106:107], v[95:96]
	s_and_not1_b32 exec_lo, exec_lo, s2
	s_cbranch_execnz .LBB46_501
; %bb.502:
	s_or_b32 exec_lo, exec_lo, s2
.LBB46_503:
	s_delay_alu instid0(SALU_CYCLE_1)
	s_or_b32 exec_lo, exec_lo, s1
	v_mov_b32_e32 v101, 0
	ds_load_b64 v[101:102], v101 offset:40
	s_waitcnt lgkmcnt(0)
	v_mul_f64 v[95:96], v[95:96], v[101:102]
	scratch_store_b64 off, v[95:96], off offset:40
.LBB46_504:
	;; [unrolled: 58-line block ×41, first 2 shown]
	s_or_b32 exec_lo, exec_lo, s0
	scratch_load_b64 v[95:96], off, off offset:360
	v_cmp_gt_u32_e64 s0, 45, v0
	s_waitcnt vmcnt(0)
	ds_store_b64 v98, v[95:96]
	s_waitcnt lgkmcnt(0)
	s_waitcnt_vscnt null, 0x0
	s_barrier
	buffer_gl0_inv
	s_and_saveexec_b32 s1, s0
	s_cbranch_execz .LBB46_904
; %bb.895:
	v_cmp_ne_u32_e32 vcc_lo, 1, v100
	s_cbranch_vccnz .LBB46_897
; %bb.896:
	scratch_load_b64 v[95:96], v99, off
	ds_load_b64 v[101:102], v98
	s_waitcnt vmcnt(0) lgkmcnt(0)
	v_mul_f64 v[95:96], v[95:96], v[101:102]
	s_cbranch_execz .LBB46_898
	s_branch .LBB46_899
.LBB46_897:
                                        ; implicit-def: $vgpr95_vgpr96
.LBB46_898:
	ds_load_b64 v[95:96], v98
.LBB46_899:
	s_mov_b32 s2, exec_lo
	v_cmpx_ne_u32_e32 44, v0
	s_cbranch_execz .LBB46_903
; %bb.900:
	v_add_nc_u32_e32 v101, 0x188, v97
	v_add3_u32 v102, 0, v97, 8
	v_mov_b32_e32 v103, v0
	s_mov_b32 s3, 0
.LBB46_901:                             ; =>This Inner Loop Header: Depth=1
	scratch_load_b64 v[104:105], v102, off
	ds_load_b64 v[106:107], v101
	v_add_nc_u32_e32 v103, 1, v103
	v_add_nc_u32_e32 v101, 8, v101
	;; [unrolled: 1-line block ×3, first 2 shown]
	s_delay_alu instid0(VALU_DEP_3)
	v_cmp_lt_u32_e32 vcc_lo, 43, v103
	s_or_b32 s3, vcc_lo, s3
	s_waitcnt vmcnt(0) lgkmcnt(0)
	v_fma_f64 v[95:96], v[104:105], v[106:107], v[95:96]
	s_and_not1_b32 exec_lo, exec_lo, s3
	s_cbranch_execnz .LBB46_901
; %bb.902:
	s_or_b32 exec_lo, exec_lo, s3
.LBB46_903:
	s_delay_alu instid0(SALU_CYCLE_1)
	s_or_b32 exec_lo, exec_lo, s2
	v_mov_b32_e32 v101, 0
	ds_load_b64 v[101:102], v101 offset:360
	s_waitcnt lgkmcnt(0)
	v_mul_f64 v[95:96], v[95:96], v[101:102]
	scratch_store_b64 off, v[95:96], off offset:360
.LBB46_904:
	s_or_b32 exec_lo, exec_lo, s1
	scratch_load_b64 v[95:96], off, off offset:368
	s_mov_b32 s1, exec_lo
	s_waitcnt vmcnt(0)
	ds_store_b64 v98, v[95:96]
	s_waitcnt lgkmcnt(0)
	s_waitcnt_vscnt null, 0x0
	s_barrier
	buffer_gl0_inv
	v_cmpx_ne_u32_e32 46, v0
	s_cbranch_execz .LBB46_914
; %bb.905:
	v_cmp_ne_u32_e32 vcc_lo, 1, v100
	s_cbranch_vccnz .LBB46_907
; %bb.906:
	scratch_load_b64 v[95:96], v99, off
	ds_load_b64 v[99:100], v98
	s_waitcnt vmcnt(0) lgkmcnt(0)
	v_mul_f64 v[95:96], v[95:96], v[99:100]
	s_cbranch_execz .LBB46_908
	s_branch .LBB46_909
.LBB46_907:
                                        ; implicit-def: $vgpr95_vgpr96
.LBB46_908:
	ds_load_b64 v[95:96], v98
.LBB46_909:
	s_and_saveexec_b32 s2, s0
	s_cbranch_execz .LBB46_913
; %bb.910:
	v_add_nc_u32_e32 v98, 0x188, v97
	v_add3_u32 v97, 0, v97, 8
	s_mov_b32 s0, 0
.LBB46_911:                             ; =>This Inner Loop Header: Depth=1
	scratch_load_b64 v[99:100], v97, off
	ds_load_b64 v[101:102], v98
	v_add_nc_u32_e32 v0, 1, v0
	v_add_nc_u32_e32 v98, 8, v98
	;; [unrolled: 1-line block ×3, first 2 shown]
	s_delay_alu instid0(VALU_DEP_3)
	v_cmp_lt_u32_e32 vcc_lo, 44, v0
	s_or_b32 s0, vcc_lo, s0
	s_waitcnt vmcnt(0) lgkmcnt(0)
	v_fma_f64 v[95:96], v[99:100], v[101:102], v[95:96]
	s_and_not1_b32 exec_lo, exec_lo, s0
	s_cbranch_execnz .LBB46_911
; %bb.912:
	s_or_b32 exec_lo, exec_lo, s0
.LBB46_913:
	s_delay_alu instid0(SALU_CYCLE_1)
	s_or_b32 exec_lo, exec_lo, s2
	v_mov_b32_e32 v0, 0
	ds_load_b64 v[97:98], v0 offset:368
	s_waitcnt lgkmcnt(0)
	v_mul_f64 v[95:96], v[95:96], v[97:98]
	scratch_store_b64 off, v[95:96], off offset:368
.LBB46_914:
	s_or_b32 exec_lo, exec_lo, s1
.LBB46_915:
	s_clause 0xc
	scratch_load_b128 v[95:98], off, off
	scratch_load_b128 v[99:102], off, off offset:16
	scratch_load_b128 v[103:106], off, off offset:32
	;; [unrolled: 1-line block ×12, first 2 shown]
	s_waitcnt vmcnt(12)
	s_clause 0x1
	global_store_b64 v[21:22], v[95:96], off
	global_store_b64 v[11:12], v[97:98], off
	s_waitcnt vmcnt(11)
	s_clause 0x1
	global_store_b64 v[7:8], v[99:100], off
	global_store_b64 v[9:10], v[101:102], off
	scratch_load_b128 v[7:10], off, off offset:224
	s_waitcnt vmcnt(11)
	s_clause 0x1
	global_store_b64 v[3:4], v[103:104], off
	global_store_b64 v[1:2], v[105:106], off
	s_waitcnt vmcnt(10)
	s_clause 0x1
	global_store_b64 v[29:30], v[107:108], off
	global_store_b64 v[27:28], v[109:110], off
	;; [unrolled: 4-line block ×4, first 2 shown]
	s_clause 0x9
	scratch_load_b128 v[95:98], off, off offset:192
	scratch_load_b128 v[99:102], off, off offset:240
	;; [unrolled: 1-line block ×9, first 2 shown]
	scratch_load_b64 v[11:12], off, off offset:368
	s_waitcnt vmcnt(17)
	s_clause 0x1
	global_store_b64 v[5:6], v[119:120], off
	global_store_b64 v[13:14], v[121:122], off
	s_waitcnt vmcnt(16)
	s_clause 0x1
	global_store_b64 v[19:20], v[123:124], off
	global_store_b64 v[31:32], v[125:126], off
	;; [unrolled: 4-line block ×7, first 2 shown]
	global_store_b64 v[55:56], v[143:144], off
	global_store_b64 v[57:58], v[145:146], off
	;; [unrolled: 1-line block ×4, first 2 shown]
	s_waitcnt vmcnt(8)
	s_clause 0x1
	global_store_b64 v[63:64], v[99:100], off
	global_store_b64 v[65:66], v[101:102], off
	s_waitcnt vmcnt(7)
	s_clause 0x1
	global_store_b64 v[67:68], v[0:1], off
	global_store_b64 v[69:70], v[2:3], off
	;; [unrolled: 4-line block ×8, first 2 shown]
	s_waitcnt vmcnt(0)
	global_store_b64 v[37:38], v[11:12], off
.LBB46_916:
	s_endpgm
	.section	.rodata,"a",@progbits
	.p2align	6, 0x0
	.amdhsa_kernel _ZN9rocsolver6v33100L18trti2_kernel_smallILi47EdPdEEv13rocblas_fill_17rocblas_diagonal_T1_iil
		.amdhsa_group_segment_fixed_size 760
		.amdhsa_private_segment_fixed_size 384
		.amdhsa_kernarg_size 32
		.amdhsa_user_sgpr_count 15
		.amdhsa_user_sgpr_dispatch_ptr 0
		.amdhsa_user_sgpr_queue_ptr 0
		.amdhsa_user_sgpr_kernarg_segment_ptr 1
		.amdhsa_user_sgpr_dispatch_id 0
		.amdhsa_user_sgpr_private_segment_size 0
		.amdhsa_wavefront_size32 1
		.amdhsa_uses_dynamic_stack 0
		.amdhsa_enable_private_segment 1
		.amdhsa_system_sgpr_workgroup_id_x 1
		.amdhsa_system_sgpr_workgroup_id_y 0
		.amdhsa_system_sgpr_workgroup_id_z 0
		.amdhsa_system_sgpr_workgroup_info 0
		.amdhsa_system_vgpr_workitem_id 0
		.amdhsa_next_free_vgpr 148
		.amdhsa_next_free_sgpr 21
		.amdhsa_reserve_vcc 1
		.amdhsa_float_round_mode_32 0
		.amdhsa_float_round_mode_16_64 0
		.amdhsa_float_denorm_mode_32 3
		.amdhsa_float_denorm_mode_16_64 3
		.amdhsa_dx10_clamp 1
		.amdhsa_ieee_mode 1
		.amdhsa_fp16_overflow 0
		.amdhsa_workgroup_processor_mode 1
		.amdhsa_memory_ordered 1
		.amdhsa_forward_progress 0
		.amdhsa_shared_vgpr_count 0
		.amdhsa_exception_fp_ieee_invalid_op 0
		.amdhsa_exception_fp_denorm_src 0
		.amdhsa_exception_fp_ieee_div_zero 0
		.amdhsa_exception_fp_ieee_overflow 0
		.amdhsa_exception_fp_ieee_underflow 0
		.amdhsa_exception_fp_ieee_inexact 0
		.amdhsa_exception_int_div_zero 0
	.end_amdhsa_kernel
	.section	.text._ZN9rocsolver6v33100L18trti2_kernel_smallILi47EdPdEEv13rocblas_fill_17rocblas_diagonal_T1_iil,"axG",@progbits,_ZN9rocsolver6v33100L18trti2_kernel_smallILi47EdPdEEv13rocblas_fill_17rocblas_diagonal_T1_iil,comdat
.Lfunc_end46:
	.size	_ZN9rocsolver6v33100L18trti2_kernel_smallILi47EdPdEEv13rocblas_fill_17rocblas_diagonal_T1_iil, .Lfunc_end46-_ZN9rocsolver6v33100L18trti2_kernel_smallILi47EdPdEEv13rocblas_fill_17rocblas_diagonal_T1_iil
                                        ; -- End function
	.section	.AMDGPU.csdata,"",@progbits
; Kernel info:
; codeLenInByte = 25664
; NumSgprs: 23
; NumVgprs: 148
; ScratchSize: 384
; MemoryBound: 0
; FloatMode: 240
; IeeeMode: 1
; LDSByteSize: 760 bytes/workgroup (compile time only)
; SGPRBlocks: 2
; VGPRBlocks: 18
; NumSGPRsForWavesPerEU: 23
; NumVGPRsForWavesPerEU: 148
; Occupancy: 9
; WaveLimiterHint : 0
; COMPUTE_PGM_RSRC2:SCRATCH_EN: 1
; COMPUTE_PGM_RSRC2:USER_SGPR: 15
; COMPUTE_PGM_RSRC2:TRAP_HANDLER: 0
; COMPUTE_PGM_RSRC2:TGID_X_EN: 1
; COMPUTE_PGM_RSRC2:TGID_Y_EN: 0
; COMPUTE_PGM_RSRC2:TGID_Z_EN: 0
; COMPUTE_PGM_RSRC2:TIDIG_COMP_CNT: 0
	.section	.text._ZN9rocsolver6v33100L18trti2_kernel_smallILi48EdPdEEv13rocblas_fill_17rocblas_diagonal_T1_iil,"axG",@progbits,_ZN9rocsolver6v33100L18trti2_kernel_smallILi48EdPdEEv13rocblas_fill_17rocblas_diagonal_T1_iil,comdat
	.globl	_ZN9rocsolver6v33100L18trti2_kernel_smallILi48EdPdEEv13rocblas_fill_17rocblas_diagonal_T1_iil ; -- Begin function _ZN9rocsolver6v33100L18trti2_kernel_smallILi48EdPdEEv13rocblas_fill_17rocblas_diagonal_T1_iil
	.p2align	8
	.type	_ZN9rocsolver6v33100L18trti2_kernel_smallILi48EdPdEEv13rocblas_fill_17rocblas_diagonal_T1_iil,@function
_ZN9rocsolver6v33100L18trti2_kernel_smallILi48EdPdEEv13rocblas_fill_17rocblas_diagonal_T1_iil: ; @_ZN9rocsolver6v33100L18trti2_kernel_smallILi48EdPdEEv13rocblas_fill_17rocblas_diagonal_T1_iil
; %bb.0:
	s_mov_b32 s2, exec_lo
	v_cmpx_gt_u32_e32 48, v0
	s_cbranch_execz .LBB47_936
; %bb.1:
	s_load_b256 s[0:7], s[0:1], 0x0
	s_ashr_i32 s8, s15, 31
	v_lshlrev_b32_e32 v99, 3, v0
	s_waitcnt lgkmcnt(0)
	s_mul_i32 s7, s15, s7
	s_mul_hi_u32 s10, s15, s6
	s_mul_i32 s8, s8, s6
	s_add_i32 s7, s10, s7
	s_mul_i32 s6, s15, s6
	s_add_i32 s7, s7, s8
	v_add3_u32 v1, s5, s5, v0
	s_lshl_b64 s[6:7], s[6:7], 3
	s_ashr_i32 s9, s4, 31
	s_mov_b32 s8, s4
	s_add_u32 s4, s2, s6
	s_addc_u32 s6, s3, s7
	s_lshl_b64 s[2:3], s[8:9], 3
	v_add_nc_u32_e32 v3, s5, v1
	s_add_u32 s2, s4, s2
	s_addc_u32 s3, s6, s3
	v_add_co_u32 v25, s4, s2, v99
	s_mov_b32 s10, s5
	s_ashr_i32 s11, s5, 31
	v_add_co_ci_u32_e64 v26, null, s3, 0, s4
	v_ashrrev_i32_e32 v2, 31, v1
	s_lshl_b64 s[6:7], s[10:11], 3
	v_add_nc_u32_e32 v5, s5, v3
	v_add_co_u32 v15, vcc_lo, v25, s6
	v_ashrrev_i32_e32 v4, 31, v3
	v_add_co_ci_u32_e32 v16, vcc_lo, s7, v26, vcc_lo
	v_lshlrev_b64 v[1:2], 3, v[1:2]
	v_ashrrev_i32_e32 v6, 31, v5
	v_add_nc_u32_e32 v7, s5, v5
	v_lshlrev_b64 v[3:4], 3, v[3:4]
	s_clause 0x1
	global_load_b64 v[43:44], v99, s[2:3]
	global_load_b64 v[45:46], v[15:16], off
	s_cmpk_lg_i32 s1, 0x84
	v_add_co_u32 v13, vcc_lo, s2, v1
	v_lshlrev_b64 v[5:6], 3, v[5:6]
	v_add_nc_u32_e32 v1, s5, v7
	v_add_co_ci_u32_e32 v14, vcc_lo, s3, v2, vcc_lo
	v_ashrrev_i32_e32 v8, 31, v7
	v_add_co_u32 v17, vcc_lo, s2, v3
	v_add_co_ci_u32_e32 v18, vcc_lo, s3, v4, vcc_lo
	v_add_co_u32 v9, vcc_lo, s2, v5
	v_add_nc_u32_e32 v5, s5, v1
	v_lshlrev_b64 v[3:4], 3, v[7:8]
	v_ashrrev_i32_e32 v2, 31, v1
	v_add_co_ci_u32_e32 v10, vcc_lo, s3, v6, vcc_lo
	s_delay_alu instid0(VALU_DEP_4)
	v_add_nc_u32_e32 v7, s5, v5
	v_ashrrev_i32_e32 v6, 31, v5
	v_add_co_u32 v3, vcc_lo, s2, v3
	v_add_co_ci_u32_e32 v4, vcc_lo, s3, v4, vcc_lo
	v_lshlrev_b64 v[1:2], 3, v[1:2]
	v_add_nc_u32_e32 v19, s5, v7
	s_clause 0x3
	global_load_b64 v[51:52], v[13:14], off
	global_load_b64 v[53:54], v[17:18], off
	;; [unrolled: 1-line block ×4, first 2 shown]
	v_ashrrev_i32_e32 v8, 31, v7
	v_lshlrev_b64 v[5:6], 3, v[5:6]
	v_add_co_u32 v11, vcc_lo, s2, v1
	v_ashrrev_i32_e32 v20, 31, v19
	v_add_co_ci_u32_e32 v12, vcc_lo, s3, v2, vcc_lo
	v_lshlrev_b64 v[1:2], 3, v[7:8]
	v_add_co_u32 v5, vcc_lo, s2, v5
	s_delay_alu instid0(VALU_DEP_4) | instskip(SKIP_1) | instid1(VALU_DEP_4)
	v_lshlrev_b64 v[20:21], 3, v[19:20]
	v_add_co_ci_u32_e32 v6, vcc_lo, s3, v6, vcc_lo
	v_add_co_u32 v7, vcc_lo, s2, v1
	v_add_co_ci_u32_e32 v8, vcc_lo, s3, v2, vcc_lo
	s_delay_alu instid0(VALU_DEP_4)
	v_add_co_u32 v1, vcc_lo, s2, v20
	v_add_co_ci_u32_e32 v2, vcc_lo, s3, v21, vcc_lo
	s_clause 0x3
	global_load_b64 v[59:60], v[11:12], off
	global_load_b64 v[61:62], v[5:6], off
	;; [unrolled: 1-line block ×4, first 2 shown]
	v_add_nc_u32_e32 v19, s5, v19
	s_delay_alu instid0(VALU_DEP_1) | instskip(SKIP_1) | instid1(VALU_DEP_2)
	v_add_nc_u32_e32 v21, s5, v19
	v_ashrrev_i32_e32 v20, 31, v19
	v_add_nc_u32_e32 v23, s5, v21
	v_ashrrev_i32_e32 v22, 31, v21
	s_delay_alu instid0(VALU_DEP_3) | instskip(NEXT) | instid1(VALU_DEP_3)
	v_lshlrev_b64 v[19:20], 3, v[19:20]
	v_add_nc_u32_e32 v29, s5, v23
	v_ashrrev_i32_e32 v24, 31, v23
	s_delay_alu instid0(VALU_DEP_4) | instskip(NEXT) | instid1(VALU_DEP_4)
	v_lshlrev_b64 v[21:22], 3, v[21:22]
	v_add_co_u32 v33, vcc_lo, s2, v19
	s_delay_alu instid0(VALU_DEP_4) | instskip(SKIP_3) | instid1(VALU_DEP_4)
	v_add_nc_u32_e32 v31, s5, v29
	v_add_co_ci_u32_e32 v34, vcc_lo, s3, v20, vcc_lo
	v_lshlrev_b64 v[19:20], 3, v[23:24]
	v_ashrrev_i32_e32 v30, 31, v29
	v_add_nc_u32_e32 v35, s5, v31
	v_add_co_u32 v27, vcc_lo, s2, v21
	v_ashrrev_i32_e32 v32, 31, v31
	v_add_co_ci_u32_e32 v28, vcc_lo, s3, v22, vcc_lo
	s_delay_alu instid0(VALU_DEP_4) | instskip(SKIP_3) | instid1(VALU_DEP_4)
	v_add_nc_u32_e32 v37, s5, v35
	v_lshlrev_b64 v[21:22], 3, v[29:30]
	v_add_co_u32 v23, vcc_lo, s2, v19
	v_ashrrev_i32_e32 v36, 31, v35
	v_add_nc_u32_e32 v39, s5, v37
	v_add_co_ci_u32_e32 v24, vcc_lo, s3, v20, vcc_lo
	v_lshlrev_b64 v[19:20], 3, v[31:32]
	v_add_co_u32 v21, vcc_lo, s2, v21
	s_delay_alu instid0(VALU_DEP_4) | instskip(SKIP_3) | instid1(VALU_DEP_4)
	v_add_nc_u32_e32 v41, s5, v39
	v_lshlrev_b64 v[29:30], 3, v[35:36]
	v_add_co_ci_u32_e32 v22, vcc_lo, s3, v22, vcc_lo
	v_ashrrev_i32_e32 v38, 31, v37
	v_add_nc_u32_e32 v47, s5, v41
	v_add_co_u32 v19, vcc_lo, s2, v19
	v_add_co_ci_u32_e32 v20, vcc_lo, s3, v20, vcc_lo
	s_delay_alu instid0(VALU_DEP_3) | instskip(SKIP_3) | instid1(VALU_DEP_4)
	v_add_nc_u32_e32 v49, s5, v47
	v_ashrrev_i32_e32 v40, 31, v39
	v_add_co_u32 v31, vcc_lo, s2, v29
	v_lshlrev_b64 v[35:36], 3, v[37:38]
	v_add_nc_u32_e32 v87, s5, v49
	v_ashrrev_i32_e32 v42, 31, v41
	s_clause 0x2
	global_load_b64 v[67:68], v[33:34], off
	global_load_b64 v[69:70], v[27:28], off
	;; [unrolled: 1-line block ×3, first 2 shown]
	v_lshlrev_b64 v[37:38], 3, v[39:40]
	v_add_co_ci_u32_e32 v32, vcc_lo, s3, v30, vcc_lo
	v_add_nc_u32_e32 v89, s5, v87
	v_add_co_u32 v35, vcc_lo, s2, v35
	v_lshlrev_b64 v[39:40], 3, v[41:42]
	v_ashrrev_i32_e32 v48, 31, v47
	s_delay_alu instid0(VALU_DEP_4) | instskip(SKIP_2) | instid1(VALU_DEP_3)
	v_add_nc_u32_e32 v91, s5, v89
	v_add_co_ci_u32_e32 v36, vcc_lo, s3, v36, vcc_lo
	v_add_co_u32 v37, vcc_lo, s2, v37
	v_add_nc_u32_e32 v95, s5, v91
	v_ashrrev_i32_e32 v50, 31, v49
	s_clause 0x2
	global_load_b64 v[73:74], v[21:22], off
	global_load_b64 v[75:76], v[19:20], off
	;; [unrolled: 1-line block ×3, first 2 shown]
	v_add_co_ci_u32_e32 v38, vcc_lo, s3, v38, vcc_lo
	v_add_nc_u32_e32 v97, s5, v95
	v_lshlrev_b64 v[41:42], 3, v[47:48]
	v_add_co_u32 v39, vcc_lo, s2, v39
	v_ashrrev_i32_e32 v88, 31, v87
	s_delay_alu instid0(VALU_DEP_4) | instskip(SKIP_3) | instid1(VALU_DEP_4)
	v_add_nc_u32_e32 v100, s5, v97
	v_add_co_ci_u32_e32 v40, vcc_lo, s3, v40, vcc_lo
	v_ashrrev_i32_e32 v90, 31, v89
	v_ashrrev_i32_e32 v92, 31, v91
	v_add_nc_u32_e32 v106, s5, v100
	global_load_b64 v[79:80], v[35:36], off
	v_ashrrev_i32_e32 v96, 31, v95
	v_lshlrev_b64 v[47:48], 3, v[89:90]
	v_ashrrev_i32_e32 v98, 31, v97
	v_add_nc_u32_e32 v112, s5, v106
	v_ashrrev_i32_e32 v107, 31, v106
	s_delay_alu instid0(VALU_DEP_2) | instskip(SKIP_1) | instid1(VALU_DEP_2)
	v_add_nc_u32_e32 v114, s5, v112
	v_ashrrev_i32_e32 v113, 31, v112
	v_add_nc_u32_e32 v116, s5, v114
	v_ashrrev_i32_e32 v115, 31, v114
	s_delay_alu instid0(VALU_DEP_2) | instskip(SKIP_1) | instid1(VALU_DEP_2)
	v_add_nc_u32_e32 v118, s5, v116
	;; [unrolled: 5-line block ×10, first 2 shown]
	v_ashrrev_i32_e32 v149, 31, v148
	v_ashrrev_i32_e32 v30, 31, v29
	s_delay_alu instid0(VALU_DEP_1) | instskip(NEXT) | instid1(VALU_DEP_1)
	v_lshlrev_b64 v[29:30], 3, v[29:30]
	v_add_co_u32 v29, vcc_lo, s2, v29
	s_delay_alu instid0(VALU_DEP_2)
	v_add_co_ci_u32_e32 v30, vcc_lo, s3, v30, vcc_lo
	v_add_co_u32 v41, vcc_lo, s2, v41
	v_add_co_ci_u32_e32 v42, vcc_lo, s3, v42, vcc_lo
	global_load_b64 v[102:103], v[29:30], off
	s_waitcnt vmcnt(16)
	scratch_store_b128 off, v[43:46], off
	v_lshlrev_b64 v[43:44], 3, v[49:50]
	v_lshlrev_b64 v[45:46], 3, v[87:88]
	s_clause 0x2
	global_load_b64 v[81:82], v[37:38], off
	global_load_b64 v[83:84], v[39:40], off
	;; [unrolled: 1-line block ×3, first 2 shown]
	v_lshlrev_b64 v[49:50], 3, v[91:92]
	v_add_co_u32 v43, vcc_lo, s2, v43
	v_add_co_ci_u32_e32 v44, vcc_lo, s3, v44, vcc_lo
	v_add_co_u32 v45, vcc_lo, s2, v45
	v_add_co_ci_u32_e32 v46, vcc_lo, s3, v46, vcc_lo
	;; [unrolled: 2-line block ×4, first 2 shown]
	global_load_b64 v[87:88], v[43:44], off
	s_waitcnt vmcnt(18)
	scratch_store_b128 off, v[51:54], off offset:16
	v_lshlrev_b64 v[51:52], 3, v[95:96]
	s_waitcnt vmcnt(16)
	scratch_store_b128 off, v[55:58], off offset:32
	s_clause 0x2
	global_load_b64 v[89:90], v[45:46], off
	global_load_b64 v[91:92], v[47:48], off
	;; [unrolled: 1-line block ×3, first 2 shown]
	v_lshlrev_b64 v[53:54], 3, v[97:98]
	v_mov_b32_e32 v97, 0
	v_ashrrev_i32_e32 v101, 31, v100
	v_add_co_u32 v51, vcc_lo, s2, v51
	v_add_co_ci_u32_e32 v52, vcc_lo, s3, v52, vcc_lo
	s_delay_alu instid0(VALU_DEP_3) | instskip(SKIP_3) | instid1(VALU_DEP_4)
	v_lshlrev_b64 v[55:56], 3, v[100:101]
	v_add_co_u32 v53, vcc_lo, s2, v53
	v_lshlrev_b64 v[57:58], 3, v[106:107]
	v_add_co_ci_u32_e32 v54, vcc_lo, s3, v54, vcc_lo
	v_add_co_u32 v55, vcc_lo, s2, v55
	v_add_co_ci_u32_e32 v56, vcc_lo, s3, v56, vcc_lo
	s_delay_alu instid0(VALU_DEP_4)
	v_add_co_u32 v57, vcc_lo, s2, v57
	v_add_co_ci_u32_e32 v58, vcc_lo, s3, v58, vcc_lo
	s_waitcnt vmcnt(17)
	scratch_store_b128 off, v[59:62], off offset:48
	s_clause 0x1
	global_load_b64 v[104:105], v[51:52], off
	global_load_b64 v[106:107], v[53:54], off
	s_waitcnt vmcnt(17)
	scratch_store_b128 off, v[63:66], off offset:64
	s_clause 0x1
	global_load_b64 v[108:109], v[55:56], off
	global_load_b64 v[110:111], v[57:58], off
	v_lshlrev_b64 v[59:60], 3, v[112:113]
	v_lshlrev_b64 v[61:62], 3, v[114:115]
	;; [unrolled: 1-line block ×5, first 2 shown]
	v_mov_b32_e32 v98, 0xbff00000
	v_add_co_u32 v59, vcc_lo, s2, v59
	v_add_co_ci_u32_e32 v60, vcc_lo, s3, v60, vcc_lo
	v_add_co_u32 v61, vcc_lo, s2, v61
	v_add_co_ci_u32_e32 v62, vcc_lo, s3, v62, vcc_lo
	;; [unrolled: 2-line block ×4, first 2 shown]
	global_load_b64 v[112:113], v[59:60], off
	s_waitcnt vmcnt(18)
	scratch_store_b128 off, v[67:70], off offset:80
	v_lshlrev_b64 v[67:68], 3, v[120:121]
	v_lshlrev_b64 v[69:70], 3, v[122:123]
	s_waitcnt vmcnt(16)
	scratch_store_b128 off, v[71:74], off offset:96
	s_waitcnt vmcnt(14)
	scratch_store_b128 off, v[75:78], off offset:112
	v_add_co_u32 v67, vcc_lo, s2, v67
	v_add_co_ci_u32_e32 v68, vcc_lo, s3, v68, vcc_lo
	v_add_co_u32 v69, vcc_lo, s2, v69
	v_lshlrev_b64 v[73:74], 3, v[126:127]
	v_add_co_ci_u32_e32 v70, vcc_lo, s3, v70, vcc_lo
	v_add_co_u32 v71, vcc_lo, s2, v95
	v_lshlrev_b64 v[75:76], 3, v[128:129]
	v_add_co_ci_u32_e32 v72, vcc_lo, s3, v96, vcc_lo
	v_add_co_u32 v73, vcc_lo, s2, v73
	v_lshlrev_b64 v[77:78], 3, v[130:131]
	v_add_co_ci_u32_e32 v74, vcc_lo, s3, v74, vcc_lo
	v_add_co_u32 v75, vcc_lo, s2, v75
	v_lshlrev_b64 v[95:96], 3, v[132:133]
	v_add_co_ci_u32_e32 v76, vcc_lo, s3, v76, vcc_lo
	s_clause 0x3
	global_load_b64 v[114:115], v[61:62], off
	global_load_b64 v[116:117], v[63:64], off
	;; [unrolled: 1-line block ×4, first 2 shown]
	v_add_co_u32 v77, vcc_lo, s2, v77
	v_add_co_ci_u32_e32 v78, vcc_lo, s3, v78, vcc_lo
	s_waitcnt vmcnt(15)
	scratch_store_b128 off, v[79:82], off offset:128
	s_waitcnt vmcnt(13)
	scratch_store_b128 off, v[83:86], off offset:144
	v_lshlrev_b64 v[81:82], 3, v[134:135]
	v_add_co_u32 v79, vcc_lo, s2, v95
	v_lshlrev_b64 v[83:84], 3, v[136:137]
	v_add_co_ci_u32_e32 v80, vcc_lo, s3, v96, vcc_lo
	s_delay_alu instid0(VALU_DEP_4)
	v_add_co_u32 v81, vcc_lo, s2, v81
	v_lshlrev_b64 v[85:86], 3, v[138:139]
	v_add_co_ci_u32_e32 v82, vcc_lo, s3, v82, vcc_lo
	v_add_co_u32 v83, vcc_lo, s2, v83
	v_lshlrev_b64 v[95:96], 3, v[140:141]
	v_add_co_ci_u32_e32 v84, vcc_lo, s3, v84, vcc_lo
	s_clause 0x3
	global_load_b64 v[122:123], v[69:70], off
	global_load_b64 v[124:125], v[71:72], off
	;; [unrolled: 1-line block ×4, first 2 shown]
	s_waitcnt vmcnt(15)
	scratch_store_b128 off, v[87:90], off offset:160
	s_waitcnt vmcnt(13)
	scratch_store_b128 off, v[91:94], off offset:176
	v_add_co_u32 v85, vcc_lo, s2, v85
	v_lshlrev_b64 v[89:90], 3, v[142:143]
	v_add_co_ci_u32_e32 v86, vcc_lo, s3, v86, vcc_lo
	v_add_co_u32 v87, vcc_lo, s2, v95
	v_lshlrev_b64 v[91:92], 3, v[144:145]
	v_add_co_ci_u32_e32 v88, vcc_lo, s3, v96, vcc_lo
	v_add_co_u32 v89, vcc_lo, s2, v89
	v_add_co_ci_u32_e32 v90, vcc_lo, s3, v90, vcc_lo
	v_lshlrev_b64 v[95:96], 3, v[146:147]
	v_add_co_u32 v93, vcc_lo, s2, v91
	v_add_co_ci_u32_e32 v94, vcc_lo, s3, v92, vcc_lo
	v_lshlrev_b64 v[91:92], 3, v[148:149]
	s_delay_alu instid0(VALU_DEP_4)
	v_add_co_u32 v95, vcc_lo, s2, v95
	v_add_co_ci_u32_e32 v96, vcc_lo, s3, v96, vcc_lo
	s_clause 0x3
	global_load_b64 v[130:131], v[77:78], off
	global_load_b64 v[132:133], v[79:80], off
	;; [unrolled: 1-line block ×4, first 2 shown]
	v_add_co_u32 v91, vcc_lo, s2, v91
	v_add_co_ci_u32_e32 v92, vcc_lo, s3, v92, vcc_lo
	s_waitcnt vmcnt(15)
	scratch_store_b128 off, v[104:107], off offset:192
	s_clause 0x2
	global_load_b64 v[138:139], v[85:86], off
	global_load_b64 v[104:105], v[87:88], off
	;; [unrolled: 1-line block ×3, first 2 shown]
	s_waitcnt vmcnt(16)
	scratch_store_b128 off, v[108:111], off offset:208
	s_clause 0x2
	global_load_b64 v[108:109], v[93:94], off
	global_load_b64 v[110:111], v[95:96], off
	;; [unrolled: 1-line block ×3, first 2 shown]
	s_cselect_b32 s2, -1, 0
	s_cmpk_eq_i32 s1, 0x84
	s_waitcnt vmcnt(17)
	scratch_store_b128 off, v[112:115], off offset:224
	s_waitcnt vmcnt(15)
	scratch_store_b128 off, v[116:119], off offset:240
	;; [unrolled: 2-line block ×10, first 2 shown]
	s_cbranch_scc1 .LBB47_3
; %bb.2:
	scratch_load_b64 v[97:98], v99, off
	s_waitcnt vmcnt(0)
	v_div_scale_f64 v[100:101], null, v[97:98], v[97:98], 1.0
	v_div_scale_f64 v[106:107], vcc_lo, 1.0, v[97:98], 1.0
	s_delay_alu instid0(VALU_DEP_2) | instskip(SKIP_2) | instid1(VALU_DEP_1)
	v_rcp_f64_e32 v[102:103], v[100:101]
	s_waitcnt_depctr 0xfff
	v_fma_f64 v[104:105], -v[100:101], v[102:103], 1.0
	v_fma_f64 v[102:103], v[102:103], v[104:105], v[102:103]
	s_delay_alu instid0(VALU_DEP_1) | instskip(NEXT) | instid1(VALU_DEP_1)
	v_fma_f64 v[104:105], -v[100:101], v[102:103], 1.0
	v_fma_f64 v[102:103], v[102:103], v[104:105], v[102:103]
	s_delay_alu instid0(VALU_DEP_1) | instskip(NEXT) | instid1(VALU_DEP_1)
	v_mul_f64 v[104:105], v[106:107], v[102:103]
	v_fma_f64 v[100:101], -v[100:101], v[104:105], v[106:107]
	s_delay_alu instid0(VALU_DEP_1) | instskip(NEXT) | instid1(VALU_DEP_1)
	v_div_fmas_f64 v[100:101], v[100:101], v[102:103], v[104:105]
	v_div_fixup_f64 v[97:98], v[100:101], v[97:98], 1.0
	scratch_store_b64 v99, v[97:98], off
	v_xor_b32_e32 v98, 0x80000000, v98
.LBB47_3:
	v_add_nc_u32_e32 v100, 0x180, v99
	v_add_nc_u32_e32 v101, 0, v99
	s_cmpk_eq_i32 s0, 0x79
	s_mov_b32 s0, -1
	ds_store_b64 v99, v[97:98]
	s_cbranch_scc1 .LBB47_469
; %bb.4:
	scratch_load_b64 v[97:98], off, off offset:368
	v_cmp_eq_u32_e64 s0, 47, v0
	s_movk_i32 s1, 0x50
	s_movk_i32 s3, 0x60
	s_movk_i32 s4, 0x70
	s_movk_i32 s5, 0x80
	s_movk_i32 s6, 0x90
	s_movk_i32 s7, 0xa0
	s_movk_i32 s8, 0xb0
	s_movk_i32 s9, 0xc0
	s_movk_i32 s10, 0xd0
	s_movk_i32 s11, 0xe0
	s_movk_i32 s12, 0xf0
	s_movk_i32 s13, 0x100
	s_movk_i32 s14, 0x110
	s_movk_i32 s15, 0x120
	s_movk_i32 s16, 0x130
	s_movk_i32 s17, 0x140
	s_movk_i32 s18, 0x150
	s_movk_i32 s19, 0x160
	s_waitcnt vmcnt(0)
	ds_store_b64 v100, v[97:98]
	s_waitcnt lgkmcnt(0)
	s_waitcnt_vscnt null, 0x0
	s_barrier
	buffer_gl0_inv
	s_and_saveexec_b32 s20, s0
	s_cbranch_execz .LBB47_10
; %bb.5:
	s_and_b32 vcc_lo, exec_lo, s2
	s_cbranch_vccz .LBB47_7
; %bb.6:
	scratch_load_b64 v[97:98], v101, off
	ds_load_b64 v[102:103], v100
	s_waitcnt vmcnt(0) lgkmcnt(0)
	v_mul_f64 v[97:98], v[97:98], v[102:103]
	s_cbranch_execz .LBB47_8
	s_branch .LBB47_9
.LBB47_7:
                                        ; implicit-def: $vgpr97_vgpr98
.LBB47_8:
	ds_load_b64 v[97:98], v100
.LBB47_9:
	v_mov_b32_e32 v102, 0
	ds_load_b64 v[102:103], v102 offset:368
	s_waitcnt lgkmcnt(0)
	v_mul_f64 v[97:98], v[97:98], v[102:103]
	scratch_store_b64 off, v[97:98], off offset:368
.LBB47_10:
	s_or_b32 exec_lo, exec_lo, s20
	scratch_load_b64 v[97:98], off, off offset:360
	v_add_nc_u32_e64 v102, 0, 16
	v_add_nc_u32_e64 v103, 0, 32
	;; [unrolled: 1-line block ×22, first 2 shown]
	v_cmp_lt_u32_e64 s1, 45, v0
	s_waitcnt vmcnt(0)
	ds_store_b64 v100, v[97:98]
	s_waitcnt lgkmcnt(0)
	s_waitcnt_vscnt null, 0x0
	s_barrier
	buffer_gl0_inv
	s_and_saveexec_b32 s3, s1
	s_cbranch_execz .LBB47_18
; %bb.11:
	s_and_not1_b32 vcc_lo, exec_lo, s2
	s_cbranch_vccnz .LBB47_13
; %bb.12:
	scratch_load_b64 v[97:98], v101, off
	ds_load_b64 v[124:125], v100
	s_waitcnt vmcnt(0) lgkmcnt(0)
	v_mul_f64 v[97:98], v[97:98], v[124:125]
	s_cbranch_execz .LBB47_14
	s_branch .LBB47_15
.LBB47_13:
                                        ; implicit-def: $vgpr97_vgpr98
.LBB47_14:
	ds_load_b64 v[97:98], v100
.LBB47_15:
	s_and_saveexec_b32 s4, s0
	s_cbranch_execz .LBB47_17
; %bb.16:
	scratch_load_b64 v[124:125], off, off offset:368
	v_mov_b32_e32 v126, 0
	ds_load_b64 v[126:127], v126 offset:752
	s_waitcnt vmcnt(0) lgkmcnt(0)
	v_fma_f64 v[97:98], v[124:125], v[126:127], v[97:98]
.LBB47_17:
	s_or_b32 exec_lo, exec_lo, s4
	v_mov_b32_e32 v124, 0
	ds_load_b64 v[124:125], v124 offset:360
	s_waitcnt lgkmcnt(0)
	v_mul_f64 v[97:98], v[97:98], v[124:125]
	scratch_store_b64 off, v[97:98], off offset:360
.LBB47_18:
	s_or_b32 exec_lo, exec_lo, s3
	scratch_load_b64 v[97:98], off, off offset:352
	v_cmp_lt_u32_e64 s0, 44, v0
	s_waitcnt vmcnt(0)
	ds_store_b64 v100, v[97:98]
	s_waitcnt lgkmcnt(0)
	s_waitcnt_vscnt null, 0x0
	s_barrier
	buffer_gl0_inv
	s_and_saveexec_b32 s3, s0
	s_cbranch_execz .LBB47_28
; %bb.19:
	s_and_not1_b32 vcc_lo, exec_lo, s2
	s_cbranch_vccnz .LBB47_21
; %bb.20:
	scratch_load_b64 v[97:98], v101, off
	ds_load_b64 v[124:125], v100
	s_waitcnt vmcnt(0) lgkmcnt(0)
	v_mul_f64 v[97:98], v[97:98], v[124:125]
	s_cbranch_execz .LBB47_22
	s_branch .LBB47_23
.LBB47_21:
                                        ; implicit-def: $vgpr97_vgpr98
.LBB47_22:
	ds_load_b64 v[97:98], v100
.LBB47_23:
	s_and_saveexec_b32 s4, s1
	s_cbranch_execz .LBB47_27
; %bb.24:
	v_mov_b32_e32 v124, 0
	v_subrev_nc_u32_e32 v125, 45, v0
	s_movk_i32 s5, 0x2e8
	s_mov_b32 s1, 0
	s_delay_alu instid0(VALU_DEP_2)
	v_add_nc_u32_e32 v124, 0x168, v124
.LBB47_25:                              ; =>This Inner Loop Header: Depth=1
	scratch_load_b64 v[126:127], v124, off
	v_dual_mov_b32 v128, s5 :: v_dual_add_nc_u32 v125, -1, v125
	v_add_nc_u32_e32 v124, 8, v124
	s_add_i32 s5, s5, 8
	ds_load_b64 v[128:129], v128
	v_cmp_eq_u32_e32 vcc_lo, 0, v125
	s_or_b32 s1, vcc_lo, s1
	s_waitcnt vmcnt(0) lgkmcnt(0)
	v_fma_f64 v[97:98], v[126:127], v[128:129], v[97:98]
	s_and_not1_b32 exec_lo, exec_lo, s1
	s_cbranch_execnz .LBB47_25
; %bb.26:
	s_or_b32 exec_lo, exec_lo, s1
.LBB47_27:
	s_delay_alu instid0(SALU_CYCLE_1)
	s_or_b32 exec_lo, exec_lo, s4
	v_mov_b32_e32 v124, 0
	ds_load_b64 v[124:125], v124 offset:352
	s_waitcnt lgkmcnt(0)
	v_mul_f64 v[97:98], v[97:98], v[124:125]
	scratch_store_b64 off, v[97:98], off offset:352
.LBB47_28:
	s_or_b32 exec_lo, exec_lo, s3
	scratch_load_b64 v[97:98], off, off offset:344
	v_cmp_lt_u32_e64 s1, 43, v0
	s_waitcnt vmcnt(0)
	ds_store_b64 v100, v[97:98]
	s_waitcnt lgkmcnt(0)
	s_waitcnt_vscnt null, 0x0
	s_barrier
	buffer_gl0_inv
	s_and_saveexec_b32 s3, s1
	s_cbranch_execz .LBB47_38
; %bb.29:
	s_and_not1_b32 vcc_lo, exec_lo, s2
	s_cbranch_vccnz .LBB47_31
; %bb.30:
	scratch_load_b64 v[97:98], v101, off
	ds_load_b64 v[124:125], v100
	s_waitcnt vmcnt(0) lgkmcnt(0)
	v_mul_f64 v[97:98], v[97:98], v[124:125]
	s_cbranch_execz .LBB47_32
	s_branch .LBB47_33
.LBB47_31:
                                        ; implicit-def: $vgpr97_vgpr98
.LBB47_32:
	ds_load_b64 v[97:98], v100
.LBB47_33:
	s_and_saveexec_b32 s4, s0
	s_cbranch_execz .LBB47_37
; %bb.34:
	v_subrev_nc_u32_e32 v124, 44, v0
	s_movk_i32 s5, 0x2e0
	s_mov_b32 s0, 0
.LBB47_35:                              ; =>This Inner Loop Header: Depth=1
	scratch_load_b64 v[125:126], v123, off
	v_dual_mov_b32 v127, s5 :: v_dual_add_nc_u32 v124, -1, v124
	v_add_nc_u32_e32 v123, 8, v123
	s_add_i32 s5, s5, 8
	ds_load_b64 v[127:128], v127
	v_cmp_eq_u32_e32 vcc_lo, 0, v124
	s_or_b32 s0, vcc_lo, s0
	s_waitcnt vmcnt(0) lgkmcnt(0)
	v_fma_f64 v[97:98], v[125:126], v[127:128], v[97:98]
	s_and_not1_b32 exec_lo, exec_lo, s0
	s_cbranch_execnz .LBB47_35
; %bb.36:
	s_or_b32 exec_lo, exec_lo, s0
.LBB47_37:
	s_delay_alu instid0(SALU_CYCLE_1)
	s_or_b32 exec_lo, exec_lo, s4
	v_mov_b32_e32 v123, 0
	ds_load_b64 v[123:124], v123 offset:344
	s_waitcnt lgkmcnt(0)
	v_mul_f64 v[97:98], v[97:98], v[123:124]
	scratch_store_b64 off, v[97:98], off offset:344
.LBB47_38:
	s_or_b32 exec_lo, exec_lo, s3
	scratch_load_b64 v[97:98], off, off offset:336
	v_cmp_lt_u32_e64 s0, 42, v0
	s_waitcnt vmcnt(0)
	ds_store_b64 v100, v[97:98]
	s_waitcnt lgkmcnt(0)
	s_waitcnt_vscnt null, 0x0
	s_barrier
	buffer_gl0_inv
	s_and_saveexec_b32 s3, s0
	s_cbranch_execz .LBB47_48
; %bb.39:
	s_and_not1_b32 vcc_lo, exec_lo, s2
	s_cbranch_vccnz .LBB47_41
; %bb.40:
	scratch_load_b64 v[97:98], v101, off
	ds_load_b64 v[123:124], v100
	s_waitcnt vmcnt(0) lgkmcnt(0)
	v_mul_f64 v[97:98], v[97:98], v[123:124]
	s_cbranch_execz .LBB47_42
	s_branch .LBB47_43
.LBB47_41:
                                        ; implicit-def: $vgpr97_vgpr98
.LBB47_42:
	ds_load_b64 v[97:98], v100
.LBB47_43:
	s_and_saveexec_b32 s4, s1
	s_cbranch_execz .LBB47_47
; %bb.44:
	v_mov_b32_e32 v123, 0
	v_subrev_nc_u32_e32 v124, 43, v0
	s_movk_i32 s5, 0x2d8
	s_mov_b32 s1, 0
	s_delay_alu instid0(VALU_DEP_2)
	v_add_nc_u32_e32 v123, 0x158, v123
.LBB47_45:                              ; =>This Inner Loop Header: Depth=1
	scratch_load_b64 v[125:126], v123, off
	v_dual_mov_b32 v127, s5 :: v_dual_add_nc_u32 v124, -1, v124
	v_add_nc_u32_e32 v123, 8, v123
	s_add_i32 s5, s5, 8
	ds_load_b64 v[127:128], v127
	v_cmp_eq_u32_e32 vcc_lo, 0, v124
	s_or_b32 s1, vcc_lo, s1
	s_waitcnt vmcnt(0) lgkmcnt(0)
	v_fma_f64 v[97:98], v[125:126], v[127:128], v[97:98]
	s_and_not1_b32 exec_lo, exec_lo, s1
	s_cbranch_execnz .LBB47_45
; %bb.46:
	s_or_b32 exec_lo, exec_lo, s1
.LBB47_47:
	s_delay_alu instid0(SALU_CYCLE_1)
	s_or_b32 exec_lo, exec_lo, s4
	v_mov_b32_e32 v123, 0
	ds_load_b64 v[123:124], v123 offset:336
	s_waitcnt lgkmcnt(0)
	v_mul_f64 v[97:98], v[97:98], v[123:124]
	scratch_store_b64 off, v[97:98], off offset:336
.LBB47_48:
	s_or_b32 exec_lo, exec_lo, s3
	scratch_load_b64 v[97:98], off, off offset:328
	v_cmp_lt_u32_e64 s1, 41, v0
	s_waitcnt vmcnt(0)
	ds_store_b64 v100, v[97:98]
	s_waitcnt lgkmcnt(0)
	s_waitcnt_vscnt null, 0x0
	s_barrier
	buffer_gl0_inv
	s_and_saveexec_b32 s3, s1
	s_cbranch_execz .LBB47_58
; %bb.49:
	s_and_not1_b32 vcc_lo, exec_lo, s2
	s_cbranch_vccnz .LBB47_51
; %bb.50:
	scratch_load_b64 v[97:98], v101, off
	ds_load_b64 v[123:124], v100
	s_waitcnt vmcnt(0) lgkmcnt(0)
	v_mul_f64 v[97:98], v[97:98], v[123:124]
	s_cbranch_execz .LBB47_52
	s_branch .LBB47_53
.LBB47_51:
                                        ; implicit-def: $vgpr97_vgpr98
.LBB47_52:
	ds_load_b64 v[97:98], v100
.LBB47_53:
	s_and_saveexec_b32 s4, s0
	s_cbranch_execz .LBB47_57
; %bb.54:
	v_subrev_nc_u32_e32 v123, 42, v0
	s_movk_i32 s5, 0x2d0
	s_mov_b32 s0, 0
.LBB47_55:                              ; =>This Inner Loop Header: Depth=1
	scratch_load_b64 v[124:125], v122, off
	v_dual_mov_b32 v126, s5 :: v_dual_add_nc_u32 v123, -1, v123
	v_add_nc_u32_e32 v122, 8, v122
	s_add_i32 s5, s5, 8
	ds_load_b64 v[126:127], v126
	v_cmp_eq_u32_e32 vcc_lo, 0, v123
	s_or_b32 s0, vcc_lo, s0
	s_waitcnt vmcnt(0) lgkmcnt(0)
	v_fma_f64 v[97:98], v[124:125], v[126:127], v[97:98]
	s_and_not1_b32 exec_lo, exec_lo, s0
	s_cbranch_execnz .LBB47_55
; %bb.56:
	s_or_b32 exec_lo, exec_lo, s0
.LBB47_57:
	s_delay_alu instid0(SALU_CYCLE_1)
	s_or_b32 exec_lo, exec_lo, s4
	v_mov_b32_e32 v122, 0
	ds_load_b64 v[122:123], v122 offset:328
	s_waitcnt lgkmcnt(0)
	v_mul_f64 v[97:98], v[97:98], v[122:123]
	scratch_store_b64 off, v[97:98], off offset:328
.LBB47_58:
	s_or_b32 exec_lo, exec_lo, s3
	scratch_load_b64 v[97:98], off, off offset:320
	v_cmp_lt_u32_e64 s0, 40, v0
	s_waitcnt vmcnt(0)
	ds_store_b64 v100, v[97:98]
	s_waitcnt lgkmcnt(0)
	s_waitcnt_vscnt null, 0x0
	s_barrier
	buffer_gl0_inv
	s_and_saveexec_b32 s3, s0
	s_cbranch_execz .LBB47_68
; %bb.59:
	s_and_not1_b32 vcc_lo, exec_lo, s2
	s_cbranch_vccnz .LBB47_61
; %bb.60:
	scratch_load_b64 v[97:98], v101, off
	ds_load_b64 v[122:123], v100
	s_waitcnt vmcnt(0) lgkmcnt(0)
	v_mul_f64 v[97:98], v[97:98], v[122:123]
	s_cbranch_execz .LBB47_62
	s_branch .LBB47_63
.LBB47_61:
                                        ; implicit-def: $vgpr97_vgpr98
.LBB47_62:
	ds_load_b64 v[97:98], v100
.LBB47_63:
	s_and_saveexec_b32 s4, s1
	s_cbranch_execz .LBB47_67
; %bb.64:
	v_mov_b32_e32 v122, 0
	v_subrev_nc_u32_e32 v123, 41, v0
	s_movk_i32 s5, 0x2c8
	s_mov_b32 s1, 0
	s_delay_alu instid0(VALU_DEP_2)
	v_add_nc_u32_e32 v122, 0x148, v122
.LBB47_65:                              ; =>This Inner Loop Header: Depth=1
	scratch_load_b64 v[124:125], v122, off
	v_dual_mov_b32 v126, s5 :: v_dual_add_nc_u32 v123, -1, v123
	v_add_nc_u32_e32 v122, 8, v122
	s_add_i32 s5, s5, 8
	ds_load_b64 v[126:127], v126
	v_cmp_eq_u32_e32 vcc_lo, 0, v123
	s_or_b32 s1, vcc_lo, s1
	s_waitcnt vmcnt(0) lgkmcnt(0)
	v_fma_f64 v[97:98], v[124:125], v[126:127], v[97:98]
	s_and_not1_b32 exec_lo, exec_lo, s1
	s_cbranch_execnz .LBB47_65
; %bb.66:
	s_or_b32 exec_lo, exec_lo, s1
.LBB47_67:
	s_delay_alu instid0(SALU_CYCLE_1)
	s_or_b32 exec_lo, exec_lo, s4
	v_mov_b32_e32 v122, 0
	ds_load_b64 v[122:123], v122 offset:320
	s_waitcnt lgkmcnt(0)
	v_mul_f64 v[97:98], v[97:98], v[122:123]
	scratch_store_b64 off, v[97:98], off offset:320
.LBB47_68:
	s_or_b32 exec_lo, exec_lo, s3
	scratch_load_b64 v[97:98], off, off offset:312
	v_cmp_lt_u32_e64 s1, 39, v0
	s_waitcnt vmcnt(0)
	ds_store_b64 v100, v[97:98]
	s_waitcnt lgkmcnt(0)
	s_waitcnt_vscnt null, 0x0
	s_barrier
	buffer_gl0_inv
	s_and_saveexec_b32 s3, s1
	s_cbranch_execz .LBB47_78
; %bb.69:
	s_and_not1_b32 vcc_lo, exec_lo, s2
	s_cbranch_vccnz .LBB47_71
; %bb.70:
	scratch_load_b64 v[97:98], v101, off
	ds_load_b64 v[122:123], v100
	s_waitcnt vmcnt(0) lgkmcnt(0)
	v_mul_f64 v[97:98], v[97:98], v[122:123]
	s_cbranch_execz .LBB47_72
	s_branch .LBB47_73
.LBB47_71:
                                        ; implicit-def: $vgpr97_vgpr98
.LBB47_72:
	ds_load_b64 v[97:98], v100
.LBB47_73:
	s_and_saveexec_b32 s4, s0
	s_cbranch_execz .LBB47_77
; %bb.74:
	v_subrev_nc_u32_e32 v122, 40, v0
	s_movk_i32 s5, 0x2c0
	s_mov_b32 s0, 0
.LBB47_75:                              ; =>This Inner Loop Header: Depth=1
	scratch_load_b64 v[123:124], v121, off
	v_dual_mov_b32 v125, s5 :: v_dual_add_nc_u32 v122, -1, v122
	v_add_nc_u32_e32 v121, 8, v121
	s_add_i32 s5, s5, 8
	ds_load_b64 v[125:126], v125
	v_cmp_eq_u32_e32 vcc_lo, 0, v122
	s_or_b32 s0, vcc_lo, s0
	s_waitcnt vmcnt(0) lgkmcnt(0)
	v_fma_f64 v[97:98], v[123:124], v[125:126], v[97:98]
	s_and_not1_b32 exec_lo, exec_lo, s0
	s_cbranch_execnz .LBB47_75
; %bb.76:
	s_or_b32 exec_lo, exec_lo, s0
.LBB47_77:
	s_delay_alu instid0(SALU_CYCLE_1)
	s_or_b32 exec_lo, exec_lo, s4
	v_mov_b32_e32 v121, 0
	ds_load_b64 v[121:122], v121 offset:312
	s_waitcnt lgkmcnt(0)
	v_mul_f64 v[97:98], v[97:98], v[121:122]
	scratch_store_b64 off, v[97:98], off offset:312
.LBB47_78:
	s_or_b32 exec_lo, exec_lo, s3
	scratch_load_b64 v[97:98], off, off offset:304
	v_cmp_lt_u32_e64 s0, 38, v0
	s_waitcnt vmcnt(0)
	ds_store_b64 v100, v[97:98]
	s_waitcnt lgkmcnt(0)
	s_waitcnt_vscnt null, 0x0
	s_barrier
	buffer_gl0_inv
	s_and_saveexec_b32 s3, s0
	s_cbranch_execz .LBB47_88
; %bb.79:
	s_and_not1_b32 vcc_lo, exec_lo, s2
	s_cbranch_vccnz .LBB47_81
; %bb.80:
	scratch_load_b64 v[97:98], v101, off
	ds_load_b64 v[121:122], v100
	s_waitcnt vmcnt(0) lgkmcnt(0)
	v_mul_f64 v[97:98], v[97:98], v[121:122]
	s_cbranch_execz .LBB47_82
	s_branch .LBB47_83
.LBB47_81:
                                        ; implicit-def: $vgpr97_vgpr98
.LBB47_82:
	ds_load_b64 v[97:98], v100
.LBB47_83:
	s_and_saveexec_b32 s4, s1
	s_cbranch_execz .LBB47_87
; %bb.84:
	v_mov_b32_e32 v121, 0
	v_subrev_nc_u32_e32 v122, 39, v0
	s_movk_i32 s5, 0x2b8
	s_mov_b32 s1, 0
	s_delay_alu instid0(VALU_DEP_2)
	v_add_nc_u32_e32 v121, 0x138, v121
.LBB47_85:                              ; =>This Inner Loop Header: Depth=1
	scratch_load_b64 v[123:124], v121, off
	v_dual_mov_b32 v125, s5 :: v_dual_add_nc_u32 v122, -1, v122
	v_add_nc_u32_e32 v121, 8, v121
	s_add_i32 s5, s5, 8
	ds_load_b64 v[125:126], v125
	v_cmp_eq_u32_e32 vcc_lo, 0, v122
	s_or_b32 s1, vcc_lo, s1
	s_waitcnt vmcnt(0) lgkmcnt(0)
	v_fma_f64 v[97:98], v[123:124], v[125:126], v[97:98]
	s_and_not1_b32 exec_lo, exec_lo, s1
	s_cbranch_execnz .LBB47_85
; %bb.86:
	s_or_b32 exec_lo, exec_lo, s1
.LBB47_87:
	s_delay_alu instid0(SALU_CYCLE_1)
	s_or_b32 exec_lo, exec_lo, s4
	v_mov_b32_e32 v121, 0
	ds_load_b64 v[121:122], v121 offset:304
	s_waitcnt lgkmcnt(0)
	v_mul_f64 v[97:98], v[97:98], v[121:122]
	scratch_store_b64 off, v[97:98], off offset:304
.LBB47_88:
	s_or_b32 exec_lo, exec_lo, s3
	scratch_load_b64 v[97:98], off, off offset:296
	v_cmp_lt_u32_e64 s1, 37, v0
	s_waitcnt vmcnt(0)
	ds_store_b64 v100, v[97:98]
	s_waitcnt lgkmcnt(0)
	s_waitcnt_vscnt null, 0x0
	s_barrier
	buffer_gl0_inv
	s_and_saveexec_b32 s3, s1
	s_cbranch_execz .LBB47_98
; %bb.89:
	s_and_not1_b32 vcc_lo, exec_lo, s2
	s_cbranch_vccnz .LBB47_91
; %bb.90:
	scratch_load_b64 v[97:98], v101, off
	ds_load_b64 v[121:122], v100
	s_waitcnt vmcnt(0) lgkmcnt(0)
	v_mul_f64 v[97:98], v[97:98], v[121:122]
	s_cbranch_execz .LBB47_92
	s_branch .LBB47_93
.LBB47_91:
                                        ; implicit-def: $vgpr97_vgpr98
.LBB47_92:
	ds_load_b64 v[97:98], v100
.LBB47_93:
	s_and_saveexec_b32 s4, s0
	s_cbranch_execz .LBB47_97
; %bb.94:
	v_subrev_nc_u32_e32 v121, 38, v0
	s_movk_i32 s5, 0x2b0
	s_mov_b32 s0, 0
.LBB47_95:                              ; =>This Inner Loop Header: Depth=1
	scratch_load_b64 v[122:123], v120, off
	v_dual_mov_b32 v124, s5 :: v_dual_add_nc_u32 v121, -1, v121
	v_add_nc_u32_e32 v120, 8, v120
	s_add_i32 s5, s5, 8
	ds_load_b64 v[124:125], v124
	v_cmp_eq_u32_e32 vcc_lo, 0, v121
	s_or_b32 s0, vcc_lo, s0
	s_waitcnt vmcnt(0) lgkmcnt(0)
	v_fma_f64 v[97:98], v[122:123], v[124:125], v[97:98]
	s_and_not1_b32 exec_lo, exec_lo, s0
	s_cbranch_execnz .LBB47_95
; %bb.96:
	s_or_b32 exec_lo, exec_lo, s0
.LBB47_97:
	s_delay_alu instid0(SALU_CYCLE_1)
	s_or_b32 exec_lo, exec_lo, s4
	v_mov_b32_e32 v120, 0
	ds_load_b64 v[120:121], v120 offset:296
	s_waitcnt lgkmcnt(0)
	v_mul_f64 v[97:98], v[97:98], v[120:121]
	scratch_store_b64 off, v[97:98], off offset:296
.LBB47_98:
	s_or_b32 exec_lo, exec_lo, s3
	scratch_load_b64 v[97:98], off, off offset:288
	v_cmp_lt_u32_e64 s0, 36, v0
	s_waitcnt vmcnt(0)
	ds_store_b64 v100, v[97:98]
	s_waitcnt lgkmcnt(0)
	s_waitcnt_vscnt null, 0x0
	s_barrier
	buffer_gl0_inv
	s_and_saveexec_b32 s3, s0
	s_cbranch_execz .LBB47_108
; %bb.99:
	s_and_not1_b32 vcc_lo, exec_lo, s2
	s_cbranch_vccnz .LBB47_101
; %bb.100:
	scratch_load_b64 v[97:98], v101, off
	ds_load_b64 v[120:121], v100
	s_waitcnt vmcnt(0) lgkmcnt(0)
	v_mul_f64 v[97:98], v[97:98], v[120:121]
	s_cbranch_execz .LBB47_102
	s_branch .LBB47_103
.LBB47_101:
                                        ; implicit-def: $vgpr97_vgpr98
.LBB47_102:
	ds_load_b64 v[97:98], v100
.LBB47_103:
	s_and_saveexec_b32 s4, s1
	s_cbranch_execz .LBB47_107
; %bb.104:
	v_mov_b32_e32 v120, 0
	v_subrev_nc_u32_e32 v121, 37, v0
	s_movk_i32 s5, 0x2a8
	s_mov_b32 s1, 0
	s_delay_alu instid0(VALU_DEP_2)
	v_add_nc_u32_e32 v120, 0x128, v120
.LBB47_105:                             ; =>This Inner Loop Header: Depth=1
	scratch_load_b64 v[122:123], v120, off
	v_dual_mov_b32 v124, s5 :: v_dual_add_nc_u32 v121, -1, v121
	v_add_nc_u32_e32 v120, 8, v120
	s_add_i32 s5, s5, 8
	ds_load_b64 v[124:125], v124
	v_cmp_eq_u32_e32 vcc_lo, 0, v121
	s_or_b32 s1, vcc_lo, s1
	s_waitcnt vmcnt(0) lgkmcnt(0)
	v_fma_f64 v[97:98], v[122:123], v[124:125], v[97:98]
	s_and_not1_b32 exec_lo, exec_lo, s1
	s_cbranch_execnz .LBB47_105
; %bb.106:
	s_or_b32 exec_lo, exec_lo, s1
.LBB47_107:
	s_delay_alu instid0(SALU_CYCLE_1)
	s_or_b32 exec_lo, exec_lo, s4
	v_mov_b32_e32 v120, 0
	ds_load_b64 v[120:121], v120 offset:288
	s_waitcnt lgkmcnt(0)
	v_mul_f64 v[97:98], v[97:98], v[120:121]
	scratch_store_b64 off, v[97:98], off offset:288
.LBB47_108:
	s_or_b32 exec_lo, exec_lo, s3
	scratch_load_b64 v[97:98], off, off offset:280
	v_cmp_lt_u32_e64 s1, 35, v0
	s_waitcnt vmcnt(0)
	ds_store_b64 v100, v[97:98]
	s_waitcnt lgkmcnt(0)
	s_waitcnt_vscnt null, 0x0
	s_barrier
	buffer_gl0_inv
	s_and_saveexec_b32 s3, s1
	s_cbranch_execz .LBB47_118
; %bb.109:
	s_and_not1_b32 vcc_lo, exec_lo, s2
	s_cbranch_vccnz .LBB47_111
; %bb.110:
	scratch_load_b64 v[97:98], v101, off
	ds_load_b64 v[120:121], v100
	s_waitcnt vmcnt(0) lgkmcnt(0)
	v_mul_f64 v[97:98], v[97:98], v[120:121]
	s_cbranch_execz .LBB47_112
	s_branch .LBB47_113
.LBB47_111:
                                        ; implicit-def: $vgpr97_vgpr98
.LBB47_112:
	ds_load_b64 v[97:98], v100
.LBB47_113:
	s_and_saveexec_b32 s4, s0
	s_cbranch_execz .LBB47_117
; %bb.114:
	v_subrev_nc_u32_e32 v120, 36, v0
	s_movk_i32 s5, 0x2a0
	s_mov_b32 s0, 0
.LBB47_115:                             ; =>This Inner Loop Header: Depth=1
	scratch_load_b64 v[121:122], v119, off
	v_dual_mov_b32 v123, s5 :: v_dual_add_nc_u32 v120, -1, v120
	v_add_nc_u32_e32 v119, 8, v119
	s_add_i32 s5, s5, 8
	ds_load_b64 v[123:124], v123
	v_cmp_eq_u32_e32 vcc_lo, 0, v120
	s_or_b32 s0, vcc_lo, s0
	s_waitcnt vmcnt(0) lgkmcnt(0)
	v_fma_f64 v[97:98], v[121:122], v[123:124], v[97:98]
	s_and_not1_b32 exec_lo, exec_lo, s0
	s_cbranch_execnz .LBB47_115
; %bb.116:
	s_or_b32 exec_lo, exec_lo, s0
.LBB47_117:
	s_delay_alu instid0(SALU_CYCLE_1)
	s_or_b32 exec_lo, exec_lo, s4
	v_mov_b32_e32 v119, 0
	ds_load_b64 v[119:120], v119 offset:280
	s_waitcnt lgkmcnt(0)
	v_mul_f64 v[97:98], v[97:98], v[119:120]
	scratch_store_b64 off, v[97:98], off offset:280
.LBB47_118:
	s_or_b32 exec_lo, exec_lo, s3
	scratch_load_b64 v[97:98], off, off offset:272
	v_cmp_lt_u32_e64 s0, 34, v0
	s_waitcnt vmcnt(0)
	ds_store_b64 v100, v[97:98]
	s_waitcnt lgkmcnt(0)
	s_waitcnt_vscnt null, 0x0
	s_barrier
	buffer_gl0_inv
	s_and_saveexec_b32 s3, s0
	s_cbranch_execz .LBB47_128
; %bb.119:
	s_and_not1_b32 vcc_lo, exec_lo, s2
	s_cbranch_vccnz .LBB47_121
; %bb.120:
	scratch_load_b64 v[97:98], v101, off
	ds_load_b64 v[119:120], v100
	s_waitcnt vmcnt(0) lgkmcnt(0)
	v_mul_f64 v[97:98], v[97:98], v[119:120]
	s_cbranch_execz .LBB47_122
	s_branch .LBB47_123
.LBB47_121:
                                        ; implicit-def: $vgpr97_vgpr98
.LBB47_122:
	ds_load_b64 v[97:98], v100
.LBB47_123:
	s_and_saveexec_b32 s4, s1
	s_cbranch_execz .LBB47_127
; %bb.124:
	v_mov_b32_e32 v119, 0
	v_subrev_nc_u32_e32 v120, 35, v0
	s_movk_i32 s5, 0x298
	s_mov_b32 s1, 0
	s_delay_alu instid0(VALU_DEP_2)
	v_add_nc_u32_e32 v119, 0x118, v119
.LBB47_125:                             ; =>This Inner Loop Header: Depth=1
	scratch_load_b64 v[121:122], v119, off
	v_dual_mov_b32 v123, s5 :: v_dual_add_nc_u32 v120, -1, v120
	v_add_nc_u32_e32 v119, 8, v119
	s_add_i32 s5, s5, 8
	ds_load_b64 v[123:124], v123
	v_cmp_eq_u32_e32 vcc_lo, 0, v120
	s_or_b32 s1, vcc_lo, s1
	s_waitcnt vmcnt(0) lgkmcnt(0)
	v_fma_f64 v[97:98], v[121:122], v[123:124], v[97:98]
	s_and_not1_b32 exec_lo, exec_lo, s1
	s_cbranch_execnz .LBB47_125
; %bb.126:
	s_or_b32 exec_lo, exec_lo, s1
.LBB47_127:
	s_delay_alu instid0(SALU_CYCLE_1)
	s_or_b32 exec_lo, exec_lo, s4
	v_mov_b32_e32 v119, 0
	ds_load_b64 v[119:120], v119 offset:272
	s_waitcnt lgkmcnt(0)
	v_mul_f64 v[97:98], v[97:98], v[119:120]
	scratch_store_b64 off, v[97:98], off offset:272
.LBB47_128:
	s_or_b32 exec_lo, exec_lo, s3
	scratch_load_b64 v[97:98], off, off offset:264
	v_cmp_lt_u32_e64 s1, 33, v0
	s_waitcnt vmcnt(0)
	ds_store_b64 v100, v[97:98]
	s_waitcnt lgkmcnt(0)
	s_waitcnt_vscnt null, 0x0
	s_barrier
	buffer_gl0_inv
	s_and_saveexec_b32 s3, s1
	s_cbranch_execz .LBB47_138
; %bb.129:
	s_and_not1_b32 vcc_lo, exec_lo, s2
	s_cbranch_vccnz .LBB47_131
; %bb.130:
	scratch_load_b64 v[97:98], v101, off
	ds_load_b64 v[119:120], v100
	s_waitcnt vmcnt(0) lgkmcnt(0)
	v_mul_f64 v[97:98], v[97:98], v[119:120]
	s_cbranch_execz .LBB47_132
	s_branch .LBB47_133
.LBB47_131:
                                        ; implicit-def: $vgpr97_vgpr98
.LBB47_132:
	ds_load_b64 v[97:98], v100
.LBB47_133:
	s_and_saveexec_b32 s4, s0
	s_cbranch_execz .LBB47_137
; %bb.134:
	v_subrev_nc_u32_e32 v119, 34, v0
	s_movk_i32 s5, 0x290
	s_mov_b32 s0, 0
.LBB47_135:                             ; =>This Inner Loop Header: Depth=1
	scratch_load_b64 v[120:121], v118, off
	v_dual_mov_b32 v122, s5 :: v_dual_add_nc_u32 v119, -1, v119
	v_add_nc_u32_e32 v118, 8, v118
	s_add_i32 s5, s5, 8
	ds_load_b64 v[122:123], v122
	v_cmp_eq_u32_e32 vcc_lo, 0, v119
	s_or_b32 s0, vcc_lo, s0
	s_waitcnt vmcnt(0) lgkmcnt(0)
	v_fma_f64 v[97:98], v[120:121], v[122:123], v[97:98]
	s_and_not1_b32 exec_lo, exec_lo, s0
	s_cbranch_execnz .LBB47_135
; %bb.136:
	s_or_b32 exec_lo, exec_lo, s0
.LBB47_137:
	s_delay_alu instid0(SALU_CYCLE_1)
	s_or_b32 exec_lo, exec_lo, s4
	v_mov_b32_e32 v118, 0
	ds_load_b64 v[118:119], v118 offset:264
	s_waitcnt lgkmcnt(0)
	v_mul_f64 v[97:98], v[97:98], v[118:119]
	scratch_store_b64 off, v[97:98], off offset:264
.LBB47_138:
	s_or_b32 exec_lo, exec_lo, s3
	scratch_load_b64 v[97:98], off, off offset:256
	v_cmp_lt_u32_e64 s0, 32, v0
	s_waitcnt vmcnt(0)
	ds_store_b64 v100, v[97:98]
	s_waitcnt lgkmcnt(0)
	s_waitcnt_vscnt null, 0x0
	s_barrier
	buffer_gl0_inv
	s_and_saveexec_b32 s3, s0
	s_cbranch_execz .LBB47_148
; %bb.139:
	s_and_not1_b32 vcc_lo, exec_lo, s2
	s_cbranch_vccnz .LBB47_141
; %bb.140:
	scratch_load_b64 v[97:98], v101, off
	ds_load_b64 v[118:119], v100
	s_waitcnt vmcnt(0) lgkmcnt(0)
	v_mul_f64 v[97:98], v[97:98], v[118:119]
	s_cbranch_execz .LBB47_142
	s_branch .LBB47_143
.LBB47_141:
                                        ; implicit-def: $vgpr97_vgpr98
.LBB47_142:
	ds_load_b64 v[97:98], v100
.LBB47_143:
	s_and_saveexec_b32 s4, s1
	s_cbranch_execz .LBB47_147
; %bb.144:
	v_mov_b32_e32 v118, 0
	v_subrev_nc_u32_e32 v119, 33, v0
	s_movk_i32 s5, 0x288
	s_mov_b32 s1, 0
	s_delay_alu instid0(VALU_DEP_2)
	v_add_nc_u32_e32 v118, 0x108, v118
.LBB47_145:                             ; =>This Inner Loop Header: Depth=1
	scratch_load_b64 v[120:121], v118, off
	v_dual_mov_b32 v122, s5 :: v_dual_add_nc_u32 v119, -1, v119
	v_add_nc_u32_e32 v118, 8, v118
	s_add_i32 s5, s5, 8
	ds_load_b64 v[122:123], v122
	v_cmp_eq_u32_e32 vcc_lo, 0, v119
	s_or_b32 s1, vcc_lo, s1
	s_waitcnt vmcnt(0) lgkmcnt(0)
	v_fma_f64 v[97:98], v[120:121], v[122:123], v[97:98]
	s_and_not1_b32 exec_lo, exec_lo, s1
	s_cbranch_execnz .LBB47_145
; %bb.146:
	s_or_b32 exec_lo, exec_lo, s1
.LBB47_147:
	s_delay_alu instid0(SALU_CYCLE_1)
	s_or_b32 exec_lo, exec_lo, s4
	v_mov_b32_e32 v118, 0
	ds_load_b64 v[118:119], v118 offset:256
	s_waitcnt lgkmcnt(0)
	v_mul_f64 v[97:98], v[97:98], v[118:119]
	scratch_store_b64 off, v[97:98], off offset:256
.LBB47_148:
	s_or_b32 exec_lo, exec_lo, s3
	scratch_load_b64 v[97:98], off, off offset:248
	v_cmp_lt_u32_e64 s1, 31, v0
	s_waitcnt vmcnt(0)
	ds_store_b64 v100, v[97:98]
	s_waitcnt lgkmcnt(0)
	s_waitcnt_vscnt null, 0x0
	s_barrier
	buffer_gl0_inv
	s_and_saveexec_b32 s3, s1
	s_cbranch_execz .LBB47_158
; %bb.149:
	s_and_not1_b32 vcc_lo, exec_lo, s2
	s_cbranch_vccnz .LBB47_151
; %bb.150:
	scratch_load_b64 v[97:98], v101, off
	ds_load_b64 v[118:119], v100
	s_waitcnt vmcnt(0) lgkmcnt(0)
	v_mul_f64 v[97:98], v[97:98], v[118:119]
	s_cbranch_execz .LBB47_152
	s_branch .LBB47_153
.LBB47_151:
                                        ; implicit-def: $vgpr97_vgpr98
.LBB47_152:
	ds_load_b64 v[97:98], v100
.LBB47_153:
	s_and_saveexec_b32 s4, s0
	s_cbranch_execz .LBB47_157
; %bb.154:
	v_subrev_nc_u32_e32 v118, 32, v0
	s_movk_i32 s5, 0x280
	s_mov_b32 s0, 0
.LBB47_155:                             ; =>This Inner Loop Header: Depth=1
	scratch_load_b64 v[119:120], v117, off
	v_dual_mov_b32 v121, s5 :: v_dual_add_nc_u32 v118, -1, v118
	v_add_nc_u32_e32 v117, 8, v117
	s_add_i32 s5, s5, 8
	ds_load_b64 v[121:122], v121
	v_cmp_eq_u32_e32 vcc_lo, 0, v118
	s_or_b32 s0, vcc_lo, s0
	s_waitcnt vmcnt(0) lgkmcnt(0)
	v_fma_f64 v[97:98], v[119:120], v[121:122], v[97:98]
	s_and_not1_b32 exec_lo, exec_lo, s0
	s_cbranch_execnz .LBB47_155
; %bb.156:
	s_or_b32 exec_lo, exec_lo, s0
.LBB47_157:
	s_delay_alu instid0(SALU_CYCLE_1)
	s_or_b32 exec_lo, exec_lo, s4
	v_mov_b32_e32 v117, 0
	ds_load_b64 v[117:118], v117 offset:248
	s_waitcnt lgkmcnt(0)
	v_mul_f64 v[97:98], v[97:98], v[117:118]
	scratch_store_b64 off, v[97:98], off offset:248
.LBB47_158:
	s_or_b32 exec_lo, exec_lo, s3
	scratch_load_b64 v[97:98], off, off offset:240
	v_cmp_lt_u32_e64 s0, 30, v0
	s_waitcnt vmcnt(0)
	ds_store_b64 v100, v[97:98]
	s_waitcnt lgkmcnt(0)
	s_waitcnt_vscnt null, 0x0
	s_barrier
	buffer_gl0_inv
	s_and_saveexec_b32 s3, s0
	s_cbranch_execz .LBB47_168
; %bb.159:
	s_and_not1_b32 vcc_lo, exec_lo, s2
	s_cbranch_vccnz .LBB47_161
; %bb.160:
	scratch_load_b64 v[97:98], v101, off
	ds_load_b64 v[117:118], v100
	s_waitcnt vmcnt(0) lgkmcnt(0)
	v_mul_f64 v[97:98], v[97:98], v[117:118]
	s_cbranch_execz .LBB47_162
	s_branch .LBB47_163
.LBB47_161:
                                        ; implicit-def: $vgpr97_vgpr98
.LBB47_162:
	ds_load_b64 v[97:98], v100
.LBB47_163:
	s_and_saveexec_b32 s4, s1
	s_cbranch_execz .LBB47_167
; %bb.164:
	v_mov_b32_e32 v117, 0
	v_subrev_nc_u32_e32 v118, 31, v0
	s_movk_i32 s5, 0x278
	s_mov_b32 s1, 0
	s_delay_alu instid0(VALU_DEP_2)
	v_add_nc_u32_e32 v117, 0xf8, v117
.LBB47_165:                             ; =>This Inner Loop Header: Depth=1
	scratch_load_b64 v[119:120], v117, off
	v_dual_mov_b32 v121, s5 :: v_dual_add_nc_u32 v118, -1, v118
	v_add_nc_u32_e32 v117, 8, v117
	s_add_i32 s5, s5, 8
	ds_load_b64 v[121:122], v121
	v_cmp_eq_u32_e32 vcc_lo, 0, v118
	s_or_b32 s1, vcc_lo, s1
	s_waitcnt vmcnt(0) lgkmcnt(0)
	v_fma_f64 v[97:98], v[119:120], v[121:122], v[97:98]
	s_and_not1_b32 exec_lo, exec_lo, s1
	s_cbranch_execnz .LBB47_165
; %bb.166:
	s_or_b32 exec_lo, exec_lo, s1
.LBB47_167:
	s_delay_alu instid0(SALU_CYCLE_1)
	s_or_b32 exec_lo, exec_lo, s4
	v_mov_b32_e32 v117, 0
	ds_load_b64 v[117:118], v117 offset:240
	s_waitcnt lgkmcnt(0)
	v_mul_f64 v[97:98], v[97:98], v[117:118]
	scratch_store_b64 off, v[97:98], off offset:240
.LBB47_168:
	s_or_b32 exec_lo, exec_lo, s3
	scratch_load_b64 v[97:98], off, off offset:232
	v_cmp_lt_u32_e64 s1, 29, v0
	s_waitcnt vmcnt(0)
	ds_store_b64 v100, v[97:98]
	s_waitcnt lgkmcnt(0)
	s_waitcnt_vscnt null, 0x0
	s_barrier
	buffer_gl0_inv
	s_and_saveexec_b32 s3, s1
	s_cbranch_execz .LBB47_178
; %bb.169:
	s_and_not1_b32 vcc_lo, exec_lo, s2
	s_cbranch_vccnz .LBB47_171
; %bb.170:
	scratch_load_b64 v[97:98], v101, off
	ds_load_b64 v[117:118], v100
	s_waitcnt vmcnt(0) lgkmcnt(0)
	v_mul_f64 v[97:98], v[97:98], v[117:118]
	s_cbranch_execz .LBB47_172
	s_branch .LBB47_173
.LBB47_171:
                                        ; implicit-def: $vgpr97_vgpr98
.LBB47_172:
	ds_load_b64 v[97:98], v100
.LBB47_173:
	s_and_saveexec_b32 s4, s0
	s_cbranch_execz .LBB47_177
; %bb.174:
	v_subrev_nc_u32_e32 v117, 30, v0
	s_movk_i32 s5, 0x270
	s_mov_b32 s0, 0
.LBB47_175:                             ; =>This Inner Loop Header: Depth=1
	scratch_load_b64 v[118:119], v116, off
	v_dual_mov_b32 v120, s5 :: v_dual_add_nc_u32 v117, -1, v117
	v_add_nc_u32_e32 v116, 8, v116
	s_add_i32 s5, s5, 8
	ds_load_b64 v[120:121], v120
	v_cmp_eq_u32_e32 vcc_lo, 0, v117
	s_or_b32 s0, vcc_lo, s0
	s_waitcnt vmcnt(0) lgkmcnt(0)
	v_fma_f64 v[97:98], v[118:119], v[120:121], v[97:98]
	s_and_not1_b32 exec_lo, exec_lo, s0
	s_cbranch_execnz .LBB47_175
; %bb.176:
	s_or_b32 exec_lo, exec_lo, s0
.LBB47_177:
	s_delay_alu instid0(SALU_CYCLE_1)
	s_or_b32 exec_lo, exec_lo, s4
	v_mov_b32_e32 v116, 0
	ds_load_b64 v[116:117], v116 offset:232
	s_waitcnt lgkmcnt(0)
	v_mul_f64 v[97:98], v[97:98], v[116:117]
	scratch_store_b64 off, v[97:98], off offset:232
.LBB47_178:
	s_or_b32 exec_lo, exec_lo, s3
	scratch_load_b64 v[97:98], off, off offset:224
	v_cmp_lt_u32_e64 s0, 28, v0
	s_waitcnt vmcnt(0)
	ds_store_b64 v100, v[97:98]
	s_waitcnt lgkmcnt(0)
	s_waitcnt_vscnt null, 0x0
	s_barrier
	buffer_gl0_inv
	s_and_saveexec_b32 s3, s0
	s_cbranch_execz .LBB47_188
; %bb.179:
	s_and_not1_b32 vcc_lo, exec_lo, s2
	s_cbranch_vccnz .LBB47_181
; %bb.180:
	scratch_load_b64 v[97:98], v101, off
	ds_load_b64 v[116:117], v100
	s_waitcnt vmcnt(0) lgkmcnt(0)
	v_mul_f64 v[97:98], v[97:98], v[116:117]
	s_cbranch_execz .LBB47_182
	s_branch .LBB47_183
.LBB47_181:
                                        ; implicit-def: $vgpr97_vgpr98
.LBB47_182:
	ds_load_b64 v[97:98], v100
.LBB47_183:
	s_and_saveexec_b32 s4, s1
	s_cbranch_execz .LBB47_187
; %bb.184:
	v_mov_b32_e32 v116, 0
	v_subrev_nc_u32_e32 v117, 29, v0
	s_movk_i32 s5, 0x268
	s_mov_b32 s1, 0
	s_delay_alu instid0(VALU_DEP_2)
	v_add_nc_u32_e32 v116, 0xe8, v116
.LBB47_185:                             ; =>This Inner Loop Header: Depth=1
	scratch_load_b64 v[118:119], v116, off
	v_dual_mov_b32 v120, s5 :: v_dual_add_nc_u32 v117, -1, v117
	v_add_nc_u32_e32 v116, 8, v116
	s_add_i32 s5, s5, 8
	ds_load_b64 v[120:121], v120
	v_cmp_eq_u32_e32 vcc_lo, 0, v117
	s_or_b32 s1, vcc_lo, s1
	s_waitcnt vmcnt(0) lgkmcnt(0)
	v_fma_f64 v[97:98], v[118:119], v[120:121], v[97:98]
	s_and_not1_b32 exec_lo, exec_lo, s1
	s_cbranch_execnz .LBB47_185
; %bb.186:
	s_or_b32 exec_lo, exec_lo, s1
.LBB47_187:
	s_delay_alu instid0(SALU_CYCLE_1)
	s_or_b32 exec_lo, exec_lo, s4
	v_mov_b32_e32 v116, 0
	ds_load_b64 v[116:117], v116 offset:224
	s_waitcnt lgkmcnt(0)
	v_mul_f64 v[97:98], v[97:98], v[116:117]
	scratch_store_b64 off, v[97:98], off offset:224
.LBB47_188:
	s_or_b32 exec_lo, exec_lo, s3
	scratch_load_b64 v[97:98], off, off offset:216
	v_cmp_lt_u32_e64 s1, 27, v0
	s_waitcnt vmcnt(0)
	ds_store_b64 v100, v[97:98]
	s_waitcnt lgkmcnt(0)
	s_waitcnt_vscnt null, 0x0
	s_barrier
	buffer_gl0_inv
	s_and_saveexec_b32 s3, s1
	s_cbranch_execz .LBB47_198
; %bb.189:
	s_and_not1_b32 vcc_lo, exec_lo, s2
	s_cbranch_vccnz .LBB47_191
; %bb.190:
	scratch_load_b64 v[97:98], v101, off
	ds_load_b64 v[116:117], v100
	s_waitcnt vmcnt(0) lgkmcnt(0)
	v_mul_f64 v[97:98], v[97:98], v[116:117]
	s_cbranch_execz .LBB47_192
	s_branch .LBB47_193
.LBB47_191:
                                        ; implicit-def: $vgpr97_vgpr98
.LBB47_192:
	ds_load_b64 v[97:98], v100
.LBB47_193:
	s_and_saveexec_b32 s4, s0
	s_cbranch_execz .LBB47_197
; %bb.194:
	v_subrev_nc_u32_e32 v116, 28, v0
	s_movk_i32 s5, 0x260
	s_mov_b32 s0, 0
.LBB47_195:                             ; =>This Inner Loop Header: Depth=1
	scratch_load_b64 v[117:118], v115, off
	v_dual_mov_b32 v119, s5 :: v_dual_add_nc_u32 v116, -1, v116
	v_add_nc_u32_e32 v115, 8, v115
	s_add_i32 s5, s5, 8
	ds_load_b64 v[119:120], v119
	v_cmp_eq_u32_e32 vcc_lo, 0, v116
	s_or_b32 s0, vcc_lo, s0
	s_waitcnt vmcnt(0) lgkmcnt(0)
	v_fma_f64 v[97:98], v[117:118], v[119:120], v[97:98]
	s_and_not1_b32 exec_lo, exec_lo, s0
	s_cbranch_execnz .LBB47_195
; %bb.196:
	s_or_b32 exec_lo, exec_lo, s0
.LBB47_197:
	s_delay_alu instid0(SALU_CYCLE_1)
	s_or_b32 exec_lo, exec_lo, s4
	v_mov_b32_e32 v115, 0
	ds_load_b64 v[115:116], v115 offset:216
	s_waitcnt lgkmcnt(0)
	v_mul_f64 v[97:98], v[97:98], v[115:116]
	scratch_store_b64 off, v[97:98], off offset:216
.LBB47_198:
	s_or_b32 exec_lo, exec_lo, s3
	scratch_load_b64 v[97:98], off, off offset:208
	v_cmp_lt_u32_e64 s0, 26, v0
	s_waitcnt vmcnt(0)
	ds_store_b64 v100, v[97:98]
	s_waitcnt lgkmcnt(0)
	s_waitcnt_vscnt null, 0x0
	s_barrier
	buffer_gl0_inv
	s_and_saveexec_b32 s3, s0
	s_cbranch_execz .LBB47_208
; %bb.199:
	s_and_not1_b32 vcc_lo, exec_lo, s2
	s_cbranch_vccnz .LBB47_201
; %bb.200:
	scratch_load_b64 v[97:98], v101, off
	ds_load_b64 v[115:116], v100
	s_waitcnt vmcnt(0) lgkmcnt(0)
	v_mul_f64 v[97:98], v[97:98], v[115:116]
	s_cbranch_execz .LBB47_202
	s_branch .LBB47_203
.LBB47_201:
                                        ; implicit-def: $vgpr97_vgpr98
.LBB47_202:
	ds_load_b64 v[97:98], v100
.LBB47_203:
	s_and_saveexec_b32 s4, s1
	s_cbranch_execz .LBB47_207
; %bb.204:
	v_mov_b32_e32 v115, 0
	v_subrev_nc_u32_e32 v116, 27, v0
	s_movk_i32 s5, 0x258
	s_mov_b32 s1, 0
	s_delay_alu instid0(VALU_DEP_2)
	v_add_nc_u32_e32 v115, 0xd8, v115
.LBB47_205:                             ; =>This Inner Loop Header: Depth=1
	scratch_load_b64 v[117:118], v115, off
	v_dual_mov_b32 v119, s5 :: v_dual_add_nc_u32 v116, -1, v116
	v_add_nc_u32_e32 v115, 8, v115
	s_add_i32 s5, s5, 8
	ds_load_b64 v[119:120], v119
	v_cmp_eq_u32_e32 vcc_lo, 0, v116
	s_or_b32 s1, vcc_lo, s1
	s_waitcnt vmcnt(0) lgkmcnt(0)
	v_fma_f64 v[97:98], v[117:118], v[119:120], v[97:98]
	s_and_not1_b32 exec_lo, exec_lo, s1
	s_cbranch_execnz .LBB47_205
; %bb.206:
	s_or_b32 exec_lo, exec_lo, s1
.LBB47_207:
	s_delay_alu instid0(SALU_CYCLE_1)
	s_or_b32 exec_lo, exec_lo, s4
	v_mov_b32_e32 v115, 0
	ds_load_b64 v[115:116], v115 offset:208
	s_waitcnt lgkmcnt(0)
	v_mul_f64 v[97:98], v[97:98], v[115:116]
	scratch_store_b64 off, v[97:98], off offset:208
.LBB47_208:
	s_or_b32 exec_lo, exec_lo, s3
	scratch_load_b64 v[97:98], off, off offset:200
	v_cmp_lt_u32_e64 s1, 25, v0
	s_waitcnt vmcnt(0)
	ds_store_b64 v100, v[97:98]
	s_waitcnt lgkmcnt(0)
	s_waitcnt_vscnt null, 0x0
	s_barrier
	buffer_gl0_inv
	s_and_saveexec_b32 s3, s1
	s_cbranch_execz .LBB47_218
; %bb.209:
	s_and_not1_b32 vcc_lo, exec_lo, s2
	s_cbranch_vccnz .LBB47_211
; %bb.210:
	scratch_load_b64 v[97:98], v101, off
	ds_load_b64 v[115:116], v100
	s_waitcnt vmcnt(0) lgkmcnt(0)
	v_mul_f64 v[97:98], v[97:98], v[115:116]
	s_cbranch_execz .LBB47_212
	s_branch .LBB47_213
.LBB47_211:
                                        ; implicit-def: $vgpr97_vgpr98
.LBB47_212:
	ds_load_b64 v[97:98], v100
.LBB47_213:
	s_and_saveexec_b32 s4, s0
	s_cbranch_execz .LBB47_217
; %bb.214:
	v_subrev_nc_u32_e32 v115, 26, v0
	s_movk_i32 s5, 0x250
	s_mov_b32 s0, 0
.LBB47_215:                             ; =>This Inner Loop Header: Depth=1
	scratch_load_b64 v[116:117], v114, off
	v_dual_mov_b32 v118, s5 :: v_dual_add_nc_u32 v115, -1, v115
	v_add_nc_u32_e32 v114, 8, v114
	s_add_i32 s5, s5, 8
	ds_load_b64 v[118:119], v118
	v_cmp_eq_u32_e32 vcc_lo, 0, v115
	s_or_b32 s0, vcc_lo, s0
	s_waitcnt vmcnt(0) lgkmcnt(0)
	v_fma_f64 v[97:98], v[116:117], v[118:119], v[97:98]
	s_and_not1_b32 exec_lo, exec_lo, s0
	s_cbranch_execnz .LBB47_215
; %bb.216:
	s_or_b32 exec_lo, exec_lo, s0
.LBB47_217:
	s_delay_alu instid0(SALU_CYCLE_1)
	s_or_b32 exec_lo, exec_lo, s4
	v_mov_b32_e32 v114, 0
	ds_load_b64 v[114:115], v114 offset:200
	s_waitcnt lgkmcnt(0)
	v_mul_f64 v[97:98], v[97:98], v[114:115]
	scratch_store_b64 off, v[97:98], off offset:200
.LBB47_218:
	s_or_b32 exec_lo, exec_lo, s3
	scratch_load_b64 v[97:98], off, off offset:192
	v_cmp_lt_u32_e64 s0, 24, v0
	s_waitcnt vmcnt(0)
	ds_store_b64 v100, v[97:98]
	s_waitcnt lgkmcnt(0)
	s_waitcnt_vscnt null, 0x0
	s_barrier
	buffer_gl0_inv
	s_and_saveexec_b32 s3, s0
	s_cbranch_execz .LBB47_228
; %bb.219:
	s_and_not1_b32 vcc_lo, exec_lo, s2
	s_cbranch_vccnz .LBB47_221
; %bb.220:
	scratch_load_b64 v[97:98], v101, off
	ds_load_b64 v[114:115], v100
	s_waitcnt vmcnt(0) lgkmcnt(0)
	v_mul_f64 v[97:98], v[97:98], v[114:115]
	s_cbranch_execz .LBB47_222
	s_branch .LBB47_223
.LBB47_221:
                                        ; implicit-def: $vgpr97_vgpr98
.LBB47_222:
	ds_load_b64 v[97:98], v100
.LBB47_223:
	s_and_saveexec_b32 s4, s1
	s_cbranch_execz .LBB47_227
; %bb.224:
	v_mov_b32_e32 v114, 0
	v_subrev_nc_u32_e32 v115, 25, v0
	s_movk_i32 s5, 0x248
	s_mov_b32 s1, 0
	s_delay_alu instid0(VALU_DEP_2)
	v_add_nc_u32_e32 v114, 0xc8, v114
.LBB47_225:                             ; =>This Inner Loop Header: Depth=1
	scratch_load_b64 v[116:117], v114, off
	v_dual_mov_b32 v118, s5 :: v_dual_add_nc_u32 v115, -1, v115
	v_add_nc_u32_e32 v114, 8, v114
	s_add_i32 s5, s5, 8
	ds_load_b64 v[118:119], v118
	v_cmp_eq_u32_e32 vcc_lo, 0, v115
	s_or_b32 s1, vcc_lo, s1
	s_waitcnt vmcnt(0) lgkmcnt(0)
	v_fma_f64 v[97:98], v[116:117], v[118:119], v[97:98]
	s_and_not1_b32 exec_lo, exec_lo, s1
	s_cbranch_execnz .LBB47_225
; %bb.226:
	s_or_b32 exec_lo, exec_lo, s1
.LBB47_227:
	s_delay_alu instid0(SALU_CYCLE_1)
	s_or_b32 exec_lo, exec_lo, s4
	v_mov_b32_e32 v114, 0
	ds_load_b64 v[114:115], v114 offset:192
	s_waitcnt lgkmcnt(0)
	v_mul_f64 v[97:98], v[97:98], v[114:115]
	scratch_store_b64 off, v[97:98], off offset:192
.LBB47_228:
	s_or_b32 exec_lo, exec_lo, s3
	scratch_load_b64 v[97:98], off, off offset:184
	v_cmp_lt_u32_e64 s1, 23, v0
	s_waitcnt vmcnt(0)
	ds_store_b64 v100, v[97:98]
	s_waitcnt lgkmcnt(0)
	s_waitcnt_vscnt null, 0x0
	s_barrier
	buffer_gl0_inv
	s_and_saveexec_b32 s3, s1
	s_cbranch_execz .LBB47_238
; %bb.229:
	s_and_not1_b32 vcc_lo, exec_lo, s2
	s_cbranch_vccnz .LBB47_231
; %bb.230:
	scratch_load_b64 v[97:98], v101, off
	ds_load_b64 v[114:115], v100
	s_waitcnt vmcnt(0) lgkmcnt(0)
	v_mul_f64 v[97:98], v[97:98], v[114:115]
	s_cbranch_execz .LBB47_232
	s_branch .LBB47_233
.LBB47_231:
                                        ; implicit-def: $vgpr97_vgpr98
.LBB47_232:
	ds_load_b64 v[97:98], v100
.LBB47_233:
	s_and_saveexec_b32 s4, s0
	s_cbranch_execz .LBB47_237
; %bb.234:
	v_subrev_nc_u32_e32 v114, 24, v0
	s_movk_i32 s5, 0x240
	s_mov_b32 s0, 0
.LBB47_235:                             ; =>This Inner Loop Header: Depth=1
	scratch_load_b64 v[115:116], v113, off
	v_dual_mov_b32 v117, s5 :: v_dual_add_nc_u32 v114, -1, v114
	v_add_nc_u32_e32 v113, 8, v113
	s_add_i32 s5, s5, 8
	ds_load_b64 v[117:118], v117
	v_cmp_eq_u32_e32 vcc_lo, 0, v114
	s_or_b32 s0, vcc_lo, s0
	s_waitcnt vmcnt(0) lgkmcnt(0)
	v_fma_f64 v[97:98], v[115:116], v[117:118], v[97:98]
	s_and_not1_b32 exec_lo, exec_lo, s0
	s_cbranch_execnz .LBB47_235
; %bb.236:
	s_or_b32 exec_lo, exec_lo, s0
.LBB47_237:
	s_delay_alu instid0(SALU_CYCLE_1)
	s_or_b32 exec_lo, exec_lo, s4
	v_mov_b32_e32 v113, 0
	ds_load_b64 v[113:114], v113 offset:184
	s_waitcnt lgkmcnt(0)
	v_mul_f64 v[97:98], v[97:98], v[113:114]
	scratch_store_b64 off, v[97:98], off offset:184
.LBB47_238:
	s_or_b32 exec_lo, exec_lo, s3
	scratch_load_b64 v[97:98], off, off offset:176
	v_cmp_lt_u32_e64 s0, 22, v0
	s_waitcnt vmcnt(0)
	ds_store_b64 v100, v[97:98]
	s_waitcnt lgkmcnt(0)
	s_waitcnt_vscnt null, 0x0
	s_barrier
	buffer_gl0_inv
	s_and_saveexec_b32 s3, s0
	s_cbranch_execz .LBB47_248
; %bb.239:
	s_and_not1_b32 vcc_lo, exec_lo, s2
	s_cbranch_vccnz .LBB47_241
; %bb.240:
	scratch_load_b64 v[97:98], v101, off
	ds_load_b64 v[113:114], v100
	s_waitcnt vmcnt(0) lgkmcnt(0)
	v_mul_f64 v[97:98], v[97:98], v[113:114]
	s_cbranch_execz .LBB47_242
	s_branch .LBB47_243
.LBB47_241:
                                        ; implicit-def: $vgpr97_vgpr98
.LBB47_242:
	ds_load_b64 v[97:98], v100
.LBB47_243:
	s_and_saveexec_b32 s4, s1
	s_cbranch_execz .LBB47_247
; %bb.244:
	v_mov_b32_e32 v113, 0
	v_subrev_nc_u32_e32 v114, 23, v0
	s_movk_i32 s5, 0x238
	s_mov_b32 s1, 0
	s_delay_alu instid0(VALU_DEP_2)
	v_add_nc_u32_e32 v113, 0xb8, v113
.LBB47_245:                             ; =>This Inner Loop Header: Depth=1
	scratch_load_b64 v[115:116], v113, off
	v_dual_mov_b32 v117, s5 :: v_dual_add_nc_u32 v114, -1, v114
	v_add_nc_u32_e32 v113, 8, v113
	s_add_i32 s5, s5, 8
	ds_load_b64 v[117:118], v117
	v_cmp_eq_u32_e32 vcc_lo, 0, v114
	s_or_b32 s1, vcc_lo, s1
	s_waitcnt vmcnt(0) lgkmcnt(0)
	v_fma_f64 v[97:98], v[115:116], v[117:118], v[97:98]
	s_and_not1_b32 exec_lo, exec_lo, s1
	s_cbranch_execnz .LBB47_245
; %bb.246:
	s_or_b32 exec_lo, exec_lo, s1
.LBB47_247:
	s_delay_alu instid0(SALU_CYCLE_1)
	s_or_b32 exec_lo, exec_lo, s4
	v_mov_b32_e32 v113, 0
	ds_load_b64 v[113:114], v113 offset:176
	s_waitcnt lgkmcnt(0)
	v_mul_f64 v[97:98], v[97:98], v[113:114]
	scratch_store_b64 off, v[97:98], off offset:176
.LBB47_248:
	s_or_b32 exec_lo, exec_lo, s3
	scratch_load_b64 v[97:98], off, off offset:168
	v_cmp_lt_u32_e64 s1, 21, v0
	s_waitcnt vmcnt(0)
	ds_store_b64 v100, v[97:98]
	s_waitcnt lgkmcnt(0)
	s_waitcnt_vscnt null, 0x0
	s_barrier
	buffer_gl0_inv
	s_and_saveexec_b32 s3, s1
	s_cbranch_execz .LBB47_258
; %bb.249:
	s_and_not1_b32 vcc_lo, exec_lo, s2
	s_cbranch_vccnz .LBB47_251
; %bb.250:
	scratch_load_b64 v[97:98], v101, off
	ds_load_b64 v[113:114], v100
	s_waitcnt vmcnt(0) lgkmcnt(0)
	v_mul_f64 v[97:98], v[97:98], v[113:114]
	s_cbranch_execz .LBB47_252
	s_branch .LBB47_253
.LBB47_251:
                                        ; implicit-def: $vgpr97_vgpr98
.LBB47_252:
	ds_load_b64 v[97:98], v100
.LBB47_253:
	s_and_saveexec_b32 s4, s0
	s_cbranch_execz .LBB47_257
; %bb.254:
	v_subrev_nc_u32_e32 v113, 22, v0
	s_movk_i32 s5, 0x230
	s_mov_b32 s0, 0
.LBB47_255:                             ; =>This Inner Loop Header: Depth=1
	scratch_load_b64 v[114:115], v112, off
	v_dual_mov_b32 v116, s5 :: v_dual_add_nc_u32 v113, -1, v113
	v_add_nc_u32_e32 v112, 8, v112
	s_add_i32 s5, s5, 8
	ds_load_b64 v[116:117], v116
	v_cmp_eq_u32_e32 vcc_lo, 0, v113
	s_or_b32 s0, vcc_lo, s0
	s_waitcnt vmcnt(0) lgkmcnt(0)
	v_fma_f64 v[97:98], v[114:115], v[116:117], v[97:98]
	s_and_not1_b32 exec_lo, exec_lo, s0
	s_cbranch_execnz .LBB47_255
; %bb.256:
	s_or_b32 exec_lo, exec_lo, s0
.LBB47_257:
	s_delay_alu instid0(SALU_CYCLE_1)
	s_or_b32 exec_lo, exec_lo, s4
	v_mov_b32_e32 v112, 0
	ds_load_b64 v[112:113], v112 offset:168
	s_waitcnt lgkmcnt(0)
	v_mul_f64 v[97:98], v[97:98], v[112:113]
	scratch_store_b64 off, v[97:98], off offset:168
.LBB47_258:
	s_or_b32 exec_lo, exec_lo, s3
	scratch_load_b64 v[97:98], off, off offset:160
	v_cmp_lt_u32_e64 s0, 20, v0
	s_waitcnt vmcnt(0)
	ds_store_b64 v100, v[97:98]
	s_waitcnt lgkmcnt(0)
	s_waitcnt_vscnt null, 0x0
	s_barrier
	buffer_gl0_inv
	s_and_saveexec_b32 s3, s0
	s_cbranch_execz .LBB47_268
; %bb.259:
	s_and_not1_b32 vcc_lo, exec_lo, s2
	s_cbranch_vccnz .LBB47_261
; %bb.260:
	scratch_load_b64 v[97:98], v101, off
	ds_load_b64 v[112:113], v100
	s_waitcnt vmcnt(0) lgkmcnt(0)
	v_mul_f64 v[97:98], v[97:98], v[112:113]
	s_cbranch_execz .LBB47_262
	s_branch .LBB47_263
.LBB47_261:
                                        ; implicit-def: $vgpr97_vgpr98
.LBB47_262:
	ds_load_b64 v[97:98], v100
.LBB47_263:
	s_and_saveexec_b32 s4, s1
	s_cbranch_execz .LBB47_267
; %bb.264:
	v_mov_b32_e32 v112, 0
	v_subrev_nc_u32_e32 v113, 21, v0
	s_movk_i32 s5, 0x228
	s_mov_b32 s1, 0
	s_delay_alu instid0(VALU_DEP_2)
	v_add_nc_u32_e32 v112, 0xa8, v112
.LBB47_265:                             ; =>This Inner Loop Header: Depth=1
	scratch_load_b64 v[114:115], v112, off
	v_dual_mov_b32 v116, s5 :: v_dual_add_nc_u32 v113, -1, v113
	v_add_nc_u32_e32 v112, 8, v112
	s_add_i32 s5, s5, 8
	ds_load_b64 v[116:117], v116
	v_cmp_eq_u32_e32 vcc_lo, 0, v113
	s_or_b32 s1, vcc_lo, s1
	s_waitcnt vmcnt(0) lgkmcnt(0)
	v_fma_f64 v[97:98], v[114:115], v[116:117], v[97:98]
	s_and_not1_b32 exec_lo, exec_lo, s1
	s_cbranch_execnz .LBB47_265
; %bb.266:
	s_or_b32 exec_lo, exec_lo, s1
.LBB47_267:
	s_delay_alu instid0(SALU_CYCLE_1)
	s_or_b32 exec_lo, exec_lo, s4
	v_mov_b32_e32 v112, 0
	ds_load_b64 v[112:113], v112 offset:160
	s_waitcnt lgkmcnt(0)
	v_mul_f64 v[97:98], v[97:98], v[112:113]
	scratch_store_b64 off, v[97:98], off offset:160
.LBB47_268:
	s_or_b32 exec_lo, exec_lo, s3
	scratch_load_b64 v[97:98], off, off offset:152
	v_cmp_lt_u32_e64 s1, 19, v0
	s_waitcnt vmcnt(0)
	ds_store_b64 v100, v[97:98]
	s_waitcnt lgkmcnt(0)
	s_waitcnt_vscnt null, 0x0
	s_barrier
	buffer_gl0_inv
	s_and_saveexec_b32 s3, s1
	s_cbranch_execz .LBB47_278
; %bb.269:
	s_and_not1_b32 vcc_lo, exec_lo, s2
	s_cbranch_vccnz .LBB47_271
; %bb.270:
	scratch_load_b64 v[97:98], v101, off
	ds_load_b64 v[112:113], v100
	s_waitcnt vmcnt(0) lgkmcnt(0)
	v_mul_f64 v[97:98], v[97:98], v[112:113]
	s_cbranch_execz .LBB47_272
	s_branch .LBB47_273
.LBB47_271:
                                        ; implicit-def: $vgpr97_vgpr98
.LBB47_272:
	ds_load_b64 v[97:98], v100
.LBB47_273:
	s_and_saveexec_b32 s4, s0
	s_cbranch_execz .LBB47_277
; %bb.274:
	v_subrev_nc_u32_e32 v112, 20, v0
	s_movk_i32 s5, 0x220
	s_mov_b32 s0, 0
.LBB47_275:                             ; =>This Inner Loop Header: Depth=1
	scratch_load_b64 v[113:114], v111, off
	v_dual_mov_b32 v115, s5 :: v_dual_add_nc_u32 v112, -1, v112
	v_add_nc_u32_e32 v111, 8, v111
	s_add_i32 s5, s5, 8
	ds_load_b64 v[115:116], v115
	v_cmp_eq_u32_e32 vcc_lo, 0, v112
	s_or_b32 s0, vcc_lo, s0
	s_waitcnt vmcnt(0) lgkmcnt(0)
	v_fma_f64 v[97:98], v[113:114], v[115:116], v[97:98]
	s_and_not1_b32 exec_lo, exec_lo, s0
	s_cbranch_execnz .LBB47_275
; %bb.276:
	s_or_b32 exec_lo, exec_lo, s0
.LBB47_277:
	s_delay_alu instid0(SALU_CYCLE_1)
	s_or_b32 exec_lo, exec_lo, s4
	v_mov_b32_e32 v111, 0
	ds_load_b64 v[111:112], v111 offset:152
	s_waitcnt lgkmcnt(0)
	v_mul_f64 v[97:98], v[97:98], v[111:112]
	scratch_store_b64 off, v[97:98], off offset:152
.LBB47_278:
	s_or_b32 exec_lo, exec_lo, s3
	scratch_load_b64 v[97:98], off, off offset:144
	v_cmp_lt_u32_e64 s0, 18, v0
	s_waitcnt vmcnt(0)
	ds_store_b64 v100, v[97:98]
	s_waitcnt lgkmcnt(0)
	s_waitcnt_vscnt null, 0x0
	s_barrier
	buffer_gl0_inv
	s_and_saveexec_b32 s3, s0
	s_cbranch_execz .LBB47_288
; %bb.279:
	s_and_not1_b32 vcc_lo, exec_lo, s2
	s_cbranch_vccnz .LBB47_281
; %bb.280:
	scratch_load_b64 v[97:98], v101, off
	ds_load_b64 v[111:112], v100
	s_waitcnt vmcnt(0) lgkmcnt(0)
	v_mul_f64 v[97:98], v[97:98], v[111:112]
	s_cbranch_execz .LBB47_282
	s_branch .LBB47_283
.LBB47_281:
                                        ; implicit-def: $vgpr97_vgpr98
.LBB47_282:
	ds_load_b64 v[97:98], v100
.LBB47_283:
	s_and_saveexec_b32 s4, s1
	s_cbranch_execz .LBB47_287
; %bb.284:
	v_mov_b32_e32 v111, 0
	v_subrev_nc_u32_e32 v112, 19, v0
	s_movk_i32 s5, 0x218
	s_mov_b32 s1, 0
	s_delay_alu instid0(VALU_DEP_2)
	v_add_nc_u32_e32 v111, 0x98, v111
.LBB47_285:                             ; =>This Inner Loop Header: Depth=1
	scratch_load_b64 v[113:114], v111, off
	v_dual_mov_b32 v115, s5 :: v_dual_add_nc_u32 v112, -1, v112
	v_add_nc_u32_e32 v111, 8, v111
	s_add_i32 s5, s5, 8
	ds_load_b64 v[115:116], v115
	v_cmp_eq_u32_e32 vcc_lo, 0, v112
	s_or_b32 s1, vcc_lo, s1
	s_waitcnt vmcnt(0) lgkmcnt(0)
	v_fma_f64 v[97:98], v[113:114], v[115:116], v[97:98]
	s_and_not1_b32 exec_lo, exec_lo, s1
	s_cbranch_execnz .LBB47_285
; %bb.286:
	s_or_b32 exec_lo, exec_lo, s1
.LBB47_287:
	s_delay_alu instid0(SALU_CYCLE_1)
	s_or_b32 exec_lo, exec_lo, s4
	v_mov_b32_e32 v111, 0
	ds_load_b64 v[111:112], v111 offset:144
	s_waitcnt lgkmcnt(0)
	v_mul_f64 v[97:98], v[97:98], v[111:112]
	scratch_store_b64 off, v[97:98], off offset:144
.LBB47_288:
	s_or_b32 exec_lo, exec_lo, s3
	scratch_load_b64 v[97:98], off, off offset:136
	v_cmp_lt_u32_e64 s1, 17, v0
	s_waitcnt vmcnt(0)
	ds_store_b64 v100, v[97:98]
	s_waitcnt lgkmcnt(0)
	s_waitcnt_vscnt null, 0x0
	s_barrier
	buffer_gl0_inv
	s_and_saveexec_b32 s3, s1
	s_cbranch_execz .LBB47_298
; %bb.289:
	s_and_not1_b32 vcc_lo, exec_lo, s2
	s_cbranch_vccnz .LBB47_291
; %bb.290:
	scratch_load_b64 v[97:98], v101, off
	ds_load_b64 v[111:112], v100
	s_waitcnt vmcnt(0) lgkmcnt(0)
	v_mul_f64 v[97:98], v[97:98], v[111:112]
	s_cbranch_execz .LBB47_292
	s_branch .LBB47_293
.LBB47_291:
                                        ; implicit-def: $vgpr97_vgpr98
.LBB47_292:
	ds_load_b64 v[97:98], v100
.LBB47_293:
	s_and_saveexec_b32 s4, s0
	s_cbranch_execz .LBB47_297
; %bb.294:
	v_subrev_nc_u32_e32 v111, 18, v0
	s_movk_i32 s5, 0x210
	s_mov_b32 s0, 0
.LBB47_295:                             ; =>This Inner Loop Header: Depth=1
	scratch_load_b64 v[112:113], v110, off
	v_dual_mov_b32 v114, s5 :: v_dual_add_nc_u32 v111, -1, v111
	v_add_nc_u32_e32 v110, 8, v110
	s_add_i32 s5, s5, 8
	ds_load_b64 v[114:115], v114
	v_cmp_eq_u32_e32 vcc_lo, 0, v111
	s_or_b32 s0, vcc_lo, s0
	s_waitcnt vmcnt(0) lgkmcnt(0)
	v_fma_f64 v[97:98], v[112:113], v[114:115], v[97:98]
	s_and_not1_b32 exec_lo, exec_lo, s0
	s_cbranch_execnz .LBB47_295
; %bb.296:
	s_or_b32 exec_lo, exec_lo, s0
.LBB47_297:
	s_delay_alu instid0(SALU_CYCLE_1)
	s_or_b32 exec_lo, exec_lo, s4
	v_mov_b32_e32 v110, 0
	ds_load_b64 v[110:111], v110 offset:136
	s_waitcnt lgkmcnt(0)
	v_mul_f64 v[97:98], v[97:98], v[110:111]
	scratch_store_b64 off, v[97:98], off offset:136
.LBB47_298:
	s_or_b32 exec_lo, exec_lo, s3
	scratch_load_b64 v[97:98], off, off offset:128
	v_cmp_lt_u32_e64 s0, 16, v0
	s_waitcnt vmcnt(0)
	ds_store_b64 v100, v[97:98]
	s_waitcnt lgkmcnt(0)
	s_waitcnt_vscnt null, 0x0
	s_barrier
	buffer_gl0_inv
	s_and_saveexec_b32 s3, s0
	s_cbranch_execz .LBB47_308
; %bb.299:
	s_and_not1_b32 vcc_lo, exec_lo, s2
	s_cbranch_vccnz .LBB47_301
; %bb.300:
	scratch_load_b64 v[97:98], v101, off
	ds_load_b64 v[110:111], v100
	s_waitcnt vmcnt(0) lgkmcnt(0)
	v_mul_f64 v[97:98], v[97:98], v[110:111]
	s_cbranch_execz .LBB47_302
	s_branch .LBB47_303
.LBB47_301:
                                        ; implicit-def: $vgpr97_vgpr98
.LBB47_302:
	ds_load_b64 v[97:98], v100
.LBB47_303:
	s_and_saveexec_b32 s4, s1
	s_cbranch_execz .LBB47_307
; %bb.304:
	v_mov_b32_e32 v110, 0
	v_subrev_nc_u32_e32 v111, 17, v0
	s_movk_i32 s5, 0x208
	s_mov_b32 s1, 0
	s_delay_alu instid0(VALU_DEP_2)
	v_add_nc_u32_e32 v110, 0x88, v110
.LBB47_305:                             ; =>This Inner Loop Header: Depth=1
	scratch_load_b64 v[112:113], v110, off
	v_dual_mov_b32 v114, s5 :: v_dual_add_nc_u32 v111, -1, v111
	v_add_nc_u32_e32 v110, 8, v110
	s_add_i32 s5, s5, 8
	ds_load_b64 v[114:115], v114
	v_cmp_eq_u32_e32 vcc_lo, 0, v111
	s_or_b32 s1, vcc_lo, s1
	s_waitcnt vmcnt(0) lgkmcnt(0)
	v_fma_f64 v[97:98], v[112:113], v[114:115], v[97:98]
	s_and_not1_b32 exec_lo, exec_lo, s1
	s_cbranch_execnz .LBB47_305
; %bb.306:
	s_or_b32 exec_lo, exec_lo, s1
.LBB47_307:
	s_delay_alu instid0(SALU_CYCLE_1)
	s_or_b32 exec_lo, exec_lo, s4
	v_mov_b32_e32 v110, 0
	ds_load_b64 v[110:111], v110 offset:128
	s_waitcnt lgkmcnt(0)
	v_mul_f64 v[97:98], v[97:98], v[110:111]
	scratch_store_b64 off, v[97:98], off offset:128
.LBB47_308:
	s_or_b32 exec_lo, exec_lo, s3
	scratch_load_b64 v[97:98], off, off offset:120
	v_cmp_lt_u32_e64 s1, 15, v0
	s_waitcnt vmcnt(0)
	ds_store_b64 v100, v[97:98]
	s_waitcnt lgkmcnt(0)
	s_waitcnt_vscnt null, 0x0
	s_barrier
	buffer_gl0_inv
	s_and_saveexec_b32 s3, s1
	s_cbranch_execz .LBB47_318
; %bb.309:
	s_and_not1_b32 vcc_lo, exec_lo, s2
	s_cbranch_vccnz .LBB47_311
; %bb.310:
	scratch_load_b64 v[97:98], v101, off
	ds_load_b64 v[110:111], v100
	s_waitcnt vmcnt(0) lgkmcnt(0)
	v_mul_f64 v[97:98], v[97:98], v[110:111]
	s_cbranch_execz .LBB47_312
	s_branch .LBB47_313
.LBB47_311:
                                        ; implicit-def: $vgpr97_vgpr98
.LBB47_312:
	ds_load_b64 v[97:98], v100
.LBB47_313:
	s_and_saveexec_b32 s4, s0
	s_cbranch_execz .LBB47_317
; %bb.314:
	v_add_nc_u32_e32 v110, -16, v0
	s_movk_i32 s5, 0x200
	s_mov_b32 s0, 0
.LBB47_315:                             ; =>This Inner Loop Header: Depth=1
	scratch_load_b64 v[111:112], v109, off
	v_dual_mov_b32 v113, s5 :: v_dual_add_nc_u32 v110, -1, v110
	v_add_nc_u32_e32 v109, 8, v109
	s_add_i32 s5, s5, 8
	ds_load_b64 v[113:114], v113
	v_cmp_eq_u32_e32 vcc_lo, 0, v110
	s_or_b32 s0, vcc_lo, s0
	s_waitcnt vmcnt(0) lgkmcnt(0)
	v_fma_f64 v[97:98], v[111:112], v[113:114], v[97:98]
	s_and_not1_b32 exec_lo, exec_lo, s0
	s_cbranch_execnz .LBB47_315
; %bb.316:
	s_or_b32 exec_lo, exec_lo, s0
.LBB47_317:
	s_delay_alu instid0(SALU_CYCLE_1)
	s_or_b32 exec_lo, exec_lo, s4
	v_mov_b32_e32 v109, 0
	ds_load_b64 v[109:110], v109 offset:120
	s_waitcnt lgkmcnt(0)
	v_mul_f64 v[97:98], v[97:98], v[109:110]
	scratch_store_b64 off, v[97:98], off offset:120
.LBB47_318:
	s_or_b32 exec_lo, exec_lo, s3
	scratch_load_b64 v[97:98], off, off offset:112
	v_cmp_lt_u32_e64 s0, 14, v0
	s_waitcnt vmcnt(0)
	ds_store_b64 v100, v[97:98]
	s_waitcnt lgkmcnt(0)
	s_waitcnt_vscnt null, 0x0
	s_barrier
	buffer_gl0_inv
	s_and_saveexec_b32 s3, s0
	s_cbranch_execz .LBB47_328
; %bb.319:
	s_and_not1_b32 vcc_lo, exec_lo, s2
	s_cbranch_vccnz .LBB47_321
; %bb.320:
	scratch_load_b64 v[97:98], v101, off
	ds_load_b64 v[109:110], v100
	s_waitcnt vmcnt(0) lgkmcnt(0)
	v_mul_f64 v[97:98], v[97:98], v[109:110]
	s_cbranch_execz .LBB47_322
	s_branch .LBB47_323
.LBB47_321:
                                        ; implicit-def: $vgpr97_vgpr98
.LBB47_322:
	ds_load_b64 v[97:98], v100
.LBB47_323:
	s_and_saveexec_b32 s4, s1
	s_cbranch_execz .LBB47_327
; %bb.324:
	v_dual_mov_b32 v109, 0 :: v_dual_add_nc_u32 v110, -15, v0
	s_movk_i32 s5, 0x1f8
	s_mov_b32 s1, 0
	s_delay_alu instid0(VALU_DEP_1)
	v_add_nc_u32_e32 v109, 0x78, v109
.LBB47_325:                             ; =>This Inner Loop Header: Depth=1
	scratch_load_b64 v[111:112], v109, off
	v_dual_mov_b32 v113, s5 :: v_dual_add_nc_u32 v110, -1, v110
	v_add_nc_u32_e32 v109, 8, v109
	s_add_i32 s5, s5, 8
	ds_load_b64 v[113:114], v113
	v_cmp_eq_u32_e32 vcc_lo, 0, v110
	s_or_b32 s1, vcc_lo, s1
	s_waitcnt vmcnt(0) lgkmcnt(0)
	v_fma_f64 v[97:98], v[111:112], v[113:114], v[97:98]
	s_and_not1_b32 exec_lo, exec_lo, s1
	s_cbranch_execnz .LBB47_325
; %bb.326:
	s_or_b32 exec_lo, exec_lo, s1
.LBB47_327:
	s_delay_alu instid0(SALU_CYCLE_1)
	s_or_b32 exec_lo, exec_lo, s4
	v_mov_b32_e32 v109, 0
	ds_load_b64 v[109:110], v109 offset:112
	s_waitcnt lgkmcnt(0)
	v_mul_f64 v[97:98], v[97:98], v[109:110]
	scratch_store_b64 off, v[97:98], off offset:112
.LBB47_328:
	s_or_b32 exec_lo, exec_lo, s3
	scratch_load_b64 v[97:98], off, off offset:104
	v_cmp_lt_u32_e64 s1, 13, v0
	s_waitcnt vmcnt(0)
	ds_store_b64 v100, v[97:98]
	s_waitcnt lgkmcnt(0)
	s_waitcnt_vscnt null, 0x0
	s_barrier
	buffer_gl0_inv
	s_and_saveexec_b32 s3, s1
	s_cbranch_execz .LBB47_338
; %bb.329:
	s_and_not1_b32 vcc_lo, exec_lo, s2
	s_cbranch_vccnz .LBB47_331
; %bb.330:
	scratch_load_b64 v[97:98], v101, off
	ds_load_b64 v[109:110], v100
	s_waitcnt vmcnt(0) lgkmcnt(0)
	v_mul_f64 v[97:98], v[97:98], v[109:110]
	s_cbranch_execz .LBB47_332
	s_branch .LBB47_333
.LBB47_331:
                                        ; implicit-def: $vgpr97_vgpr98
.LBB47_332:
	ds_load_b64 v[97:98], v100
.LBB47_333:
	s_and_saveexec_b32 s4, s0
	s_cbranch_execz .LBB47_337
; %bb.334:
	v_add_nc_u32_e32 v109, -14, v0
	s_movk_i32 s5, 0x1f0
	s_mov_b32 s0, 0
.LBB47_335:                             ; =>This Inner Loop Header: Depth=1
	scratch_load_b64 v[110:111], v108, off
	v_dual_mov_b32 v112, s5 :: v_dual_add_nc_u32 v109, -1, v109
	v_add_nc_u32_e32 v108, 8, v108
	s_add_i32 s5, s5, 8
	ds_load_b64 v[112:113], v112
	v_cmp_eq_u32_e32 vcc_lo, 0, v109
	s_or_b32 s0, vcc_lo, s0
	s_waitcnt vmcnt(0) lgkmcnt(0)
	v_fma_f64 v[97:98], v[110:111], v[112:113], v[97:98]
	s_and_not1_b32 exec_lo, exec_lo, s0
	s_cbranch_execnz .LBB47_335
; %bb.336:
	s_or_b32 exec_lo, exec_lo, s0
.LBB47_337:
	s_delay_alu instid0(SALU_CYCLE_1)
	s_or_b32 exec_lo, exec_lo, s4
	v_mov_b32_e32 v108, 0
	ds_load_b64 v[108:109], v108 offset:104
	s_waitcnt lgkmcnt(0)
	v_mul_f64 v[97:98], v[97:98], v[108:109]
	scratch_store_b64 off, v[97:98], off offset:104
.LBB47_338:
	s_or_b32 exec_lo, exec_lo, s3
	scratch_load_b64 v[97:98], off, off offset:96
	v_cmp_lt_u32_e64 s0, 12, v0
	s_waitcnt vmcnt(0)
	ds_store_b64 v100, v[97:98]
	s_waitcnt lgkmcnt(0)
	s_waitcnt_vscnt null, 0x0
	s_barrier
	buffer_gl0_inv
	s_and_saveexec_b32 s3, s0
	s_cbranch_execz .LBB47_348
; %bb.339:
	s_and_not1_b32 vcc_lo, exec_lo, s2
	s_cbranch_vccnz .LBB47_341
; %bb.340:
	scratch_load_b64 v[97:98], v101, off
	ds_load_b64 v[108:109], v100
	s_waitcnt vmcnt(0) lgkmcnt(0)
	v_mul_f64 v[97:98], v[97:98], v[108:109]
	s_cbranch_execz .LBB47_342
	s_branch .LBB47_343
.LBB47_341:
                                        ; implicit-def: $vgpr97_vgpr98
.LBB47_342:
	ds_load_b64 v[97:98], v100
.LBB47_343:
	s_and_saveexec_b32 s4, s1
	s_cbranch_execz .LBB47_347
; %bb.344:
	v_dual_mov_b32 v108, 0 :: v_dual_add_nc_u32 v109, -13, v0
	s_movk_i32 s5, 0x1e8
	s_mov_b32 s1, 0
	s_delay_alu instid0(VALU_DEP_1)
	v_add_nc_u32_e32 v108, 0x68, v108
.LBB47_345:                             ; =>This Inner Loop Header: Depth=1
	scratch_load_b64 v[110:111], v108, off
	v_dual_mov_b32 v112, s5 :: v_dual_add_nc_u32 v109, -1, v109
	v_add_nc_u32_e32 v108, 8, v108
	s_add_i32 s5, s5, 8
	ds_load_b64 v[112:113], v112
	v_cmp_eq_u32_e32 vcc_lo, 0, v109
	s_or_b32 s1, vcc_lo, s1
	s_waitcnt vmcnt(0) lgkmcnt(0)
	v_fma_f64 v[97:98], v[110:111], v[112:113], v[97:98]
	s_and_not1_b32 exec_lo, exec_lo, s1
	s_cbranch_execnz .LBB47_345
; %bb.346:
	s_or_b32 exec_lo, exec_lo, s1
.LBB47_347:
	s_delay_alu instid0(SALU_CYCLE_1)
	s_or_b32 exec_lo, exec_lo, s4
	v_mov_b32_e32 v108, 0
	ds_load_b64 v[108:109], v108 offset:96
	s_waitcnt lgkmcnt(0)
	v_mul_f64 v[97:98], v[97:98], v[108:109]
	scratch_store_b64 off, v[97:98], off offset:96
.LBB47_348:
	s_or_b32 exec_lo, exec_lo, s3
	scratch_load_b64 v[97:98], off, off offset:88
	v_cmp_lt_u32_e64 s1, 11, v0
	s_waitcnt vmcnt(0)
	ds_store_b64 v100, v[97:98]
	s_waitcnt lgkmcnt(0)
	s_waitcnt_vscnt null, 0x0
	s_barrier
	buffer_gl0_inv
	s_and_saveexec_b32 s3, s1
	s_cbranch_execz .LBB47_358
; %bb.349:
	s_and_not1_b32 vcc_lo, exec_lo, s2
	s_cbranch_vccnz .LBB47_351
; %bb.350:
	scratch_load_b64 v[97:98], v101, off
	ds_load_b64 v[108:109], v100
	s_waitcnt vmcnt(0) lgkmcnt(0)
	v_mul_f64 v[97:98], v[97:98], v[108:109]
	s_cbranch_execz .LBB47_352
	s_branch .LBB47_353
.LBB47_351:
                                        ; implicit-def: $vgpr97_vgpr98
.LBB47_352:
	ds_load_b64 v[97:98], v100
.LBB47_353:
	s_and_saveexec_b32 s4, s0
	s_cbranch_execz .LBB47_357
; %bb.354:
	v_add_nc_u32_e32 v108, -12, v0
	s_movk_i32 s5, 0x1e0
	s_mov_b32 s0, 0
.LBB47_355:                             ; =>This Inner Loop Header: Depth=1
	scratch_load_b64 v[109:110], v107, off
	v_dual_mov_b32 v111, s5 :: v_dual_add_nc_u32 v108, -1, v108
	v_add_nc_u32_e32 v107, 8, v107
	s_add_i32 s5, s5, 8
	ds_load_b64 v[111:112], v111
	v_cmp_eq_u32_e32 vcc_lo, 0, v108
	s_or_b32 s0, vcc_lo, s0
	s_waitcnt vmcnt(0) lgkmcnt(0)
	v_fma_f64 v[97:98], v[109:110], v[111:112], v[97:98]
	s_and_not1_b32 exec_lo, exec_lo, s0
	s_cbranch_execnz .LBB47_355
; %bb.356:
	s_or_b32 exec_lo, exec_lo, s0
.LBB47_357:
	s_delay_alu instid0(SALU_CYCLE_1)
	s_or_b32 exec_lo, exec_lo, s4
	v_mov_b32_e32 v107, 0
	ds_load_b64 v[107:108], v107 offset:88
	s_waitcnt lgkmcnt(0)
	v_mul_f64 v[97:98], v[97:98], v[107:108]
	scratch_store_b64 off, v[97:98], off offset:88
.LBB47_358:
	s_or_b32 exec_lo, exec_lo, s3
	scratch_load_b64 v[97:98], off, off offset:80
	v_cmp_lt_u32_e64 s0, 10, v0
	s_waitcnt vmcnt(0)
	ds_store_b64 v100, v[97:98]
	s_waitcnt lgkmcnt(0)
	s_waitcnt_vscnt null, 0x0
	s_barrier
	buffer_gl0_inv
	s_and_saveexec_b32 s3, s0
	s_cbranch_execz .LBB47_368
; %bb.359:
	s_and_not1_b32 vcc_lo, exec_lo, s2
	s_cbranch_vccnz .LBB47_361
; %bb.360:
	scratch_load_b64 v[97:98], v101, off
	ds_load_b64 v[107:108], v100
	s_waitcnt vmcnt(0) lgkmcnt(0)
	v_mul_f64 v[97:98], v[97:98], v[107:108]
	s_cbranch_execz .LBB47_362
	s_branch .LBB47_363
.LBB47_361:
                                        ; implicit-def: $vgpr97_vgpr98
.LBB47_362:
	ds_load_b64 v[97:98], v100
.LBB47_363:
	s_and_saveexec_b32 s4, s1
	s_cbranch_execz .LBB47_367
; %bb.364:
	v_dual_mov_b32 v107, 0 :: v_dual_add_nc_u32 v108, -11, v0
	s_movk_i32 s5, 0x1d8
	s_mov_b32 s1, 0
	s_delay_alu instid0(VALU_DEP_1)
	v_add_nc_u32_e32 v107, 0x58, v107
.LBB47_365:                             ; =>This Inner Loop Header: Depth=1
	scratch_load_b64 v[109:110], v107, off
	v_dual_mov_b32 v111, s5 :: v_dual_add_nc_u32 v108, -1, v108
	v_add_nc_u32_e32 v107, 8, v107
	s_add_i32 s5, s5, 8
	ds_load_b64 v[111:112], v111
	v_cmp_eq_u32_e32 vcc_lo, 0, v108
	s_or_b32 s1, vcc_lo, s1
	s_waitcnt vmcnt(0) lgkmcnt(0)
	v_fma_f64 v[97:98], v[109:110], v[111:112], v[97:98]
	s_and_not1_b32 exec_lo, exec_lo, s1
	s_cbranch_execnz .LBB47_365
; %bb.366:
	s_or_b32 exec_lo, exec_lo, s1
.LBB47_367:
	s_delay_alu instid0(SALU_CYCLE_1)
	s_or_b32 exec_lo, exec_lo, s4
	v_mov_b32_e32 v107, 0
	ds_load_b64 v[107:108], v107 offset:80
	s_waitcnt lgkmcnt(0)
	v_mul_f64 v[97:98], v[97:98], v[107:108]
	scratch_store_b64 off, v[97:98], off offset:80
.LBB47_368:
	s_or_b32 exec_lo, exec_lo, s3
	scratch_load_b64 v[97:98], off, off offset:72
	v_cmp_lt_u32_e64 s1, 9, v0
	s_waitcnt vmcnt(0)
	ds_store_b64 v100, v[97:98]
	s_waitcnt lgkmcnt(0)
	s_waitcnt_vscnt null, 0x0
	s_barrier
	buffer_gl0_inv
	s_and_saveexec_b32 s3, s1
	s_cbranch_execz .LBB47_378
; %bb.369:
	s_and_not1_b32 vcc_lo, exec_lo, s2
	s_cbranch_vccnz .LBB47_371
; %bb.370:
	scratch_load_b64 v[97:98], v101, off
	ds_load_b64 v[107:108], v100
	s_waitcnt vmcnt(0) lgkmcnt(0)
	v_mul_f64 v[97:98], v[97:98], v[107:108]
	s_cbranch_execz .LBB47_372
	s_branch .LBB47_373
.LBB47_371:
                                        ; implicit-def: $vgpr97_vgpr98
.LBB47_372:
	ds_load_b64 v[97:98], v100
.LBB47_373:
	s_and_saveexec_b32 s4, s0
	s_cbranch_execz .LBB47_377
; %bb.374:
	v_add_nc_u32_e32 v107, -10, v0
	s_movk_i32 s5, 0x1d0
	s_mov_b32 s0, 0
.LBB47_375:                             ; =>This Inner Loop Header: Depth=1
	scratch_load_b64 v[108:109], v106, off
	v_dual_mov_b32 v110, s5 :: v_dual_add_nc_u32 v107, -1, v107
	v_add_nc_u32_e32 v106, 8, v106
	s_add_i32 s5, s5, 8
	ds_load_b64 v[110:111], v110
	v_cmp_eq_u32_e32 vcc_lo, 0, v107
	s_or_b32 s0, vcc_lo, s0
	s_waitcnt vmcnt(0) lgkmcnt(0)
	v_fma_f64 v[97:98], v[108:109], v[110:111], v[97:98]
	s_and_not1_b32 exec_lo, exec_lo, s0
	s_cbranch_execnz .LBB47_375
; %bb.376:
	s_or_b32 exec_lo, exec_lo, s0
.LBB47_377:
	s_delay_alu instid0(SALU_CYCLE_1)
	s_or_b32 exec_lo, exec_lo, s4
	v_mov_b32_e32 v106, 0
	ds_load_b64 v[106:107], v106 offset:72
	s_waitcnt lgkmcnt(0)
	v_mul_f64 v[97:98], v[97:98], v[106:107]
	scratch_store_b64 off, v[97:98], off offset:72
.LBB47_378:
	s_or_b32 exec_lo, exec_lo, s3
	scratch_load_b64 v[97:98], off, off offset:64
	v_cmp_lt_u32_e64 s0, 8, v0
	s_waitcnt vmcnt(0)
	ds_store_b64 v100, v[97:98]
	s_waitcnt lgkmcnt(0)
	s_waitcnt_vscnt null, 0x0
	s_barrier
	buffer_gl0_inv
	s_and_saveexec_b32 s3, s0
	s_cbranch_execz .LBB47_388
; %bb.379:
	s_and_not1_b32 vcc_lo, exec_lo, s2
	s_cbranch_vccnz .LBB47_381
; %bb.380:
	scratch_load_b64 v[97:98], v101, off
	ds_load_b64 v[106:107], v100
	s_waitcnt vmcnt(0) lgkmcnt(0)
	v_mul_f64 v[97:98], v[97:98], v[106:107]
	s_cbranch_execz .LBB47_382
	s_branch .LBB47_383
.LBB47_381:
                                        ; implicit-def: $vgpr97_vgpr98
.LBB47_382:
	ds_load_b64 v[97:98], v100
.LBB47_383:
	s_and_saveexec_b32 s4, s1
	s_cbranch_execz .LBB47_387
; %bb.384:
	v_dual_mov_b32 v106, 0 :: v_dual_add_nc_u32 v107, -9, v0
	s_movk_i32 s5, 0x1c8
	s_mov_b32 s1, 0
	s_delay_alu instid0(VALU_DEP_1)
	v_add_nc_u32_e32 v106, 0x48, v106
.LBB47_385:                             ; =>This Inner Loop Header: Depth=1
	scratch_load_b64 v[108:109], v106, off
	v_dual_mov_b32 v110, s5 :: v_dual_add_nc_u32 v107, -1, v107
	v_add_nc_u32_e32 v106, 8, v106
	s_add_i32 s5, s5, 8
	ds_load_b64 v[110:111], v110
	v_cmp_eq_u32_e32 vcc_lo, 0, v107
	s_or_b32 s1, vcc_lo, s1
	s_waitcnt vmcnt(0) lgkmcnt(0)
	v_fma_f64 v[97:98], v[108:109], v[110:111], v[97:98]
	s_and_not1_b32 exec_lo, exec_lo, s1
	s_cbranch_execnz .LBB47_385
; %bb.386:
	s_or_b32 exec_lo, exec_lo, s1
.LBB47_387:
	s_delay_alu instid0(SALU_CYCLE_1)
	s_or_b32 exec_lo, exec_lo, s4
	v_mov_b32_e32 v106, 0
	ds_load_b64 v[106:107], v106 offset:64
	s_waitcnt lgkmcnt(0)
	v_mul_f64 v[97:98], v[97:98], v[106:107]
	scratch_store_b64 off, v[97:98], off offset:64
.LBB47_388:
	s_or_b32 exec_lo, exec_lo, s3
	scratch_load_b64 v[97:98], off, off offset:56
	v_cmp_lt_u32_e64 s1, 7, v0
	s_waitcnt vmcnt(0)
	ds_store_b64 v100, v[97:98]
	s_waitcnt lgkmcnt(0)
	s_waitcnt_vscnt null, 0x0
	s_barrier
	buffer_gl0_inv
	s_and_saveexec_b32 s3, s1
	s_cbranch_execz .LBB47_398
; %bb.389:
	s_and_not1_b32 vcc_lo, exec_lo, s2
	s_cbranch_vccnz .LBB47_391
; %bb.390:
	scratch_load_b64 v[97:98], v101, off
	ds_load_b64 v[106:107], v100
	s_waitcnt vmcnt(0) lgkmcnt(0)
	v_mul_f64 v[97:98], v[97:98], v[106:107]
	s_cbranch_execz .LBB47_392
	s_branch .LBB47_393
.LBB47_391:
                                        ; implicit-def: $vgpr97_vgpr98
.LBB47_392:
	ds_load_b64 v[97:98], v100
.LBB47_393:
	s_and_saveexec_b32 s4, s0
	s_cbranch_execz .LBB47_397
; %bb.394:
	v_add_nc_u32_e32 v106, -8, v0
	s_movk_i32 s5, 0x1c0
	s_mov_b32 s0, 0
.LBB47_395:                             ; =>This Inner Loop Header: Depth=1
	scratch_load_b64 v[107:108], v105, off
	v_dual_mov_b32 v109, s5 :: v_dual_add_nc_u32 v106, -1, v106
	v_add_nc_u32_e32 v105, 8, v105
	s_add_i32 s5, s5, 8
	ds_load_b64 v[109:110], v109
	v_cmp_eq_u32_e32 vcc_lo, 0, v106
	s_or_b32 s0, vcc_lo, s0
	s_waitcnt vmcnt(0) lgkmcnt(0)
	v_fma_f64 v[97:98], v[107:108], v[109:110], v[97:98]
	s_and_not1_b32 exec_lo, exec_lo, s0
	s_cbranch_execnz .LBB47_395
; %bb.396:
	s_or_b32 exec_lo, exec_lo, s0
.LBB47_397:
	s_delay_alu instid0(SALU_CYCLE_1)
	s_or_b32 exec_lo, exec_lo, s4
	v_mov_b32_e32 v105, 0
	ds_load_b64 v[105:106], v105 offset:56
	s_waitcnt lgkmcnt(0)
	v_mul_f64 v[97:98], v[97:98], v[105:106]
	scratch_store_b64 off, v[97:98], off offset:56
.LBB47_398:
	s_or_b32 exec_lo, exec_lo, s3
	scratch_load_b64 v[97:98], off, off offset:48
	v_cmp_lt_u32_e64 s0, 6, v0
	s_waitcnt vmcnt(0)
	ds_store_b64 v100, v[97:98]
	s_waitcnt lgkmcnt(0)
	s_waitcnt_vscnt null, 0x0
	s_barrier
	buffer_gl0_inv
	s_and_saveexec_b32 s3, s0
	s_cbranch_execz .LBB47_408
; %bb.399:
	s_and_not1_b32 vcc_lo, exec_lo, s2
	s_cbranch_vccnz .LBB47_401
; %bb.400:
	scratch_load_b64 v[97:98], v101, off
	ds_load_b64 v[105:106], v100
	s_waitcnt vmcnt(0) lgkmcnt(0)
	v_mul_f64 v[97:98], v[97:98], v[105:106]
	s_cbranch_execz .LBB47_402
	s_branch .LBB47_403
.LBB47_401:
                                        ; implicit-def: $vgpr97_vgpr98
.LBB47_402:
	ds_load_b64 v[97:98], v100
.LBB47_403:
	s_and_saveexec_b32 s4, s1
	s_cbranch_execz .LBB47_407
; %bb.404:
	v_add_nc_u32_e64 v105, 0, 56
	v_add_nc_u32_e32 v106, -7, v0
	s_movk_i32 s5, 0x1b8
	s_mov_b32 s1, 0
.LBB47_405:                             ; =>This Inner Loop Header: Depth=1
	scratch_load_b64 v[107:108], v105, off
	v_dual_mov_b32 v109, s5 :: v_dual_add_nc_u32 v106, -1, v106
	v_add_nc_u32_e32 v105, 8, v105
	s_add_i32 s5, s5, 8
	ds_load_b64 v[109:110], v109
	v_cmp_eq_u32_e32 vcc_lo, 0, v106
	s_or_b32 s1, vcc_lo, s1
	s_waitcnt vmcnt(0) lgkmcnt(0)
	v_fma_f64 v[97:98], v[107:108], v[109:110], v[97:98]
	s_and_not1_b32 exec_lo, exec_lo, s1
	s_cbranch_execnz .LBB47_405
; %bb.406:
	s_or_b32 exec_lo, exec_lo, s1
.LBB47_407:
	s_delay_alu instid0(SALU_CYCLE_1)
	s_or_b32 exec_lo, exec_lo, s4
	v_mov_b32_e32 v105, 0
	ds_load_b64 v[105:106], v105 offset:48
	s_waitcnt lgkmcnt(0)
	v_mul_f64 v[97:98], v[97:98], v[105:106]
	scratch_store_b64 off, v[97:98], off offset:48
.LBB47_408:
	s_or_b32 exec_lo, exec_lo, s3
	scratch_load_b64 v[97:98], off, off offset:40
	v_cmp_lt_u32_e64 s1, 5, v0
	s_waitcnt vmcnt(0)
	ds_store_b64 v100, v[97:98]
	s_waitcnt lgkmcnt(0)
	s_waitcnt_vscnt null, 0x0
	s_barrier
	buffer_gl0_inv
	s_and_saveexec_b32 s3, s1
	s_cbranch_execz .LBB47_418
; %bb.409:
	s_and_not1_b32 vcc_lo, exec_lo, s2
	s_cbranch_vccnz .LBB47_411
; %bb.410:
	scratch_load_b64 v[97:98], v101, off
	ds_load_b64 v[105:106], v100
	s_waitcnt vmcnt(0) lgkmcnt(0)
	v_mul_f64 v[97:98], v[97:98], v[105:106]
	s_cbranch_execz .LBB47_412
	s_branch .LBB47_413
.LBB47_411:
                                        ; implicit-def: $vgpr97_vgpr98
.LBB47_412:
	ds_load_b64 v[97:98], v100
.LBB47_413:
	s_and_saveexec_b32 s4, s0
	s_cbranch_execz .LBB47_417
; %bb.414:
	v_add_nc_u32_e32 v105, -6, v0
	s_movk_i32 s5, 0x1b0
	s_mov_b32 s0, 0
.LBB47_415:                             ; =>This Inner Loop Header: Depth=1
	scratch_load_b64 v[106:107], v104, off
	v_dual_mov_b32 v108, s5 :: v_dual_add_nc_u32 v105, -1, v105
	v_add_nc_u32_e32 v104, 8, v104
	s_add_i32 s5, s5, 8
	ds_load_b64 v[108:109], v108
	v_cmp_eq_u32_e32 vcc_lo, 0, v105
	s_or_b32 s0, vcc_lo, s0
	s_waitcnt vmcnt(0) lgkmcnt(0)
	v_fma_f64 v[97:98], v[106:107], v[108:109], v[97:98]
	s_and_not1_b32 exec_lo, exec_lo, s0
	s_cbranch_execnz .LBB47_415
; %bb.416:
	s_or_b32 exec_lo, exec_lo, s0
.LBB47_417:
	s_delay_alu instid0(SALU_CYCLE_1)
	s_or_b32 exec_lo, exec_lo, s4
	v_mov_b32_e32 v104, 0
	ds_load_b64 v[104:105], v104 offset:40
	s_waitcnt lgkmcnt(0)
	v_mul_f64 v[97:98], v[97:98], v[104:105]
	scratch_store_b64 off, v[97:98], off offset:40
.LBB47_418:
	s_or_b32 exec_lo, exec_lo, s3
	scratch_load_b64 v[97:98], off, off offset:32
	v_cmp_lt_u32_e64 s0, 4, v0
	s_waitcnt vmcnt(0)
	ds_store_b64 v100, v[97:98]
	s_waitcnt lgkmcnt(0)
	s_waitcnt_vscnt null, 0x0
	s_barrier
	buffer_gl0_inv
	s_and_saveexec_b32 s3, s0
	s_cbranch_execz .LBB47_428
; %bb.419:
	s_and_not1_b32 vcc_lo, exec_lo, s2
	s_cbranch_vccnz .LBB47_421
; %bb.420:
	scratch_load_b64 v[97:98], v101, off
	ds_load_b64 v[104:105], v100
	s_waitcnt vmcnt(0) lgkmcnt(0)
	v_mul_f64 v[97:98], v[97:98], v[104:105]
	s_cbranch_execz .LBB47_422
	s_branch .LBB47_423
.LBB47_421:
                                        ; implicit-def: $vgpr97_vgpr98
.LBB47_422:
	ds_load_b64 v[97:98], v100
.LBB47_423:
	s_and_saveexec_b32 s4, s1
	s_cbranch_execz .LBB47_427
; %bb.424:
	v_add_nc_u32_e64 v104, 0, 40
	v_add_nc_u32_e32 v105, -5, v0
	s_movk_i32 s5, 0x1a8
	s_mov_b32 s1, 0
.LBB47_425:                             ; =>This Inner Loop Header: Depth=1
	scratch_load_b64 v[106:107], v104, off
	v_dual_mov_b32 v108, s5 :: v_dual_add_nc_u32 v105, -1, v105
	v_add_nc_u32_e32 v104, 8, v104
	s_add_i32 s5, s5, 8
	ds_load_b64 v[108:109], v108
	v_cmp_eq_u32_e32 vcc_lo, 0, v105
	s_or_b32 s1, vcc_lo, s1
	s_waitcnt vmcnt(0) lgkmcnt(0)
	v_fma_f64 v[97:98], v[106:107], v[108:109], v[97:98]
	s_and_not1_b32 exec_lo, exec_lo, s1
	s_cbranch_execnz .LBB47_425
; %bb.426:
	s_or_b32 exec_lo, exec_lo, s1
.LBB47_427:
	s_delay_alu instid0(SALU_CYCLE_1)
	s_or_b32 exec_lo, exec_lo, s4
	v_mov_b32_e32 v104, 0
	ds_load_b64 v[104:105], v104 offset:32
	s_waitcnt lgkmcnt(0)
	v_mul_f64 v[97:98], v[97:98], v[104:105]
	scratch_store_b64 off, v[97:98], off offset:32
.LBB47_428:
	s_or_b32 exec_lo, exec_lo, s3
	scratch_load_b64 v[97:98], off, off offset:24
	v_cmp_lt_u32_e64 s1, 3, v0
	s_waitcnt vmcnt(0)
	ds_store_b64 v100, v[97:98]
	s_waitcnt lgkmcnt(0)
	s_waitcnt_vscnt null, 0x0
	s_barrier
	buffer_gl0_inv
	s_and_saveexec_b32 s3, s1
	s_cbranch_execz .LBB47_438
; %bb.429:
	s_and_not1_b32 vcc_lo, exec_lo, s2
	s_cbranch_vccnz .LBB47_431
; %bb.430:
	scratch_load_b64 v[97:98], v101, off
	ds_load_b64 v[104:105], v100
	s_waitcnt vmcnt(0) lgkmcnt(0)
	v_mul_f64 v[97:98], v[97:98], v[104:105]
	s_cbranch_execz .LBB47_432
	s_branch .LBB47_433
.LBB47_431:
                                        ; implicit-def: $vgpr97_vgpr98
.LBB47_432:
	ds_load_b64 v[97:98], v100
.LBB47_433:
	s_and_saveexec_b32 s4, s0
	s_cbranch_execz .LBB47_437
; %bb.434:
	v_add_nc_u32_e32 v104, -4, v0
	s_movk_i32 s5, 0x1a0
	s_mov_b32 s0, 0
.LBB47_435:                             ; =>This Inner Loop Header: Depth=1
	scratch_load_b64 v[105:106], v103, off
	v_dual_mov_b32 v107, s5 :: v_dual_add_nc_u32 v104, -1, v104
	v_add_nc_u32_e32 v103, 8, v103
	s_add_i32 s5, s5, 8
	ds_load_b64 v[107:108], v107
	v_cmp_eq_u32_e32 vcc_lo, 0, v104
	s_or_b32 s0, vcc_lo, s0
	s_waitcnt vmcnt(0) lgkmcnt(0)
	v_fma_f64 v[97:98], v[105:106], v[107:108], v[97:98]
	s_and_not1_b32 exec_lo, exec_lo, s0
	s_cbranch_execnz .LBB47_435
; %bb.436:
	s_or_b32 exec_lo, exec_lo, s0
.LBB47_437:
	s_delay_alu instid0(SALU_CYCLE_1)
	s_or_b32 exec_lo, exec_lo, s4
	v_mov_b32_e32 v103, 0
	ds_load_b64 v[103:104], v103 offset:24
	s_waitcnt lgkmcnt(0)
	v_mul_f64 v[97:98], v[97:98], v[103:104]
	scratch_store_b64 off, v[97:98], off offset:24
.LBB47_438:
	s_or_b32 exec_lo, exec_lo, s3
	scratch_load_b64 v[97:98], off, off offset:16
	v_cmp_lt_u32_e64 s0, 2, v0
	s_waitcnt vmcnt(0)
	ds_store_b64 v100, v[97:98]
	s_waitcnt lgkmcnt(0)
	s_waitcnt_vscnt null, 0x0
	s_barrier
	buffer_gl0_inv
	s_and_saveexec_b32 s3, s0
	s_cbranch_execz .LBB47_448
; %bb.439:
	s_and_not1_b32 vcc_lo, exec_lo, s2
	s_cbranch_vccnz .LBB47_441
; %bb.440:
	scratch_load_b64 v[97:98], v101, off
	ds_load_b64 v[103:104], v100
	s_waitcnt vmcnt(0) lgkmcnt(0)
	v_mul_f64 v[97:98], v[97:98], v[103:104]
	s_cbranch_execz .LBB47_442
	s_branch .LBB47_443
.LBB47_441:
                                        ; implicit-def: $vgpr97_vgpr98
.LBB47_442:
	ds_load_b64 v[97:98], v100
.LBB47_443:
	s_and_saveexec_b32 s4, s1
	s_cbranch_execz .LBB47_447
; %bb.444:
	v_add_nc_u32_e64 v103, 0, 24
	v_add_nc_u32_e32 v104, -3, v0
	s_movk_i32 s5, 0x198
	s_mov_b32 s1, 0
.LBB47_445:                             ; =>This Inner Loop Header: Depth=1
	scratch_load_b64 v[105:106], v103, off
	v_dual_mov_b32 v107, s5 :: v_dual_add_nc_u32 v104, -1, v104
	v_add_nc_u32_e32 v103, 8, v103
	s_add_i32 s5, s5, 8
	ds_load_b64 v[107:108], v107
	v_cmp_eq_u32_e32 vcc_lo, 0, v104
	s_or_b32 s1, vcc_lo, s1
	s_waitcnt vmcnt(0) lgkmcnt(0)
	v_fma_f64 v[97:98], v[105:106], v[107:108], v[97:98]
	s_and_not1_b32 exec_lo, exec_lo, s1
	s_cbranch_execnz .LBB47_445
; %bb.446:
	s_or_b32 exec_lo, exec_lo, s1
.LBB47_447:
	s_delay_alu instid0(SALU_CYCLE_1)
	s_or_b32 exec_lo, exec_lo, s4
	v_mov_b32_e32 v103, 0
	ds_load_b64 v[103:104], v103 offset:16
	s_waitcnt lgkmcnt(0)
	v_mul_f64 v[97:98], v[97:98], v[103:104]
	scratch_store_b64 off, v[97:98], off offset:16
.LBB47_448:
	s_or_b32 exec_lo, exec_lo, s3
	scratch_load_b64 v[97:98], off, off offset:8
	v_cmp_lt_u32_e64 s1, 1, v0
	s_waitcnt vmcnt(0)
	ds_store_b64 v100, v[97:98]
	s_waitcnt lgkmcnt(0)
	s_waitcnt_vscnt null, 0x0
	s_barrier
	buffer_gl0_inv
	s_and_saveexec_b32 s3, s1
	s_cbranch_execz .LBB47_458
; %bb.449:
	s_and_not1_b32 vcc_lo, exec_lo, s2
	s_cbranch_vccnz .LBB47_451
; %bb.450:
	scratch_load_b64 v[97:98], v101, off
	ds_load_b64 v[103:104], v100
	s_waitcnt vmcnt(0) lgkmcnt(0)
	v_mul_f64 v[97:98], v[97:98], v[103:104]
	s_cbranch_execz .LBB47_452
	s_branch .LBB47_453
.LBB47_451:
                                        ; implicit-def: $vgpr97_vgpr98
.LBB47_452:
	ds_load_b64 v[97:98], v100
.LBB47_453:
	s_and_saveexec_b32 s4, s0
	s_cbranch_execz .LBB47_457
; %bb.454:
	v_add_nc_u32_e32 v103, -2, v0
	s_movk_i32 s5, 0x190
	s_mov_b32 s0, 0
.LBB47_455:                             ; =>This Inner Loop Header: Depth=1
	scratch_load_b64 v[104:105], v102, off
	v_dual_mov_b32 v106, s5 :: v_dual_add_nc_u32 v103, -1, v103
	v_add_nc_u32_e32 v102, 8, v102
	s_add_i32 s5, s5, 8
	ds_load_b64 v[106:107], v106
	v_cmp_eq_u32_e32 vcc_lo, 0, v103
	s_or_b32 s0, vcc_lo, s0
	s_waitcnt vmcnt(0) lgkmcnt(0)
	v_fma_f64 v[97:98], v[104:105], v[106:107], v[97:98]
	s_and_not1_b32 exec_lo, exec_lo, s0
	s_cbranch_execnz .LBB47_455
; %bb.456:
	s_or_b32 exec_lo, exec_lo, s0
.LBB47_457:
	s_delay_alu instid0(SALU_CYCLE_1)
	s_or_b32 exec_lo, exec_lo, s4
	v_mov_b32_e32 v102, 0
	ds_load_b64 v[102:103], v102 offset:8
	s_waitcnt lgkmcnt(0)
	v_mul_f64 v[97:98], v[97:98], v[102:103]
	scratch_store_b64 off, v[97:98], off offset:8
.LBB47_458:
	s_or_b32 exec_lo, exec_lo, s3
	scratch_load_b64 v[97:98], off, off
	s_mov_b32 s0, 0
	s_mov_b32 s3, exec_lo
	s_waitcnt vmcnt(0)
	ds_store_b64 v100, v[97:98]
	s_waitcnt lgkmcnt(0)
	s_waitcnt_vscnt null, 0x0
	s_barrier
	buffer_gl0_inv
	v_cmpx_ne_u32_e32 0, v0
	s_cbranch_execz .LBB47_468
; %bb.459:
	s_and_not1_b32 vcc_lo, exec_lo, s2
	s_cbranch_vccnz .LBB47_461
; %bb.460:
	scratch_load_b64 v[97:98], v101, off
	ds_load_b64 v[102:103], v100
	s_waitcnt vmcnt(0) lgkmcnt(0)
	v_mul_f64 v[97:98], v[97:98], v[102:103]
	s_cbranch_execz .LBB47_462
	s_branch .LBB47_463
.LBB47_461:
                                        ; implicit-def: $vgpr97_vgpr98
.LBB47_462:
	ds_load_b64 v[97:98], v100
.LBB47_463:
	s_and_saveexec_b32 s4, s1
	s_cbranch_execz .LBB47_467
; %bb.464:
	v_or_b32_e64 v102, 0, 8
	v_add_nc_u32_e32 v103, -1, v0
	s_movk_i32 s5, 0x188
	s_mov_b32 s1, 0
.LBB47_465:                             ; =>This Inner Loop Header: Depth=1
	scratch_load_b64 v[104:105], v102, off
	v_dual_mov_b32 v106, s5 :: v_dual_add_nc_u32 v103, -1, v103
	v_add_nc_u32_e32 v102, 8, v102
	s_add_i32 s5, s5, 8
	ds_load_b64 v[106:107], v106
	v_cmp_eq_u32_e32 vcc_lo, 0, v103
	s_or_b32 s1, vcc_lo, s1
	s_waitcnt vmcnt(0) lgkmcnt(0)
	v_fma_f64 v[97:98], v[104:105], v[106:107], v[97:98]
	s_and_not1_b32 exec_lo, exec_lo, s1
	s_cbranch_execnz .LBB47_465
; %bb.466:
	s_or_b32 exec_lo, exec_lo, s1
.LBB47_467:
	s_delay_alu instid0(SALU_CYCLE_1)
	s_or_b32 exec_lo, exec_lo, s4
	v_mov_b32_e32 v102, 0
	ds_load_b64 v[102:103], v102
	s_waitcnt lgkmcnt(0)
	v_mul_f64 v[97:98], v[97:98], v[102:103]
	scratch_store_b64 off, v[97:98], off
.LBB47_468:
	s_or_b32 exec_lo, exec_lo, s3
.LBB47_469:
	s_delay_alu instid0(SALU_CYCLE_1)
	s_and_b32 vcc_lo, exec_lo, s0
	s_cbranch_vccz .LBB47_935
; %bb.470:
	scratch_load_b64 v[97:98], off, off offset:8
	v_cmp_eq_u32_e64 s0, 0, v0
	s_waitcnt vmcnt(0)
	ds_store_b64 v100, v[97:98]
	s_waitcnt lgkmcnt(0)
	s_waitcnt_vscnt null, 0x0
	s_barrier
	buffer_gl0_inv
	s_and_saveexec_b32 s1, s0
	s_cbranch_execz .LBB47_476
; %bb.471:
	s_and_b32 vcc_lo, exec_lo, s2
	s_cbranch_vccz .LBB47_473
; %bb.472:
	scratch_load_b64 v[97:98], v101, off
	ds_load_b64 v[102:103], v100
	s_waitcnt vmcnt(0) lgkmcnt(0)
	v_mul_f64 v[97:98], v[97:98], v[102:103]
	s_cbranch_execz .LBB47_474
	s_branch .LBB47_475
.LBB47_473:
                                        ; implicit-def: $vgpr97_vgpr98
.LBB47_474:
	ds_load_b64 v[97:98], v100
.LBB47_475:
	v_mov_b32_e32 v102, 0
	ds_load_b64 v[102:103], v102 offset:8
	s_waitcnt lgkmcnt(0)
	v_mul_f64 v[97:98], v[97:98], v[102:103]
	scratch_store_b64 off, v[97:98], off offset:8
.LBB47_476:
	s_or_b32 exec_lo, exec_lo, s1
	scratch_load_b64 v[97:98], off, off offset:16
	v_cndmask_b32_e64 v102, 0, 1, s2
	s_mov_b32 s1, exec_lo
	s_waitcnt vmcnt(0)
	ds_store_b64 v100, v[97:98]
	s_waitcnt lgkmcnt(0)
	s_waitcnt_vscnt null, 0x0
	s_barrier
	buffer_gl0_inv
	v_cmpx_gt_u32_e32 2, v0
	s_cbranch_execz .LBB47_484
; %bb.477:
	s_and_not1_b32 vcc_lo, exec_lo, s2
	s_cbranch_vccnz .LBB47_479
; %bb.478:
	scratch_load_b64 v[97:98], v101, off
	ds_load_b64 v[103:104], v100
	s_waitcnt vmcnt(0) lgkmcnt(0)
	v_mul_f64 v[97:98], v[97:98], v[103:104]
	s_cbranch_execz .LBB47_480
	s_branch .LBB47_481
.LBB47_479:
                                        ; implicit-def: $vgpr97_vgpr98
.LBB47_480:
	ds_load_b64 v[97:98], v100
.LBB47_481:
	s_and_saveexec_b32 s2, s0
	s_cbranch_execz .LBB47_483
; %bb.482:
	scratch_load_b64 v[103:104], v101, off offset:8
	ds_load_b64 v[105:106], v100 offset:8
	s_waitcnt vmcnt(0) lgkmcnt(0)
	v_fma_f64 v[97:98], v[103:104], v[105:106], v[97:98]
.LBB47_483:
	s_or_b32 exec_lo, exec_lo, s2
	v_mov_b32_e32 v103, 0
	ds_load_b64 v[103:104], v103 offset:16
	s_waitcnt lgkmcnt(0)
	v_mul_f64 v[97:98], v[97:98], v[103:104]
	scratch_store_b64 off, v[97:98], off offset:16
.LBB47_484:
	s_or_b32 exec_lo, exec_lo, s1
	scratch_load_b64 v[97:98], off, off offset:24
	s_mov_b32 s1, exec_lo
	s_waitcnt vmcnt(0)
	ds_store_b64 v100, v[97:98]
	s_waitcnt lgkmcnt(0)
	s_waitcnt_vscnt null, 0x0
	s_barrier
	buffer_gl0_inv
	v_cmpx_gt_u32_e32 3, v0
	s_cbranch_execz .LBB47_494
; %bb.485:
	v_cmp_ne_u32_e32 vcc_lo, 1, v102
	s_cbranch_vccnz .LBB47_487
; %bb.486:
	scratch_load_b64 v[97:98], v101, off
	ds_load_b64 v[103:104], v100
	s_waitcnt vmcnt(0) lgkmcnt(0)
	v_mul_f64 v[97:98], v[97:98], v[103:104]
	s_cbranch_execz .LBB47_488
	s_branch .LBB47_489
.LBB47_487:
                                        ; implicit-def: $vgpr97_vgpr98
.LBB47_488:
	ds_load_b64 v[97:98], v100
.LBB47_489:
	s_mov_b32 s2, exec_lo
	v_cmpx_ne_u32_e32 2, v0
	s_cbranch_execz .LBB47_493
; %bb.490:
	scratch_load_b64 v[103:104], v101, off offset:8
	ds_load_b64 v[105:106], v100 offset:8
	s_waitcnt vmcnt(0) lgkmcnt(0)
	v_fma_f64 v[97:98], v[103:104], v[105:106], v[97:98]
	s_and_saveexec_b32 s3, s0
	s_cbranch_execz .LBB47_492
; %bb.491:
	scratch_load_b64 v[103:104], off, off offset:16
	v_mov_b32_e32 v105, 0
	ds_load_b64 v[105:106], v105 offset:400
	s_waitcnt vmcnt(0) lgkmcnt(0)
	v_fma_f64 v[97:98], v[103:104], v[105:106], v[97:98]
.LBB47_492:
	s_or_b32 exec_lo, exec_lo, s3
.LBB47_493:
	s_delay_alu instid0(SALU_CYCLE_1)
	s_or_b32 exec_lo, exec_lo, s2
	v_mov_b32_e32 v103, 0
	ds_load_b64 v[103:104], v103 offset:24
	s_waitcnt lgkmcnt(0)
	v_mul_f64 v[97:98], v[97:98], v[103:104]
	scratch_store_b64 off, v[97:98], off offset:24
.LBB47_494:
	s_or_b32 exec_lo, exec_lo, s1
	scratch_load_b64 v[97:98], off, off offset:32
	s_mov_b32 s0, exec_lo
	s_waitcnt vmcnt(0)
	ds_store_b64 v100, v[97:98]
	s_waitcnt lgkmcnt(0)
	s_waitcnt_vscnt null, 0x0
	s_barrier
	buffer_gl0_inv
	v_cmpx_gt_u32_e32 4, v0
	s_cbranch_execz .LBB47_504
; %bb.495:
	v_cmp_ne_u32_e32 vcc_lo, 1, v102
	s_cbranch_vccnz .LBB47_497
; %bb.496:
	scratch_load_b64 v[97:98], v101, off
	ds_load_b64 v[103:104], v100
	s_waitcnt vmcnt(0) lgkmcnt(0)
	v_mul_f64 v[97:98], v[97:98], v[103:104]
	s_cbranch_execz .LBB47_498
	s_branch .LBB47_499
.LBB47_497:
                                        ; implicit-def: $vgpr97_vgpr98
.LBB47_498:
	ds_load_b64 v[97:98], v100
.LBB47_499:
	s_mov_b32 s1, exec_lo
	v_cmpx_ne_u32_e32 3, v0
	s_cbranch_execz .LBB47_503
; %bb.500:
	v_add_nc_u32_e32 v103, 0x188, v99
	v_add3_u32 v104, 0, v99, 8
	v_mov_b32_e32 v105, v0
	s_mov_b32 s2, 0
.LBB47_501:                             ; =>This Inner Loop Header: Depth=1
	scratch_load_b64 v[106:107], v104, off
	ds_load_b64 v[108:109], v103
	v_add_nc_u32_e32 v105, 1, v105
	v_add_nc_u32_e32 v103, 8, v103
	v_add_nc_u32_e32 v104, 8, v104
	s_delay_alu instid0(VALU_DEP_3)
	v_cmp_lt_u32_e32 vcc_lo, 2, v105
	s_or_b32 s2, vcc_lo, s2
	s_waitcnt vmcnt(0) lgkmcnt(0)
	v_fma_f64 v[97:98], v[106:107], v[108:109], v[97:98]
	s_and_not1_b32 exec_lo, exec_lo, s2
	s_cbranch_execnz .LBB47_501
; %bb.502:
	s_or_b32 exec_lo, exec_lo, s2
.LBB47_503:
	s_delay_alu instid0(SALU_CYCLE_1)
	s_or_b32 exec_lo, exec_lo, s1
	v_mov_b32_e32 v103, 0
	ds_load_b64 v[103:104], v103 offset:32
	s_waitcnt lgkmcnt(0)
	v_mul_f64 v[97:98], v[97:98], v[103:104]
	scratch_store_b64 off, v[97:98], off offset:32
.LBB47_504:
	s_or_b32 exec_lo, exec_lo, s0
	scratch_load_b64 v[97:98], off, off offset:40
	s_mov_b32 s0, exec_lo
	s_waitcnt vmcnt(0)
	ds_store_b64 v100, v[97:98]
	s_waitcnt lgkmcnt(0)
	s_waitcnt_vscnt null, 0x0
	s_barrier
	buffer_gl0_inv
	v_cmpx_gt_u32_e32 5, v0
	s_cbranch_execz .LBB47_514
; %bb.505:
	v_cmp_ne_u32_e32 vcc_lo, 1, v102
	s_cbranch_vccnz .LBB47_507
; %bb.506:
	scratch_load_b64 v[97:98], v101, off
	ds_load_b64 v[103:104], v100
	s_waitcnt vmcnt(0) lgkmcnt(0)
	v_mul_f64 v[97:98], v[97:98], v[103:104]
	s_cbranch_execz .LBB47_508
	s_branch .LBB47_509
.LBB47_507:
                                        ; implicit-def: $vgpr97_vgpr98
.LBB47_508:
	ds_load_b64 v[97:98], v100
.LBB47_509:
	s_mov_b32 s1, exec_lo
	v_cmpx_ne_u32_e32 4, v0
	s_cbranch_execz .LBB47_513
; %bb.510:
	v_add_nc_u32_e32 v103, 0x188, v99
	v_add3_u32 v104, 0, v99, 8
	v_mov_b32_e32 v105, v0
	s_mov_b32 s2, 0
.LBB47_511:                             ; =>This Inner Loop Header: Depth=1
	scratch_load_b64 v[106:107], v104, off
	ds_load_b64 v[108:109], v103
	v_add_nc_u32_e32 v105, 1, v105
	v_add_nc_u32_e32 v103, 8, v103
	v_add_nc_u32_e32 v104, 8, v104
	s_delay_alu instid0(VALU_DEP_3)
	v_cmp_lt_u32_e32 vcc_lo, 3, v105
	s_or_b32 s2, vcc_lo, s2
	s_waitcnt vmcnt(0) lgkmcnt(0)
	v_fma_f64 v[97:98], v[106:107], v[108:109], v[97:98]
	s_and_not1_b32 exec_lo, exec_lo, s2
	s_cbranch_execnz .LBB47_511
; %bb.512:
	s_or_b32 exec_lo, exec_lo, s2
.LBB47_513:
	s_delay_alu instid0(SALU_CYCLE_1)
	s_or_b32 exec_lo, exec_lo, s1
	v_mov_b32_e32 v103, 0
	ds_load_b64 v[103:104], v103 offset:40
	s_waitcnt lgkmcnt(0)
	v_mul_f64 v[97:98], v[97:98], v[103:104]
	scratch_store_b64 off, v[97:98], off offset:40
.LBB47_514:
	;; [unrolled: 58-line block ×42, first 2 shown]
	s_or_b32 exec_lo, exec_lo, s0
	scratch_load_b64 v[97:98], off, off offset:368
	v_cmp_gt_u32_e64 s0, 46, v0
	s_waitcnt vmcnt(0)
	ds_store_b64 v100, v[97:98]
	s_waitcnt lgkmcnt(0)
	s_waitcnt_vscnt null, 0x0
	s_barrier
	buffer_gl0_inv
	s_and_saveexec_b32 s1, s0
	s_cbranch_execz .LBB47_924
; %bb.915:
	v_cmp_ne_u32_e32 vcc_lo, 1, v102
	s_cbranch_vccnz .LBB47_917
; %bb.916:
	scratch_load_b64 v[97:98], v101, off
	ds_load_b64 v[103:104], v100
	s_waitcnt vmcnt(0) lgkmcnt(0)
	v_mul_f64 v[97:98], v[97:98], v[103:104]
	s_cbranch_execz .LBB47_918
	s_branch .LBB47_919
.LBB47_917:
                                        ; implicit-def: $vgpr97_vgpr98
.LBB47_918:
	ds_load_b64 v[97:98], v100
.LBB47_919:
	s_mov_b32 s2, exec_lo
	v_cmpx_ne_u32_e32 45, v0
	s_cbranch_execz .LBB47_923
; %bb.920:
	v_add_nc_u32_e32 v103, 0x188, v99
	v_add3_u32 v104, 0, v99, 8
	v_mov_b32_e32 v105, v0
	s_mov_b32 s3, 0
.LBB47_921:                             ; =>This Inner Loop Header: Depth=1
	scratch_load_b64 v[106:107], v104, off
	ds_load_b64 v[108:109], v103
	v_add_nc_u32_e32 v105, 1, v105
	v_add_nc_u32_e32 v103, 8, v103
	v_add_nc_u32_e32 v104, 8, v104
	s_delay_alu instid0(VALU_DEP_3)
	v_cmp_lt_u32_e32 vcc_lo, 44, v105
	s_or_b32 s3, vcc_lo, s3
	s_waitcnt vmcnt(0) lgkmcnt(0)
	v_fma_f64 v[97:98], v[106:107], v[108:109], v[97:98]
	s_and_not1_b32 exec_lo, exec_lo, s3
	s_cbranch_execnz .LBB47_921
; %bb.922:
	s_or_b32 exec_lo, exec_lo, s3
.LBB47_923:
	s_delay_alu instid0(SALU_CYCLE_1)
	s_or_b32 exec_lo, exec_lo, s2
	v_mov_b32_e32 v103, 0
	ds_load_b64 v[103:104], v103 offset:368
	s_waitcnt lgkmcnt(0)
	v_mul_f64 v[97:98], v[97:98], v[103:104]
	scratch_store_b64 off, v[97:98], off offset:368
.LBB47_924:
	s_or_b32 exec_lo, exec_lo, s1
	scratch_load_b64 v[97:98], off, off offset:376
	s_mov_b32 s1, exec_lo
	s_waitcnt vmcnt(0)
	ds_store_b64 v100, v[97:98]
	s_waitcnt lgkmcnt(0)
	s_waitcnt_vscnt null, 0x0
	s_barrier
	buffer_gl0_inv
	v_cmpx_ne_u32_e32 47, v0
	s_cbranch_execz .LBB47_934
; %bb.925:
	v_cmp_ne_u32_e32 vcc_lo, 1, v102
	s_cbranch_vccnz .LBB47_927
; %bb.926:
	scratch_load_b64 v[97:98], v101, off
	ds_load_b64 v[101:102], v100
	s_waitcnt vmcnt(0) lgkmcnt(0)
	v_mul_f64 v[97:98], v[97:98], v[101:102]
	s_cbranch_execz .LBB47_928
	s_branch .LBB47_929
.LBB47_927:
                                        ; implicit-def: $vgpr97_vgpr98
.LBB47_928:
	ds_load_b64 v[97:98], v100
.LBB47_929:
	s_and_saveexec_b32 s2, s0
	s_cbranch_execz .LBB47_933
; %bb.930:
	v_add_nc_u32_e32 v100, 0x188, v99
	v_add3_u32 v99, 0, v99, 8
	s_mov_b32 s0, 0
.LBB47_931:                             ; =>This Inner Loop Header: Depth=1
	scratch_load_b64 v[101:102], v99, off
	ds_load_b64 v[103:104], v100
	v_add_nc_u32_e32 v0, 1, v0
	v_add_nc_u32_e32 v100, 8, v100
	;; [unrolled: 1-line block ×3, first 2 shown]
	s_delay_alu instid0(VALU_DEP_3)
	v_cmp_lt_u32_e32 vcc_lo, 45, v0
	s_or_b32 s0, vcc_lo, s0
	s_waitcnt vmcnt(0) lgkmcnt(0)
	v_fma_f64 v[97:98], v[101:102], v[103:104], v[97:98]
	s_and_not1_b32 exec_lo, exec_lo, s0
	s_cbranch_execnz .LBB47_931
; %bb.932:
	s_or_b32 exec_lo, exec_lo, s0
.LBB47_933:
	s_delay_alu instid0(SALU_CYCLE_1)
	s_or_b32 exec_lo, exec_lo, s2
	v_mov_b32_e32 v0, 0
	ds_load_b64 v[99:100], v0 offset:376
	s_waitcnt lgkmcnt(0)
	v_mul_f64 v[97:98], v[97:98], v[99:100]
	scratch_store_b64 off, v[97:98], off offset:376
.LBB47_934:
	s_or_b32 exec_lo, exec_lo, s1
.LBB47_935:
	s_clause 0xc
	scratch_load_b128 v[97:100], off, off
	scratch_load_b128 v[101:104], off, off offset:16
	scratch_load_b128 v[105:108], off, off offset:32
	scratch_load_b128 v[109:112], off, off offset:48
	scratch_load_b128 v[113:116], off, off offset:64
	scratch_load_b128 v[117:120], off, off offset:80
	scratch_load_b128 v[121:124], off, off offset:96
	scratch_load_b128 v[125:128], off, off offset:112
	scratch_load_b128 v[129:132], off, off offset:128
	scratch_load_b128 v[133:136], off, off offset:144
	scratch_load_b128 v[137:140], off, off offset:160
	scratch_load_b128 v[141:144], off, off offset:224
	scratch_load_b128 v[145:148], off, off offset:320
	s_waitcnt vmcnt(12)
	s_clause 0x1
	global_store_b64 v[25:26], v[97:98], off
	global_store_b64 v[15:16], v[99:100], off
	scratch_load_b128 v[97:100], off, off offset:176
	s_waitcnt vmcnt(12)
	global_store_b64 v[13:14], v[101:102], off
	scratch_load_b128 v[13:16], off, off offset:192
	global_store_b64 v[17:18], v[103:104], off
	scratch_load_b128 v[101:104], off, off offset:208
	s_waitcnt vmcnt(13)
	s_clause 0x1
	global_store_b64 v[9:10], v[105:106], off
	global_store_b64 v[3:4], v[107:108], off
	scratch_load_b128 v[105:108], off, off offset:240
	s_waitcnt vmcnt(13)
	global_store_b64 v[11:12], v[109:110], off
	scratch_load_b128 v[9:12], off, off offset:256
	global_store_b64 v[5:6], v[111:112], off
	s_clause 0x1
	scratch_load_b128 v[3:6], off, off offset:272
	scratch_load_b128 v[109:112], off, off offset:288
	s_waitcnt vmcnt(15)
	s_clause 0x1
	global_store_b64 v[7:8], v[113:114], off
	global_store_b64 v[1:2], v[115:116], off
	scratch_load_b128 v[113:116], off, off offset:304
	s_waitcnt vmcnt(15)
	s_clause 0x1
	global_store_b64 v[33:34], v[117:118], off
	global_store_b64 v[27:28], v[119:120], off
	s_clause 0x1
	scratch_load_b128 v[25:28], off, off offset:336
	scratch_load_b128 v[117:120], off, off offset:352
	s_waitcnt vmcnt(16)
	s_clause 0x1
	global_store_b64 v[23:24], v[121:122], off
	global_store_b64 v[21:22], v[123:124], off
	scratch_load_b128 v[21:24], off, off offset:368
	s_waitcnt vmcnt(16)
	s_clause 0x1
	global_store_b64 v[19:20], v[125:126], off
	global_store_b64 v[31:32], v[127:128], off
	s_waitcnt vmcnt(15)
	s_clause 0x1
	global_store_b64 v[35:36], v[129:130], off
	global_store_b64 v[37:38], v[131:132], off
	s_waitcnt vmcnt(14)
	s_clause 0x1
	global_store_b64 v[39:40], v[133:134], off
	global_store_b64 v[41:42], v[135:136], off
	s_waitcnt vmcnt(13)
	s_clause 0x1
	global_store_b64 v[43:44], v[137:138], off
	global_store_b64 v[45:46], v[139:140], off
	s_waitcnt vmcnt(10)
	s_clause 0x1
	global_store_b64 v[47:48], v[97:98], off
	global_store_b64 v[49:50], v[99:100], off
	s_waitcnt vmcnt(9)
	s_clause 0x1
	global_store_b64 v[51:52], v[13:14], off
	global_store_b64 v[53:54], v[15:16], off
	s_waitcnt vmcnt(8)
	s_clause 0x3
	global_store_b64 v[55:56], v[101:102], off
	global_store_b64 v[57:58], v[103:104], off
	global_store_b64 v[59:60], v[141:142], off
	global_store_b64 v[61:62], v[143:144], off
	s_waitcnt vmcnt(7)
	s_clause 0x1
	global_store_b64 v[63:64], v[105:106], off
	global_store_b64 v[65:66], v[107:108], off
	s_waitcnt vmcnt(6)
	s_clause 0x1
	global_store_b64 v[67:68], v[9:10], off
	global_store_b64 v[69:70], v[11:12], off
	s_waitcnt vmcnt(5)
	s_clause 0x1
	global_store_b64 v[71:72], v[3:4], off
	global_store_b64 v[73:74], v[5:6], off
	s_waitcnt vmcnt(4)
	s_clause 0x1
	global_store_b64 v[75:76], v[109:110], off
	global_store_b64 v[77:78], v[111:112], off
	s_waitcnt vmcnt(3)
	s_clause 0x3
	global_store_b64 v[79:80], v[113:114], off
	global_store_b64 v[81:82], v[115:116], off
	;; [unrolled: 1-line block ×4, first 2 shown]
	s_waitcnt vmcnt(2)
	s_clause 0x1
	global_store_b64 v[87:88], v[25:26], off
	global_store_b64 v[89:90], v[27:28], off
	s_waitcnt vmcnt(1)
	s_clause 0x1
	global_store_b64 v[93:94], v[117:118], off
	global_store_b64 v[95:96], v[119:120], off
	;; [unrolled: 4-line block ×3, first 2 shown]
.LBB47_936:
	s_endpgm
	.section	.rodata,"a",@progbits
	.p2align	6, 0x0
	.amdhsa_kernel _ZN9rocsolver6v33100L18trti2_kernel_smallILi48EdPdEEv13rocblas_fill_17rocblas_diagonal_T1_iil
		.amdhsa_group_segment_fixed_size 768
		.amdhsa_private_segment_fixed_size 400
		.amdhsa_kernarg_size 32
		.amdhsa_user_sgpr_count 15
		.amdhsa_user_sgpr_dispatch_ptr 0
		.amdhsa_user_sgpr_queue_ptr 0
		.amdhsa_user_sgpr_kernarg_segment_ptr 1
		.amdhsa_user_sgpr_dispatch_id 0
		.amdhsa_user_sgpr_private_segment_size 0
		.amdhsa_wavefront_size32 1
		.amdhsa_uses_dynamic_stack 0
		.amdhsa_enable_private_segment 1
		.amdhsa_system_sgpr_workgroup_id_x 1
		.amdhsa_system_sgpr_workgroup_id_y 0
		.amdhsa_system_sgpr_workgroup_id_z 0
		.amdhsa_system_sgpr_workgroup_info 0
		.amdhsa_system_vgpr_workitem_id 0
		.amdhsa_next_free_vgpr 150
		.amdhsa_next_free_sgpr 21
		.amdhsa_reserve_vcc 1
		.amdhsa_float_round_mode_32 0
		.amdhsa_float_round_mode_16_64 0
		.amdhsa_float_denorm_mode_32 3
		.amdhsa_float_denorm_mode_16_64 3
		.amdhsa_dx10_clamp 1
		.amdhsa_ieee_mode 1
		.amdhsa_fp16_overflow 0
		.amdhsa_workgroup_processor_mode 1
		.amdhsa_memory_ordered 1
		.amdhsa_forward_progress 0
		.amdhsa_shared_vgpr_count 0
		.amdhsa_exception_fp_ieee_invalid_op 0
		.amdhsa_exception_fp_denorm_src 0
		.amdhsa_exception_fp_ieee_div_zero 0
		.amdhsa_exception_fp_ieee_overflow 0
		.amdhsa_exception_fp_ieee_underflow 0
		.amdhsa_exception_fp_ieee_inexact 0
		.amdhsa_exception_int_div_zero 0
	.end_amdhsa_kernel
	.section	.text._ZN9rocsolver6v33100L18trti2_kernel_smallILi48EdPdEEv13rocblas_fill_17rocblas_diagonal_T1_iil,"axG",@progbits,_ZN9rocsolver6v33100L18trti2_kernel_smallILi48EdPdEEv13rocblas_fill_17rocblas_diagonal_T1_iil,comdat
.Lfunc_end47:
	.size	_ZN9rocsolver6v33100L18trti2_kernel_smallILi48EdPdEEv13rocblas_fill_17rocblas_diagonal_T1_iil, .Lfunc_end47-_ZN9rocsolver6v33100L18trti2_kernel_smallILi48EdPdEEv13rocblas_fill_17rocblas_diagonal_T1_iil
                                        ; -- End function
	.section	.AMDGPU.csdata,"",@progbits
; Kernel info:
; codeLenInByte = 26232
; NumSgprs: 23
; NumVgprs: 150
; ScratchSize: 400
; MemoryBound: 0
; FloatMode: 240
; IeeeMode: 1
; LDSByteSize: 768 bytes/workgroup (compile time only)
; SGPRBlocks: 2
; VGPRBlocks: 18
; NumSGPRsForWavesPerEU: 23
; NumVGPRsForWavesPerEU: 150
; Occupancy: 9
; WaveLimiterHint : 0
; COMPUTE_PGM_RSRC2:SCRATCH_EN: 1
; COMPUTE_PGM_RSRC2:USER_SGPR: 15
; COMPUTE_PGM_RSRC2:TRAP_HANDLER: 0
; COMPUTE_PGM_RSRC2:TGID_X_EN: 1
; COMPUTE_PGM_RSRC2:TGID_Y_EN: 0
; COMPUTE_PGM_RSRC2:TGID_Z_EN: 0
; COMPUTE_PGM_RSRC2:TIDIG_COMP_CNT: 0
	.section	.text._ZN9rocsolver6v33100L18trti2_kernel_smallILi49EdPdEEv13rocblas_fill_17rocblas_diagonal_T1_iil,"axG",@progbits,_ZN9rocsolver6v33100L18trti2_kernel_smallILi49EdPdEEv13rocblas_fill_17rocblas_diagonal_T1_iil,comdat
	.globl	_ZN9rocsolver6v33100L18trti2_kernel_smallILi49EdPdEEv13rocblas_fill_17rocblas_diagonal_T1_iil ; -- Begin function _ZN9rocsolver6v33100L18trti2_kernel_smallILi49EdPdEEv13rocblas_fill_17rocblas_diagonal_T1_iil
	.p2align	8
	.type	_ZN9rocsolver6v33100L18trti2_kernel_smallILi49EdPdEEv13rocblas_fill_17rocblas_diagonal_T1_iil,@function
_ZN9rocsolver6v33100L18trti2_kernel_smallILi49EdPdEEv13rocblas_fill_17rocblas_diagonal_T1_iil: ; @_ZN9rocsolver6v33100L18trti2_kernel_smallILi49EdPdEEv13rocblas_fill_17rocblas_diagonal_T1_iil
; %bb.0:
	s_mov_b32 s2, exec_lo
	v_cmpx_gt_u32_e32 49, v0
	s_cbranch_execz .LBB48_956
; %bb.1:
	s_load_b256 s[0:7], s[0:1], 0x0
	s_ashr_i32 s8, s15, 31
	v_lshlrev_b32_e32 v111, 3, v0
	s_waitcnt lgkmcnt(0)
	s_mul_i32 s7, s15, s7
	s_mul_hi_u32 s10, s15, s6
	v_add3_u32 v1, s5, s5, v0
	s_mul_i32 s11, s8, s6
	s_ashr_i32 s9, s4, 31
	s_mov_b32 s8, s4
	s_add_i32 s4, s10, s7
	s_mul_i32 s6, s15, s6
	s_add_i32 s7, s4, s11
	v_add_nc_u32_e32 v3, s5, v1
	s_lshl_b64 s[6:7], s[6:7], 3
	v_ashrrev_i32_e32 v2, 31, v1
	s_add_u32 s4, s2, s6
	s_addc_u32 s6, s3, s7
	s_lshl_b64 s[2:3], s[8:9], 3
	v_add_nc_u32_e32 v7, s5, v3
	s_add_u32 s2, s4, s2
	s_addc_u32 s3, s6, s3
	v_add_co_u32 v15, s4, s2, v111
	s_mov_b32 s10, s5
	s_ashr_i32 s11, s5, 31
	v_lshlrev_b64 v[5:6], 3, v[1:2]
	v_add_co_ci_u32_e64 v16, null, s3, 0, s4
	s_lshl_b64 s[6:7], s[10:11], 3
	v_add_nc_u32_e32 v9, s5, v7
	v_add_co_u32 v19, vcc_lo, v15, s6
	s_delay_alu instid0(VALU_DEP_3) | instskip(SKIP_4) | instid1(VALU_DEP_4)
	v_add_co_ci_u32_e32 v20, vcc_lo, s7, v16, vcc_lo
	v_ashrrev_i32_e32 v4, 31, v3
	v_add_co_u32 v13, vcc_lo, s2, v5
	v_add_nc_u32_e32 v5, s5, v9
	v_ashrrev_i32_e32 v8, 31, v7
	v_lshlrev_b64 v[3:4], 3, v[3:4]
	v_ashrrev_i32_e32 v10, 31, v9
	v_add_co_ci_u32_e32 v14, vcc_lo, s3, v6, vcc_lo
	v_add_nc_u32_e32 v11, s5, v5
	v_lshlrev_b64 v[7:8], 3, v[7:8]
	v_add_co_u32 v17, vcc_lo, s2, v3
	v_ashrrev_i32_e32 v6, 31, v5
	s_delay_alu instid0(VALU_DEP_4) | instskip(SKIP_3) | instid1(VALU_DEP_4)
	v_add_nc_u32_e32 v27, s5, v11
	v_add_co_ci_u32_e32 v18, vcc_lo, s3, v4, vcc_lo
	v_lshlrev_b64 v[3:4], 3, v[9:10]
	v_ashrrev_i32_e32 v12, 31, v11
	v_add_nc_u32_e32 v33, s5, v27
	v_add_co_u32 v21, vcc_lo, s2, v7
	v_lshlrev_b64 v[25:26], 3, v[5:6]
	v_ashrrev_i32_e32 v28, 31, v27
	v_add_co_ci_u32_e32 v22, vcc_lo, s3, v8, vcc_lo
	v_add_co_u32 v23, vcc_lo, s2, v3
	v_lshlrev_b64 v[29:30], 3, v[11:12]
	v_ashrrev_i32_e32 v34, 31, v33
	v_add_co_ci_u32_e32 v24, vcc_lo, s3, v4, vcc_lo
	v_add_co_u32 v25, vcc_lo, s2, v25
	v_lshlrev_b64 v[31:32], 3, v[27:28]
	v_add_co_ci_u32_e32 v26, vcc_lo, s3, v26, vcc_lo
	v_add_co_u32 v27, vcc_lo, s2, v29
	v_lshlrev_b64 v[34:35], 3, v[33:34]
	v_add_co_ci_u32_e32 v28, vcc_lo, s3, v30, vcc_lo
	v_add_co_u32 v29, vcc_lo, s2, v31
	s_clause 0x4
	global_load_b64 v[1:2], v111, s[2:3]
	global_load_b64 v[3:4], v[19:20], off
	global_load_b64 v[5:6], v[13:14], off
	;; [unrolled: 1-line block ×4, first 2 shown]
	v_add_co_ci_u32_e32 v30, vcc_lo, s3, v32, vcc_lo
	global_load_b64 v[11:12], v[23:24], off
	v_add_co_u32 v31, vcc_lo, s2, v34
	v_add_co_ci_u32_e32 v32, vcc_lo, s3, v35, vcc_lo
	s_clause 0x3
	global_load_b64 v[112:113], v[25:26], off
	global_load_b64 v[114:115], v[27:28], off
	;; [unrolled: 1-line block ×4, first 2 shown]
	v_add_nc_u32_e32 v33, s5, v33
	s_cmpk_lg_i32 s1, 0x84
	s_delay_alu instid0(VALU_DEP_1) | instskip(SKIP_1) | instid1(VALU_DEP_2)
	v_add_nc_u32_e32 v35, s5, v33
	v_ashrrev_i32_e32 v34, 31, v33
	v_add_nc_u32_e32 v37, s5, v35
	v_ashrrev_i32_e32 v36, 31, v35
	s_delay_alu instid0(VALU_DEP_3) | instskip(NEXT) | instid1(VALU_DEP_3)
	v_lshlrev_b64 v[33:34], 3, v[33:34]
	v_ashrrev_i32_e32 v38, 31, v37
	v_add_nc_u32_e32 v39, s5, v37
	s_delay_alu instid0(VALU_DEP_4) | instskip(NEXT) | instid1(VALU_DEP_4)
	v_lshlrev_b64 v[35:36], 3, v[35:36]
	v_add_co_u32 v53, vcc_lo, s2, v33
	v_add_co_ci_u32_e32 v54, vcc_lo, s3, v34, vcc_lo
	v_lshlrev_b64 v[33:34], 3, v[37:38]
	v_ashrrev_i32_e32 v40, 31, v39
	v_add_nc_u32_e32 v37, s5, v39
	v_add_co_u32 v47, vcc_lo, s2, v35
	v_add_co_ci_u32_e32 v48, vcc_lo, s3, v36, vcc_lo
	s_delay_alu instid0(VALU_DEP_4) | instskip(NEXT) | instid1(VALU_DEP_4)
	v_lshlrev_b64 v[35:36], 3, v[39:40]
	v_ashrrev_i32_e32 v38, 31, v37
	v_add_nc_u32_e32 v39, s5, v37
	v_add_co_u32 v43, vcc_lo, s2, v33
	v_add_co_ci_u32_e32 v44, vcc_lo, s3, v34, vcc_lo
	s_delay_alu instid0(VALU_DEP_4) | instskip(NEXT) | instid1(VALU_DEP_4)
	;; [unrolled: 6-line block ×3, first 2 shown]
	v_lshlrev_b64 v[35:36], 3, v[39:40]
	v_add_nc_u32_e32 v39, s5, v37
	v_ashrrev_i32_e32 v38, 31, v37
	v_add_co_u32 v33, vcc_lo, s2, v33
	v_add_co_ci_u32_e32 v34, vcc_lo, s3, v34, vcc_lo
	s_delay_alu instid0(VALU_DEP_4) | instskip(SKIP_3) | instid1(VALU_DEP_4)
	v_add_nc_u32_e32 v45, s5, v39
	v_ashrrev_i32_e32 v40, 31, v39
	v_lshlrev_b64 v[37:38], 3, v[37:38]
	v_add_co_u32 v35, vcc_lo, s2, v35
	v_add_nc_u32_e32 v49, s5, v45
	v_ashrrev_i32_e32 v46, 31, v45
	v_lshlrev_b64 v[39:40], 3, v[39:40]
	v_add_co_ci_u32_e32 v36, vcc_lo, s3, v36, vcc_lo
	s_delay_alu instid0(VALU_DEP_4) | instskip(SKIP_3) | instid1(VALU_DEP_4)
	v_add_nc_u32_e32 v51, s5, v49
	v_ashrrev_i32_e32 v50, 31, v49
	v_add_co_u32 v37, vcc_lo, s2, v37
	v_lshlrev_b64 v[45:46], 3, v[45:46]
	v_add_nc_u32_e32 v55, s5, v51
	v_ashrrev_i32_e32 v52, 31, v51
	v_add_co_ci_u32_e32 v38, vcc_lo, s3, v38, vcc_lo
	v_add_co_u32 v39, vcc_lo, s2, v39
	s_delay_alu instid0(VALU_DEP_4) | instskip(SKIP_3) | instid1(VALU_DEP_4)
	v_add_nc_u32_e32 v57, s5, v55
	v_lshlrev_b64 v[49:50], 3, v[49:50]
	v_ashrrev_i32_e32 v56, 31, v55
	v_add_co_ci_u32_e32 v40, vcc_lo, s3, v40, vcc_lo
	v_add_nc_u32_e32 v59, s5, v57
	v_add_co_u32 v45, vcc_lo, s2, v45
	v_lshlrev_b64 v[51:52], 3, v[51:52]
	v_ashrrev_i32_e32 v58, 31, v57
	s_delay_alu instid0(VALU_DEP_4) | instskip(SKIP_2) | instid1(VALU_DEP_3)
	v_add_nc_u32_e32 v61, s5, v59
	v_add_co_ci_u32_e32 v46, vcc_lo, s3, v46, vcc_lo
	v_add_co_u32 v49, vcc_lo, s2, v49
	v_add_nc_u32_e32 v63, s5, v61
	v_lshlrev_b64 v[55:56], 3, v[55:56]
	v_ashrrev_i32_e32 v60, 31, v59
	v_add_co_ci_u32_e32 v50, vcc_lo, s3, v50, vcc_lo
	s_delay_alu instid0(VALU_DEP_4) | instskip(SKIP_3) | instid1(VALU_DEP_4)
	v_add_nc_u32_e32 v65, s5, v63
	v_add_co_u32 v51, vcc_lo, s2, v51
	v_lshlrev_b64 v[57:58], 3, v[57:58]
	v_ashrrev_i32_e32 v62, 31, v61
	v_add_nc_u32_e32 v67, s5, v65
	v_add_co_ci_u32_e32 v52, vcc_lo, s3, v52, vcc_lo
	v_add_co_u32 v55, vcc_lo, s2, v55
	v_lshlrev_b64 v[59:60], 3, v[59:60]
	v_ashrrev_i32_e32 v64, 31, v63
	v_add_co_ci_u32_e32 v56, vcc_lo, s3, v56, vcc_lo
	v_add_co_u32 v57, vcc_lo, s2, v57
	v_lshlrev_b64 v[61:62], 3, v[61:62]
	v_add_nc_u32_e32 v69, s5, v67
	v_ashrrev_i32_e32 v66, 31, v65
	v_add_co_ci_u32_e32 v58, vcc_lo, s3, v58, vcc_lo
	v_add_co_u32 v59, vcc_lo, s2, v59
	v_lshlrev_b64 v[63:64], 3, v[63:64]
	v_ashrrev_i32_e32 v68, 31, v67
	v_add_co_ci_u32_e32 v60, vcc_lo, s3, v60, vcc_lo
	v_add_nc_u32_e32 v71, s5, v69
	v_add_co_u32 v61, vcc_lo, s2, v61
	v_lshlrev_b64 v[65:66], 3, v[65:66]
	v_ashrrev_i32_e32 v70, 31, v69
	v_add_co_ci_u32_e32 v62, vcc_lo, s3, v62, vcc_lo
	v_add_co_u32 v63, vcc_lo, s2, v63
	v_lshlrev_b64 v[67:68], 3, v[67:68]
	v_ashrrev_i32_e32 v72, 31, v71
	v_add_co_ci_u32_e32 v64, vcc_lo, s3, v64, vcc_lo
	v_add_co_u32 v65, vcc_lo, s2, v65
	v_lshlrev_b64 v[69:70], 3, v[69:70]
	v_add_co_ci_u32_e32 v66, vcc_lo, s3, v66, vcc_lo
	v_add_nc_u32_e32 v73, s5, v71
	v_add_co_u32 v67, vcc_lo, s2, v67
	v_lshlrev_b64 v[71:72], 3, v[71:72]
	s_clause 0x2
	global_load_b64 v[120:121], v[53:54], off
	global_load_b64 v[122:123], v[47:48], off
	;; [unrolled: 1-line block ×3, first 2 shown]
	v_add_co_ci_u32_e32 v68, vcc_lo, s3, v68, vcc_lo
	s_clause 0x3
	global_load_b64 v[126:127], v[41:42], off
	global_load_b64 v[128:129], v[33:34], off
	;; [unrolled: 1-line block ×4, first 2 shown]
	v_add_co_u32 v69, vcc_lo, s2, v69
	global_load_b64 v[134:135], v[39:40], off
	v_add_co_ci_u32_e32 v70, vcc_lo, s3, v70, vcc_lo
	v_add_co_u32 v71, vcc_lo, s2, v71
	v_add_co_ci_u32_e32 v72, vcc_lo, s3, v72, vcc_lo
	v_add_nc_u32_e32 v75, s5, v73
	v_ashrrev_i32_e32 v74, 31, v73
	s_delay_alu instid0(VALU_DEP_2) | instskip(SKIP_1) | instid1(VALU_DEP_3)
	v_add_nc_u32_e32 v77, s5, v75
	v_ashrrev_i32_e32 v76, 31, v75
	v_lshlrev_b64 v[73:74], 3, v[73:74]
	s_delay_alu instid0(VALU_DEP_3) | instskip(SKIP_1) | instid1(VALU_DEP_4)
	v_add_nc_u32_e32 v79, s5, v77
	v_ashrrev_i32_e32 v78, 31, v77
	v_lshlrev_b64 v[75:76], 3, v[75:76]
	s_delay_alu instid0(VALU_DEP_4) | instskip(NEXT) | instid1(VALU_DEP_4)
	v_add_co_u32 v73, vcc_lo, s2, v73
	v_add_nc_u32_e32 v81, s5, v79
	v_ashrrev_i32_e32 v80, 31, v79
	v_lshlrev_b64 v[77:78], 3, v[77:78]
	v_add_co_ci_u32_e32 v74, vcc_lo, s3, v74, vcc_lo
	s_delay_alu instid0(VALU_DEP_4) | instskip(SKIP_3) | instid1(VALU_DEP_4)
	v_add_nc_u32_e32 v83, s5, v81
	v_ashrrev_i32_e32 v82, 31, v81
	v_add_co_u32 v75, vcc_lo, s2, v75
	v_lshlrev_b64 v[79:80], 3, v[79:80]
	v_add_nc_u32_e32 v85, s5, v83
	v_ashrrev_i32_e32 v84, 31, v83
	v_add_co_ci_u32_e32 v76, vcc_lo, s3, v76, vcc_lo
	v_add_co_u32 v77, vcc_lo, s2, v77
	s_delay_alu instid0(VALU_DEP_4) | instskip(SKIP_3) | instid1(VALU_DEP_4)
	v_add_nc_u32_e32 v87, s5, v85
	v_lshlrev_b64 v[81:82], 3, v[81:82]
	v_ashrrev_i32_e32 v86, 31, v85
	v_add_co_ci_u32_e32 v78, vcc_lo, s3, v78, vcc_lo
	v_add_nc_u32_e32 v89, s5, v87
	v_add_co_u32 v79, vcc_lo, s2, v79
	v_lshlrev_b64 v[83:84], 3, v[83:84]
	v_ashrrev_i32_e32 v88, 31, v87
	s_delay_alu instid0(VALU_DEP_4) | instskip(SKIP_2) | instid1(VALU_DEP_3)
	v_add_nc_u32_e32 v91, s5, v89
	v_add_co_ci_u32_e32 v80, vcc_lo, s3, v80, vcc_lo
	v_add_co_u32 v81, vcc_lo, s2, v81
	v_add_nc_u32_e32 v93, s5, v91
	v_lshlrev_b64 v[85:86], 3, v[85:86]
	v_ashrrev_i32_e32 v90, 31, v89
	v_add_co_ci_u32_e32 v82, vcc_lo, s3, v82, vcc_lo
	s_delay_alu instid0(VALU_DEP_4) | instskip(SKIP_3) | instid1(VALU_DEP_4)
	v_add_nc_u32_e32 v95, s5, v93
	v_add_co_u32 v83, vcc_lo, s2, v83
	v_lshlrev_b64 v[87:88], 3, v[87:88]
	v_ashrrev_i32_e32 v92, 31, v91
	v_add_nc_u32_e32 v97, s5, v95
	v_add_co_ci_u32_e32 v84, vcc_lo, s3, v84, vcc_lo
	v_add_co_u32 v85, vcc_lo, s2, v85
	s_delay_alu instid0(VALU_DEP_3) | instskip(SKIP_3) | instid1(VALU_DEP_4)
	v_add_nc_u32_e32 v99, s5, v97
	v_lshlrev_b64 v[89:90], 3, v[89:90]
	v_ashrrev_i32_e32 v94, 31, v93
	v_add_co_ci_u32_e32 v86, vcc_lo, s3, v86, vcc_lo
	v_add_nc_u32_e32 v101, s5, v99
	v_add_co_u32 v87, vcc_lo, s2, v87
	v_lshlrev_b64 v[91:92], 3, v[91:92]
	v_ashrrev_i32_e32 v96, 31, v95
	v_add_co_ci_u32_e32 v88, vcc_lo, s3, v88, vcc_lo
	v_add_nc_u32_e32 v103, s5, v101
	v_add_co_u32 v89, vcc_lo, s2, v89
	v_lshlrev_b64 v[93:94], 3, v[93:94]
	v_ashrrev_i32_e32 v98, 31, v97
	v_add_co_ci_u32_e32 v90, vcc_lo, s3, v90, vcc_lo
	v_add_co_u32 v91, vcc_lo, s2, v91
	v_lshlrev_b64 v[95:96], 3, v[95:96]
	v_ashrrev_i32_e32 v100, 31, v99
	v_add_nc_u32_e32 v105, s5, v103
	v_add_co_ci_u32_e32 v92, vcc_lo, s3, v92, vcc_lo
	v_add_co_u32 v93, vcc_lo, s2, v93
	v_lshlrev_b64 v[97:98], 3, v[97:98]
	v_ashrrev_i32_e32 v102, 31, v101
	v_add_co_ci_u32_e32 v94, vcc_lo, s3, v94, vcc_lo
	v_add_co_u32 v95, vcc_lo, s2, v95
	v_lshlrev_b64 v[99:100], 3, v[99:100]
	v_add_nc_u32_e32 v107, s5, v105
	v_ashrrev_i32_e32 v104, 31, v103
	v_add_co_ci_u32_e32 v96, vcc_lo, s3, v96, vcc_lo
	v_add_co_u32 v97, vcc_lo, s2, v97
	v_lshlrev_b64 v[101:102], 3, v[101:102]
	v_ashrrev_i32_e32 v106, 31, v105
	v_add_co_ci_u32_e32 v98, vcc_lo, s3, v98, vcc_lo
	v_add_nc_u32_e32 v109, s5, v107
	v_add_co_u32 v99, vcc_lo, s2, v99
	v_lshlrev_b64 v[103:104], 3, v[103:104]
	v_ashrrev_i32_e32 v108, 31, v107
	v_add_co_ci_u32_e32 v100, vcc_lo, s3, v100, vcc_lo
	v_add_co_u32 v101, vcc_lo, s2, v101
	v_lshlrev_b64 v[105:106], 3, v[105:106]
	v_ashrrev_i32_e32 v110, 31, v109
	v_add_co_ci_u32_e32 v102, vcc_lo, s3, v102, vcc_lo
	v_add_co_u32 v103, vcc_lo, s2, v103
	v_lshlrev_b64 v[107:108], 3, v[107:108]
	v_add_co_ci_u32_e32 v104, vcc_lo, s3, v104, vcc_lo
	v_add_co_u32 v105, vcc_lo, s2, v105
	v_lshlrev_b64 v[109:110], 3, v[109:110]
	v_add_co_ci_u32_e32 v106, vcc_lo, s3, v106, vcc_lo
	v_add_co_u32 v107, vcc_lo, s2, v107
	v_add_co_ci_u32_e32 v108, vcc_lo, s3, v108, vcc_lo
	s_delay_alu instid0(VALU_DEP_4)
	v_add_co_u32 v109, vcc_lo, s2, v109
	v_add_co_ci_u32_e32 v110, vcc_lo, s3, v110, vcc_lo
	s_cselect_b32 s3, -1, 0
	s_cmpk_eq_i32 s1, 0x84
	s_waitcnt vmcnt(16)
	scratch_store_b128 off, v[1:4], off
	s_clause 0x3
	global_load_b64 v[1:2], v[45:46], off
	global_load_b64 v[3:4], v[49:50], off
	global_load_b64 v[136:137], v[51:52], off
	global_load_b64 v[138:139], v[55:56], off
	s_waitcnt vmcnt(18)
	scratch_store_b128 off, v[5:8], off offset:16
	s_waitcnt vmcnt(16)
	scratch_store_b128 off, v[9:12], off offset:32
	s_clause 0x3
	global_load_b64 v[5:6], v[57:58], off
	global_load_b64 v[7:8], v[59:60], off
	global_load_b64 v[9:10], v[61:62], off
	global_load_b64 v[11:12], v[63:64], off
	s_waitcnt vmcnt(18)
	scratch_store_b128 off, v[112:115], off offset:48
	s_waitcnt vmcnt(16)
	scratch_store_b128 off, v[116:119], off offset:64
	;; [unrolled: 9-line block ×3, first 2 shown]
	s_clause 0x2
	global_load_b64 v[120:121], v[73:74], off
	global_load_b64 v[122:123], v[75:76], off
	global_load_b64 v[124:125], v[77:78], off
	s_waitcnt vmcnt(17)
	scratch_store_b128 off, v[128:131], off offset:112
	s_waitcnt vmcnt(15)
	scratch_store_b128 off, v[132:135], off offset:128
	s_clause 0x3
	global_load_b64 v[126:127], v[79:80], off
	global_load_b64 v[128:129], v[81:82], off
	global_load_b64 v[130:131], v[83:84], off
	global_load_b64 v[132:133], v[85:86], off
	s_waitcnt vmcnt(17)
	scratch_store_b128 off, v[1:4], off offset:144
	s_waitcnt vmcnt(15)
	scratch_store_b128 off, v[136:139], off offset:160
	s_clause 0x3
	global_load_b64 v[134:135], v[87:88], off
	;; [unrolled: 9-line block ×4, first 2 shown]
	global_load_b64 v[112:113], v[105:106], off
	global_load_b64 v[114:115], v[107:108], off
	;; [unrolled: 1-line block ×3, first 2 shown]
	s_waitcnt vmcnt(17)
	scratch_store_b128 off, v[120:123], off offset:240
	s_waitcnt vmcnt(15)
	scratch_store_b128 off, v[124:127], off offset:256
	;; [unrolled: 2-line block ×7, first 2 shown]
	v_mov_b32_e32 v1, 0
	v_mov_b32_e32 v2, 0xbff00000
	s_waitcnt vmcnt(3)
	scratch_store_b128 off, v[9:12], off offset:352
	s_waitcnt vmcnt(1)
	scratch_store_b128 off, v[112:115], off offset:368
	s_waitcnt vmcnt(0)
	scratch_store_b64 off, v[116:117], off offset:384
	s_cbranch_scc1 .LBB48_3
; %bb.2:
	scratch_load_b64 v[1:2], v111, off
	s_waitcnt vmcnt(0)
	v_div_scale_f64 v[3:4], null, v[1:2], v[1:2], 1.0
	v_div_scale_f64 v[9:10], vcc_lo, 1.0, v[1:2], 1.0
	s_delay_alu instid0(VALU_DEP_2) | instskip(SKIP_2) | instid1(VALU_DEP_1)
	v_rcp_f64_e32 v[5:6], v[3:4]
	s_waitcnt_depctr 0xfff
	v_fma_f64 v[7:8], -v[3:4], v[5:6], 1.0
	v_fma_f64 v[5:6], v[5:6], v[7:8], v[5:6]
	s_delay_alu instid0(VALU_DEP_1) | instskip(NEXT) | instid1(VALU_DEP_1)
	v_fma_f64 v[7:8], -v[3:4], v[5:6], 1.0
	v_fma_f64 v[5:6], v[5:6], v[7:8], v[5:6]
	s_delay_alu instid0(VALU_DEP_1) | instskip(NEXT) | instid1(VALU_DEP_1)
	v_mul_f64 v[7:8], v[9:10], v[5:6]
	v_fma_f64 v[3:4], -v[3:4], v[7:8], v[9:10]
	s_delay_alu instid0(VALU_DEP_1) | instskip(NEXT) | instid1(VALU_DEP_1)
	v_div_fmas_f64 v[3:4], v[3:4], v[5:6], v[7:8]
	v_div_fixup_f64 v[1:2], v[3:4], v[1:2], 1.0
	scratch_store_b64 v111, v[1:2], off
	v_xor_b32_e32 v2, 0x80000000, v2
.LBB48_3:
	v_add_nc_u32_e32 v3, 0x190, v111
	v_add_nc_u32_e32 v4, 0, v111
	s_cmpk_eq_i32 s0, 0x79
	s_mov_b32 s0, -1
	ds_store_b64 v111, v[1:2]
	s_cbranch_scc1 .LBB48_479
; %bb.4:
	scratch_load_b64 v[1:2], off, off offset:376
	v_cmp_eq_u32_e64 s0, 48, v0
	s_movk_i32 s1, 0x50
	s_movk_i32 s2, 0x60
	;; [unrolled: 1-line block ×19, first 2 shown]
	s_waitcnt vmcnt(0)
	ds_store_b64 v3, v[1:2]
	s_waitcnt lgkmcnt(0)
	s_waitcnt_vscnt null, 0x0
	s_barrier
	buffer_gl0_inv
	s_and_saveexec_b32 s21, s0
	s_cbranch_execz .LBB48_10
; %bb.5:
	s_and_b32 vcc_lo, exec_lo, s3
	s_cbranch_vccz .LBB48_7
; %bb.6:
	scratch_load_b64 v[1:2], v4, off
	ds_load_b64 v[5:6], v3
	s_waitcnt vmcnt(0) lgkmcnt(0)
	v_mul_f64 v[1:2], v[1:2], v[5:6]
	s_cbranch_execz .LBB48_8
	s_branch .LBB48_9
.LBB48_7:
                                        ; implicit-def: $vgpr1_vgpr2
.LBB48_8:
	ds_load_b64 v[1:2], v3
.LBB48_9:
	v_mov_b32_e32 v5, 0
	ds_load_b64 v[5:6], v5 offset:376
	s_waitcnt lgkmcnt(0)
	v_mul_f64 v[1:2], v[1:2], v[5:6]
	scratch_store_b64 off, v[1:2], off offset:376
.LBB48_10:
	s_or_b32 exec_lo, exec_lo, s21
	scratch_load_b64 v[1:2], off, off offset:368
	v_add_nc_u32_e64 v5, 0, 16
	v_add_nc_u32_e64 v6, 0, 32
	;; [unrolled: 1-line block ×23, first 2 shown]
	v_cmp_lt_u32_e64 s2, 46, v0
	s_waitcnt vmcnt(0)
	ds_store_b64 v3, v[1:2]
	s_waitcnt lgkmcnt(0)
	s_waitcnt_vscnt null, 0x0
	s_barrier
	buffer_gl0_inv
	s_and_saveexec_b32 s1, s2
	s_cbranch_execz .LBB48_18
; %bb.11:
	s_and_not1_b32 vcc_lo, exec_lo, s3
	s_cbranch_vccnz .LBB48_13
; %bb.12:
	scratch_load_b64 v[1:2], v4, off
	ds_load_b64 v[127:128], v3
	s_waitcnt vmcnt(0) lgkmcnt(0)
	v_mul_f64 v[1:2], v[1:2], v[127:128]
	s_cbranch_execz .LBB48_14
	s_branch .LBB48_15
.LBB48_13:
                                        ; implicit-def: $vgpr1_vgpr2
.LBB48_14:
	ds_load_b64 v[1:2], v3
.LBB48_15:
	s_and_saveexec_b32 s4, s0
	s_cbranch_execz .LBB48_17
; %bb.16:
	scratch_load_b64 v[127:128], off, off offset:376
	v_mov_b32_e32 v129, 0
	ds_load_b64 v[129:130], v129 offset:776
	s_waitcnt vmcnt(0) lgkmcnt(0)
	v_fma_f64 v[1:2], v[127:128], v[129:130], v[1:2]
.LBB48_17:
	s_or_b32 exec_lo, exec_lo, s4
	v_mov_b32_e32 v127, 0
	ds_load_b64 v[127:128], v127 offset:368
	s_waitcnt lgkmcnt(0)
	v_mul_f64 v[1:2], v[1:2], v[127:128]
	scratch_store_b64 off, v[1:2], off offset:368
.LBB48_18:
	s_or_b32 exec_lo, exec_lo, s1
	scratch_load_b64 v[1:2], off, off offset:360
	v_cmp_lt_u32_e64 s1, 45, v0
	s_waitcnt vmcnt(0)
	ds_store_b64 v3, v[1:2]
	s_waitcnt lgkmcnt(0)
	s_waitcnt_vscnt null, 0x0
	s_barrier
	buffer_gl0_inv
	s_and_saveexec_b32 s0, s1
	s_cbranch_execz .LBB48_28
; %bb.19:
	s_and_not1_b32 vcc_lo, exec_lo, s3
	s_cbranch_vccnz .LBB48_21
; %bb.20:
	scratch_load_b64 v[1:2], v4, off
	ds_load_b64 v[127:128], v3
	s_waitcnt vmcnt(0) lgkmcnt(0)
	v_mul_f64 v[1:2], v[1:2], v[127:128]
	s_cbranch_execz .LBB48_22
	s_branch .LBB48_23
.LBB48_21:
                                        ; implicit-def: $vgpr1_vgpr2
.LBB48_22:
	ds_load_b64 v[1:2], v3
.LBB48_23:
	s_and_saveexec_b32 s4, s2
	s_cbranch_execz .LBB48_27
; %bb.24:
	v_subrev_nc_u32_e32 v127, 46, v0
	s_movk_i32 s5, 0x300
	s_mov_b32 s2, 0
.LBB48_25:                              ; =>This Inner Loop Header: Depth=1
	scratch_load_b64 v[128:129], v126, off
	v_dual_mov_b32 v130, s5 :: v_dual_add_nc_u32 v127, -1, v127
	v_add_nc_u32_e32 v126, 8, v126
	s_add_i32 s5, s5, 8
	ds_load_b64 v[130:131], v130
	v_cmp_eq_u32_e32 vcc_lo, 0, v127
	s_or_b32 s2, vcc_lo, s2
	s_waitcnt vmcnt(0) lgkmcnt(0)
	v_fma_f64 v[1:2], v[128:129], v[130:131], v[1:2]
	s_and_not1_b32 exec_lo, exec_lo, s2
	s_cbranch_execnz .LBB48_25
; %bb.26:
	s_or_b32 exec_lo, exec_lo, s2
.LBB48_27:
	s_delay_alu instid0(SALU_CYCLE_1)
	s_or_b32 exec_lo, exec_lo, s4
	v_mov_b32_e32 v126, 0
	ds_load_b64 v[126:127], v126 offset:360
	s_waitcnt lgkmcnt(0)
	v_mul_f64 v[1:2], v[1:2], v[126:127]
	scratch_store_b64 off, v[1:2], off offset:360
.LBB48_28:
	s_or_b32 exec_lo, exec_lo, s0
	scratch_load_b64 v[1:2], off, off offset:352
	v_cmp_lt_u32_e64 s0, 44, v0
	s_waitcnt vmcnt(0)
	ds_store_b64 v3, v[1:2]
	s_waitcnt lgkmcnt(0)
	s_waitcnt_vscnt null, 0x0
	s_barrier
	buffer_gl0_inv
	s_and_saveexec_b32 s2, s0
	s_cbranch_execz .LBB48_38
; %bb.29:
	s_and_not1_b32 vcc_lo, exec_lo, s3
	s_cbranch_vccnz .LBB48_31
; %bb.30:
	scratch_load_b64 v[1:2], v4, off
	ds_load_b64 v[126:127], v3
	s_waitcnt vmcnt(0) lgkmcnt(0)
	v_mul_f64 v[1:2], v[1:2], v[126:127]
	s_cbranch_execz .LBB48_32
	s_branch .LBB48_33
.LBB48_31:
                                        ; implicit-def: $vgpr1_vgpr2
.LBB48_32:
	ds_load_b64 v[1:2], v3
.LBB48_33:
	s_and_saveexec_b32 s4, s1
	s_cbranch_execz .LBB48_37
; %bb.34:
	v_mov_b32_e32 v126, 0
	v_subrev_nc_u32_e32 v127, 45, v0
	s_movk_i32 s5, 0x2f8
	s_mov_b32 s1, 0
	s_delay_alu instid0(VALU_DEP_2)
	v_add_nc_u32_e32 v126, 0x168, v126
.LBB48_35:                              ; =>This Inner Loop Header: Depth=1
	scratch_load_b64 v[128:129], v126, off
	v_dual_mov_b32 v130, s5 :: v_dual_add_nc_u32 v127, -1, v127
	v_add_nc_u32_e32 v126, 8, v126
	s_add_i32 s5, s5, 8
	ds_load_b64 v[130:131], v130
	v_cmp_eq_u32_e32 vcc_lo, 0, v127
	s_or_b32 s1, vcc_lo, s1
	s_waitcnt vmcnt(0) lgkmcnt(0)
	v_fma_f64 v[1:2], v[128:129], v[130:131], v[1:2]
	s_and_not1_b32 exec_lo, exec_lo, s1
	s_cbranch_execnz .LBB48_35
; %bb.36:
	s_or_b32 exec_lo, exec_lo, s1
.LBB48_37:
	s_delay_alu instid0(SALU_CYCLE_1)
	s_or_b32 exec_lo, exec_lo, s4
	v_mov_b32_e32 v126, 0
	ds_load_b64 v[126:127], v126 offset:352
	s_waitcnt lgkmcnt(0)
	v_mul_f64 v[1:2], v[1:2], v[126:127]
	scratch_store_b64 off, v[1:2], off offset:352
.LBB48_38:
	s_or_b32 exec_lo, exec_lo, s2
	scratch_load_b64 v[1:2], off, off offset:344
	v_cmp_lt_u32_e64 s1, 43, v0
	s_waitcnt vmcnt(0)
	ds_store_b64 v3, v[1:2]
	s_waitcnt lgkmcnt(0)
	s_waitcnt_vscnt null, 0x0
	s_barrier
	buffer_gl0_inv
	s_and_saveexec_b32 s2, s1
	s_cbranch_execz .LBB48_48
; %bb.39:
	s_and_not1_b32 vcc_lo, exec_lo, s3
	s_cbranch_vccnz .LBB48_41
; %bb.40:
	scratch_load_b64 v[1:2], v4, off
	ds_load_b64 v[126:127], v3
	s_waitcnt vmcnt(0) lgkmcnt(0)
	v_mul_f64 v[1:2], v[1:2], v[126:127]
	s_cbranch_execz .LBB48_42
	s_branch .LBB48_43
.LBB48_41:
                                        ; implicit-def: $vgpr1_vgpr2
.LBB48_42:
	ds_load_b64 v[1:2], v3
.LBB48_43:
	s_and_saveexec_b32 s4, s0
	s_cbranch_execz .LBB48_47
; %bb.44:
	v_subrev_nc_u32_e32 v126, 44, v0
	s_movk_i32 s5, 0x2f0
	s_mov_b32 s0, 0
.LBB48_45:                              ; =>This Inner Loop Header: Depth=1
	scratch_load_b64 v[127:128], v125, off
	v_dual_mov_b32 v129, s5 :: v_dual_add_nc_u32 v126, -1, v126
	v_add_nc_u32_e32 v125, 8, v125
	s_add_i32 s5, s5, 8
	ds_load_b64 v[129:130], v129
	v_cmp_eq_u32_e32 vcc_lo, 0, v126
	s_or_b32 s0, vcc_lo, s0
	s_waitcnt vmcnt(0) lgkmcnt(0)
	v_fma_f64 v[1:2], v[127:128], v[129:130], v[1:2]
	s_and_not1_b32 exec_lo, exec_lo, s0
	s_cbranch_execnz .LBB48_45
; %bb.46:
	s_or_b32 exec_lo, exec_lo, s0
.LBB48_47:
	s_delay_alu instid0(SALU_CYCLE_1)
	s_or_b32 exec_lo, exec_lo, s4
	v_mov_b32_e32 v125, 0
	ds_load_b64 v[125:126], v125 offset:344
	s_waitcnt lgkmcnt(0)
	v_mul_f64 v[1:2], v[1:2], v[125:126]
	scratch_store_b64 off, v[1:2], off offset:344
.LBB48_48:
	s_or_b32 exec_lo, exec_lo, s2
	scratch_load_b64 v[1:2], off, off offset:336
	v_cmp_lt_u32_e64 s0, 42, v0
	s_waitcnt vmcnt(0)
	ds_store_b64 v3, v[1:2]
	s_waitcnt lgkmcnt(0)
	s_waitcnt_vscnt null, 0x0
	s_barrier
	buffer_gl0_inv
	s_and_saveexec_b32 s2, s0
	s_cbranch_execz .LBB48_58
; %bb.49:
	s_and_not1_b32 vcc_lo, exec_lo, s3
	s_cbranch_vccnz .LBB48_51
; %bb.50:
	scratch_load_b64 v[1:2], v4, off
	ds_load_b64 v[125:126], v3
	s_waitcnt vmcnt(0) lgkmcnt(0)
	v_mul_f64 v[1:2], v[1:2], v[125:126]
	s_cbranch_execz .LBB48_52
	s_branch .LBB48_53
.LBB48_51:
                                        ; implicit-def: $vgpr1_vgpr2
.LBB48_52:
	ds_load_b64 v[1:2], v3
.LBB48_53:
	s_and_saveexec_b32 s4, s1
	s_cbranch_execz .LBB48_57
; %bb.54:
	v_mov_b32_e32 v125, 0
	v_subrev_nc_u32_e32 v126, 43, v0
	s_movk_i32 s5, 0x2e8
	s_mov_b32 s1, 0
	s_delay_alu instid0(VALU_DEP_2)
	v_add_nc_u32_e32 v125, 0x158, v125
.LBB48_55:                              ; =>This Inner Loop Header: Depth=1
	scratch_load_b64 v[127:128], v125, off
	v_dual_mov_b32 v129, s5 :: v_dual_add_nc_u32 v126, -1, v126
	v_add_nc_u32_e32 v125, 8, v125
	s_add_i32 s5, s5, 8
	ds_load_b64 v[129:130], v129
	v_cmp_eq_u32_e32 vcc_lo, 0, v126
	s_or_b32 s1, vcc_lo, s1
	s_waitcnt vmcnt(0) lgkmcnt(0)
	v_fma_f64 v[1:2], v[127:128], v[129:130], v[1:2]
	s_and_not1_b32 exec_lo, exec_lo, s1
	s_cbranch_execnz .LBB48_55
; %bb.56:
	s_or_b32 exec_lo, exec_lo, s1
.LBB48_57:
	s_delay_alu instid0(SALU_CYCLE_1)
	s_or_b32 exec_lo, exec_lo, s4
	v_mov_b32_e32 v125, 0
	ds_load_b64 v[125:126], v125 offset:336
	s_waitcnt lgkmcnt(0)
	v_mul_f64 v[1:2], v[1:2], v[125:126]
	scratch_store_b64 off, v[1:2], off offset:336
.LBB48_58:
	s_or_b32 exec_lo, exec_lo, s2
	scratch_load_b64 v[1:2], off, off offset:328
	v_cmp_lt_u32_e64 s1, 41, v0
	s_waitcnt vmcnt(0)
	ds_store_b64 v3, v[1:2]
	s_waitcnt lgkmcnt(0)
	s_waitcnt_vscnt null, 0x0
	s_barrier
	buffer_gl0_inv
	s_and_saveexec_b32 s2, s1
	s_cbranch_execz .LBB48_68
; %bb.59:
	s_and_not1_b32 vcc_lo, exec_lo, s3
	s_cbranch_vccnz .LBB48_61
; %bb.60:
	scratch_load_b64 v[1:2], v4, off
	ds_load_b64 v[125:126], v3
	s_waitcnt vmcnt(0) lgkmcnt(0)
	v_mul_f64 v[1:2], v[1:2], v[125:126]
	s_cbranch_execz .LBB48_62
	s_branch .LBB48_63
.LBB48_61:
                                        ; implicit-def: $vgpr1_vgpr2
.LBB48_62:
	ds_load_b64 v[1:2], v3
.LBB48_63:
	s_and_saveexec_b32 s4, s0
	s_cbranch_execz .LBB48_67
; %bb.64:
	v_subrev_nc_u32_e32 v125, 42, v0
	s_movk_i32 s5, 0x2e0
	s_mov_b32 s0, 0
.LBB48_65:                              ; =>This Inner Loop Header: Depth=1
	scratch_load_b64 v[126:127], v124, off
	v_dual_mov_b32 v128, s5 :: v_dual_add_nc_u32 v125, -1, v125
	v_add_nc_u32_e32 v124, 8, v124
	s_add_i32 s5, s5, 8
	ds_load_b64 v[128:129], v128
	v_cmp_eq_u32_e32 vcc_lo, 0, v125
	s_or_b32 s0, vcc_lo, s0
	s_waitcnt vmcnt(0) lgkmcnt(0)
	v_fma_f64 v[1:2], v[126:127], v[128:129], v[1:2]
	s_and_not1_b32 exec_lo, exec_lo, s0
	s_cbranch_execnz .LBB48_65
; %bb.66:
	s_or_b32 exec_lo, exec_lo, s0
.LBB48_67:
	s_delay_alu instid0(SALU_CYCLE_1)
	s_or_b32 exec_lo, exec_lo, s4
	v_mov_b32_e32 v124, 0
	ds_load_b64 v[124:125], v124 offset:328
	s_waitcnt lgkmcnt(0)
	v_mul_f64 v[1:2], v[1:2], v[124:125]
	scratch_store_b64 off, v[1:2], off offset:328
.LBB48_68:
	s_or_b32 exec_lo, exec_lo, s2
	scratch_load_b64 v[1:2], off, off offset:320
	v_cmp_lt_u32_e64 s0, 40, v0
	s_waitcnt vmcnt(0)
	ds_store_b64 v3, v[1:2]
	s_waitcnt lgkmcnt(0)
	s_waitcnt_vscnt null, 0x0
	s_barrier
	buffer_gl0_inv
	s_and_saveexec_b32 s2, s0
	s_cbranch_execz .LBB48_78
; %bb.69:
	s_and_not1_b32 vcc_lo, exec_lo, s3
	s_cbranch_vccnz .LBB48_71
; %bb.70:
	scratch_load_b64 v[1:2], v4, off
	ds_load_b64 v[124:125], v3
	s_waitcnt vmcnt(0) lgkmcnt(0)
	v_mul_f64 v[1:2], v[1:2], v[124:125]
	s_cbranch_execz .LBB48_72
	s_branch .LBB48_73
.LBB48_71:
                                        ; implicit-def: $vgpr1_vgpr2
.LBB48_72:
	ds_load_b64 v[1:2], v3
.LBB48_73:
	s_and_saveexec_b32 s4, s1
	s_cbranch_execz .LBB48_77
; %bb.74:
	v_mov_b32_e32 v124, 0
	v_subrev_nc_u32_e32 v125, 41, v0
	s_movk_i32 s5, 0x2d8
	s_mov_b32 s1, 0
	s_delay_alu instid0(VALU_DEP_2)
	v_add_nc_u32_e32 v124, 0x148, v124
.LBB48_75:                              ; =>This Inner Loop Header: Depth=1
	scratch_load_b64 v[126:127], v124, off
	v_dual_mov_b32 v128, s5 :: v_dual_add_nc_u32 v125, -1, v125
	v_add_nc_u32_e32 v124, 8, v124
	s_add_i32 s5, s5, 8
	ds_load_b64 v[128:129], v128
	v_cmp_eq_u32_e32 vcc_lo, 0, v125
	s_or_b32 s1, vcc_lo, s1
	s_waitcnt vmcnt(0) lgkmcnt(0)
	v_fma_f64 v[1:2], v[126:127], v[128:129], v[1:2]
	s_and_not1_b32 exec_lo, exec_lo, s1
	s_cbranch_execnz .LBB48_75
; %bb.76:
	s_or_b32 exec_lo, exec_lo, s1
.LBB48_77:
	s_delay_alu instid0(SALU_CYCLE_1)
	s_or_b32 exec_lo, exec_lo, s4
	v_mov_b32_e32 v124, 0
	ds_load_b64 v[124:125], v124 offset:320
	s_waitcnt lgkmcnt(0)
	v_mul_f64 v[1:2], v[1:2], v[124:125]
	scratch_store_b64 off, v[1:2], off offset:320
.LBB48_78:
	s_or_b32 exec_lo, exec_lo, s2
	scratch_load_b64 v[1:2], off, off offset:312
	v_cmp_lt_u32_e64 s1, 39, v0
	s_waitcnt vmcnt(0)
	ds_store_b64 v3, v[1:2]
	s_waitcnt lgkmcnt(0)
	s_waitcnt_vscnt null, 0x0
	s_barrier
	buffer_gl0_inv
	s_and_saveexec_b32 s2, s1
	s_cbranch_execz .LBB48_88
; %bb.79:
	s_and_not1_b32 vcc_lo, exec_lo, s3
	s_cbranch_vccnz .LBB48_81
; %bb.80:
	scratch_load_b64 v[1:2], v4, off
	ds_load_b64 v[124:125], v3
	s_waitcnt vmcnt(0) lgkmcnt(0)
	v_mul_f64 v[1:2], v[1:2], v[124:125]
	s_cbranch_execz .LBB48_82
	s_branch .LBB48_83
.LBB48_81:
                                        ; implicit-def: $vgpr1_vgpr2
.LBB48_82:
	ds_load_b64 v[1:2], v3
.LBB48_83:
	s_and_saveexec_b32 s4, s0
	s_cbranch_execz .LBB48_87
; %bb.84:
	v_subrev_nc_u32_e32 v124, 40, v0
	s_movk_i32 s5, 0x2d0
	s_mov_b32 s0, 0
.LBB48_85:                              ; =>This Inner Loop Header: Depth=1
	scratch_load_b64 v[125:126], v123, off
	v_dual_mov_b32 v127, s5 :: v_dual_add_nc_u32 v124, -1, v124
	v_add_nc_u32_e32 v123, 8, v123
	s_add_i32 s5, s5, 8
	ds_load_b64 v[127:128], v127
	v_cmp_eq_u32_e32 vcc_lo, 0, v124
	s_or_b32 s0, vcc_lo, s0
	s_waitcnt vmcnt(0) lgkmcnt(0)
	v_fma_f64 v[1:2], v[125:126], v[127:128], v[1:2]
	s_and_not1_b32 exec_lo, exec_lo, s0
	s_cbranch_execnz .LBB48_85
; %bb.86:
	s_or_b32 exec_lo, exec_lo, s0
.LBB48_87:
	s_delay_alu instid0(SALU_CYCLE_1)
	s_or_b32 exec_lo, exec_lo, s4
	v_mov_b32_e32 v123, 0
	ds_load_b64 v[123:124], v123 offset:312
	s_waitcnt lgkmcnt(0)
	v_mul_f64 v[1:2], v[1:2], v[123:124]
	scratch_store_b64 off, v[1:2], off offset:312
.LBB48_88:
	s_or_b32 exec_lo, exec_lo, s2
	scratch_load_b64 v[1:2], off, off offset:304
	v_cmp_lt_u32_e64 s0, 38, v0
	s_waitcnt vmcnt(0)
	ds_store_b64 v3, v[1:2]
	s_waitcnt lgkmcnt(0)
	s_waitcnt_vscnt null, 0x0
	s_barrier
	buffer_gl0_inv
	s_and_saveexec_b32 s2, s0
	s_cbranch_execz .LBB48_98
; %bb.89:
	s_and_not1_b32 vcc_lo, exec_lo, s3
	s_cbranch_vccnz .LBB48_91
; %bb.90:
	scratch_load_b64 v[1:2], v4, off
	ds_load_b64 v[123:124], v3
	s_waitcnt vmcnt(0) lgkmcnt(0)
	v_mul_f64 v[1:2], v[1:2], v[123:124]
	s_cbranch_execz .LBB48_92
	s_branch .LBB48_93
.LBB48_91:
                                        ; implicit-def: $vgpr1_vgpr2
.LBB48_92:
	ds_load_b64 v[1:2], v3
.LBB48_93:
	s_and_saveexec_b32 s4, s1
	s_cbranch_execz .LBB48_97
; %bb.94:
	v_mov_b32_e32 v123, 0
	v_subrev_nc_u32_e32 v124, 39, v0
	s_movk_i32 s5, 0x2c8
	s_mov_b32 s1, 0
	s_delay_alu instid0(VALU_DEP_2)
	v_add_nc_u32_e32 v123, 0x138, v123
.LBB48_95:                              ; =>This Inner Loop Header: Depth=1
	scratch_load_b64 v[125:126], v123, off
	v_dual_mov_b32 v127, s5 :: v_dual_add_nc_u32 v124, -1, v124
	v_add_nc_u32_e32 v123, 8, v123
	s_add_i32 s5, s5, 8
	ds_load_b64 v[127:128], v127
	v_cmp_eq_u32_e32 vcc_lo, 0, v124
	s_or_b32 s1, vcc_lo, s1
	s_waitcnt vmcnt(0) lgkmcnt(0)
	v_fma_f64 v[1:2], v[125:126], v[127:128], v[1:2]
	s_and_not1_b32 exec_lo, exec_lo, s1
	s_cbranch_execnz .LBB48_95
; %bb.96:
	s_or_b32 exec_lo, exec_lo, s1
.LBB48_97:
	s_delay_alu instid0(SALU_CYCLE_1)
	s_or_b32 exec_lo, exec_lo, s4
	v_mov_b32_e32 v123, 0
	ds_load_b64 v[123:124], v123 offset:304
	s_waitcnt lgkmcnt(0)
	v_mul_f64 v[1:2], v[1:2], v[123:124]
	scratch_store_b64 off, v[1:2], off offset:304
.LBB48_98:
	s_or_b32 exec_lo, exec_lo, s2
	scratch_load_b64 v[1:2], off, off offset:296
	v_cmp_lt_u32_e64 s1, 37, v0
	s_waitcnt vmcnt(0)
	ds_store_b64 v3, v[1:2]
	s_waitcnt lgkmcnt(0)
	s_waitcnt_vscnt null, 0x0
	s_barrier
	buffer_gl0_inv
	s_and_saveexec_b32 s2, s1
	s_cbranch_execz .LBB48_108
; %bb.99:
	s_and_not1_b32 vcc_lo, exec_lo, s3
	s_cbranch_vccnz .LBB48_101
; %bb.100:
	scratch_load_b64 v[1:2], v4, off
	ds_load_b64 v[123:124], v3
	s_waitcnt vmcnt(0) lgkmcnt(0)
	v_mul_f64 v[1:2], v[1:2], v[123:124]
	s_cbranch_execz .LBB48_102
	s_branch .LBB48_103
.LBB48_101:
                                        ; implicit-def: $vgpr1_vgpr2
.LBB48_102:
	ds_load_b64 v[1:2], v3
.LBB48_103:
	s_and_saveexec_b32 s4, s0
	s_cbranch_execz .LBB48_107
; %bb.104:
	v_subrev_nc_u32_e32 v123, 38, v0
	s_movk_i32 s5, 0x2c0
	s_mov_b32 s0, 0
.LBB48_105:                             ; =>This Inner Loop Header: Depth=1
	scratch_load_b64 v[124:125], v122, off
	v_dual_mov_b32 v126, s5 :: v_dual_add_nc_u32 v123, -1, v123
	v_add_nc_u32_e32 v122, 8, v122
	s_add_i32 s5, s5, 8
	ds_load_b64 v[126:127], v126
	v_cmp_eq_u32_e32 vcc_lo, 0, v123
	s_or_b32 s0, vcc_lo, s0
	s_waitcnt vmcnt(0) lgkmcnt(0)
	v_fma_f64 v[1:2], v[124:125], v[126:127], v[1:2]
	s_and_not1_b32 exec_lo, exec_lo, s0
	s_cbranch_execnz .LBB48_105
; %bb.106:
	s_or_b32 exec_lo, exec_lo, s0
.LBB48_107:
	s_delay_alu instid0(SALU_CYCLE_1)
	s_or_b32 exec_lo, exec_lo, s4
	v_mov_b32_e32 v122, 0
	ds_load_b64 v[122:123], v122 offset:296
	s_waitcnt lgkmcnt(0)
	v_mul_f64 v[1:2], v[1:2], v[122:123]
	scratch_store_b64 off, v[1:2], off offset:296
.LBB48_108:
	s_or_b32 exec_lo, exec_lo, s2
	scratch_load_b64 v[1:2], off, off offset:288
	v_cmp_lt_u32_e64 s0, 36, v0
	s_waitcnt vmcnt(0)
	ds_store_b64 v3, v[1:2]
	s_waitcnt lgkmcnt(0)
	s_waitcnt_vscnt null, 0x0
	s_barrier
	buffer_gl0_inv
	s_and_saveexec_b32 s2, s0
	s_cbranch_execz .LBB48_118
; %bb.109:
	s_and_not1_b32 vcc_lo, exec_lo, s3
	s_cbranch_vccnz .LBB48_111
; %bb.110:
	scratch_load_b64 v[1:2], v4, off
	ds_load_b64 v[122:123], v3
	s_waitcnt vmcnt(0) lgkmcnt(0)
	v_mul_f64 v[1:2], v[1:2], v[122:123]
	s_cbranch_execz .LBB48_112
	s_branch .LBB48_113
.LBB48_111:
                                        ; implicit-def: $vgpr1_vgpr2
.LBB48_112:
	ds_load_b64 v[1:2], v3
.LBB48_113:
	s_and_saveexec_b32 s4, s1
	s_cbranch_execz .LBB48_117
; %bb.114:
	v_mov_b32_e32 v122, 0
	v_subrev_nc_u32_e32 v123, 37, v0
	s_movk_i32 s5, 0x2b8
	s_mov_b32 s1, 0
	s_delay_alu instid0(VALU_DEP_2)
	v_add_nc_u32_e32 v122, 0x128, v122
.LBB48_115:                             ; =>This Inner Loop Header: Depth=1
	scratch_load_b64 v[124:125], v122, off
	v_dual_mov_b32 v126, s5 :: v_dual_add_nc_u32 v123, -1, v123
	v_add_nc_u32_e32 v122, 8, v122
	s_add_i32 s5, s5, 8
	ds_load_b64 v[126:127], v126
	v_cmp_eq_u32_e32 vcc_lo, 0, v123
	s_or_b32 s1, vcc_lo, s1
	s_waitcnt vmcnt(0) lgkmcnt(0)
	v_fma_f64 v[1:2], v[124:125], v[126:127], v[1:2]
	s_and_not1_b32 exec_lo, exec_lo, s1
	s_cbranch_execnz .LBB48_115
; %bb.116:
	s_or_b32 exec_lo, exec_lo, s1
.LBB48_117:
	s_delay_alu instid0(SALU_CYCLE_1)
	s_or_b32 exec_lo, exec_lo, s4
	v_mov_b32_e32 v122, 0
	ds_load_b64 v[122:123], v122 offset:288
	s_waitcnt lgkmcnt(0)
	v_mul_f64 v[1:2], v[1:2], v[122:123]
	scratch_store_b64 off, v[1:2], off offset:288
.LBB48_118:
	s_or_b32 exec_lo, exec_lo, s2
	scratch_load_b64 v[1:2], off, off offset:280
	v_cmp_lt_u32_e64 s1, 35, v0
	s_waitcnt vmcnt(0)
	ds_store_b64 v3, v[1:2]
	s_waitcnt lgkmcnt(0)
	s_waitcnt_vscnt null, 0x0
	s_barrier
	buffer_gl0_inv
	s_and_saveexec_b32 s2, s1
	s_cbranch_execz .LBB48_128
; %bb.119:
	s_and_not1_b32 vcc_lo, exec_lo, s3
	s_cbranch_vccnz .LBB48_121
; %bb.120:
	scratch_load_b64 v[1:2], v4, off
	ds_load_b64 v[122:123], v3
	s_waitcnt vmcnt(0) lgkmcnt(0)
	v_mul_f64 v[1:2], v[1:2], v[122:123]
	s_cbranch_execz .LBB48_122
	s_branch .LBB48_123
.LBB48_121:
                                        ; implicit-def: $vgpr1_vgpr2
.LBB48_122:
	ds_load_b64 v[1:2], v3
.LBB48_123:
	s_and_saveexec_b32 s4, s0
	s_cbranch_execz .LBB48_127
; %bb.124:
	v_subrev_nc_u32_e32 v122, 36, v0
	s_movk_i32 s5, 0x2b0
	s_mov_b32 s0, 0
.LBB48_125:                             ; =>This Inner Loop Header: Depth=1
	scratch_load_b64 v[123:124], v121, off
	v_dual_mov_b32 v125, s5 :: v_dual_add_nc_u32 v122, -1, v122
	v_add_nc_u32_e32 v121, 8, v121
	s_add_i32 s5, s5, 8
	ds_load_b64 v[125:126], v125
	v_cmp_eq_u32_e32 vcc_lo, 0, v122
	s_or_b32 s0, vcc_lo, s0
	s_waitcnt vmcnt(0) lgkmcnt(0)
	v_fma_f64 v[1:2], v[123:124], v[125:126], v[1:2]
	s_and_not1_b32 exec_lo, exec_lo, s0
	s_cbranch_execnz .LBB48_125
; %bb.126:
	s_or_b32 exec_lo, exec_lo, s0
.LBB48_127:
	s_delay_alu instid0(SALU_CYCLE_1)
	s_or_b32 exec_lo, exec_lo, s4
	v_mov_b32_e32 v121, 0
	ds_load_b64 v[121:122], v121 offset:280
	s_waitcnt lgkmcnt(0)
	v_mul_f64 v[1:2], v[1:2], v[121:122]
	scratch_store_b64 off, v[1:2], off offset:280
.LBB48_128:
	s_or_b32 exec_lo, exec_lo, s2
	scratch_load_b64 v[1:2], off, off offset:272
	v_cmp_lt_u32_e64 s0, 34, v0
	s_waitcnt vmcnt(0)
	ds_store_b64 v3, v[1:2]
	s_waitcnt lgkmcnt(0)
	s_waitcnt_vscnt null, 0x0
	s_barrier
	buffer_gl0_inv
	s_and_saveexec_b32 s2, s0
	s_cbranch_execz .LBB48_138
; %bb.129:
	s_and_not1_b32 vcc_lo, exec_lo, s3
	s_cbranch_vccnz .LBB48_131
; %bb.130:
	scratch_load_b64 v[1:2], v4, off
	ds_load_b64 v[121:122], v3
	s_waitcnt vmcnt(0) lgkmcnt(0)
	v_mul_f64 v[1:2], v[1:2], v[121:122]
	s_cbranch_execz .LBB48_132
	s_branch .LBB48_133
.LBB48_131:
                                        ; implicit-def: $vgpr1_vgpr2
.LBB48_132:
	ds_load_b64 v[1:2], v3
.LBB48_133:
	s_and_saveexec_b32 s4, s1
	s_cbranch_execz .LBB48_137
; %bb.134:
	v_mov_b32_e32 v121, 0
	v_subrev_nc_u32_e32 v122, 35, v0
	s_movk_i32 s5, 0x2a8
	s_mov_b32 s1, 0
	s_delay_alu instid0(VALU_DEP_2)
	v_add_nc_u32_e32 v121, 0x118, v121
.LBB48_135:                             ; =>This Inner Loop Header: Depth=1
	scratch_load_b64 v[123:124], v121, off
	v_dual_mov_b32 v125, s5 :: v_dual_add_nc_u32 v122, -1, v122
	v_add_nc_u32_e32 v121, 8, v121
	s_add_i32 s5, s5, 8
	ds_load_b64 v[125:126], v125
	v_cmp_eq_u32_e32 vcc_lo, 0, v122
	s_or_b32 s1, vcc_lo, s1
	s_waitcnt vmcnt(0) lgkmcnt(0)
	v_fma_f64 v[1:2], v[123:124], v[125:126], v[1:2]
	s_and_not1_b32 exec_lo, exec_lo, s1
	s_cbranch_execnz .LBB48_135
; %bb.136:
	s_or_b32 exec_lo, exec_lo, s1
.LBB48_137:
	s_delay_alu instid0(SALU_CYCLE_1)
	s_or_b32 exec_lo, exec_lo, s4
	v_mov_b32_e32 v121, 0
	ds_load_b64 v[121:122], v121 offset:272
	s_waitcnt lgkmcnt(0)
	v_mul_f64 v[1:2], v[1:2], v[121:122]
	scratch_store_b64 off, v[1:2], off offset:272
.LBB48_138:
	s_or_b32 exec_lo, exec_lo, s2
	scratch_load_b64 v[1:2], off, off offset:264
	v_cmp_lt_u32_e64 s1, 33, v0
	s_waitcnt vmcnt(0)
	ds_store_b64 v3, v[1:2]
	s_waitcnt lgkmcnt(0)
	s_waitcnt_vscnt null, 0x0
	s_barrier
	buffer_gl0_inv
	s_and_saveexec_b32 s2, s1
	s_cbranch_execz .LBB48_148
; %bb.139:
	s_and_not1_b32 vcc_lo, exec_lo, s3
	s_cbranch_vccnz .LBB48_141
; %bb.140:
	scratch_load_b64 v[1:2], v4, off
	ds_load_b64 v[121:122], v3
	s_waitcnt vmcnt(0) lgkmcnt(0)
	v_mul_f64 v[1:2], v[1:2], v[121:122]
	s_cbranch_execz .LBB48_142
	s_branch .LBB48_143
.LBB48_141:
                                        ; implicit-def: $vgpr1_vgpr2
.LBB48_142:
	ds_load_b64 v[1:2], v3
.LBB48_143:
	s_and_saveexec_b32 s4, s0
	s_cbranch_execz .LBB48_147
; %bb.144:
	v_subrev_nc_u32_e32 v121, 34, v0
	s_movk_i32 s5, 0x2a0
	s_mov_b32 s0, 0
.LBB48_145:                             ; =>This Inner Loop Header: Depth=1
	scratch_load_b64 v[122:123], v120, off
	v_dual_mov_b32 v124, s5 :: v_dual_add_nc_u32 v121, -1, v121
	v_add_nc_u32_e32 v120, 8, v120
	s_add_i32 s5, s5, 8
	ds_load_b64 v[124:125], v124
	v_cmp_eq_u32_e32 vcc_lo, 0, v121
	s_or_b32 s0, vcc_lo, s0
	s_waitcnt vmcnt(0) lgkmcnt(0)
	v_fma_f64 v[1:2], v[122:123], v[124:125], v[1:2]
	s_and_not1_b32 exec_lo, exec_lo, s0
	s_cbranch_execnz .LBB48_145
; %bb.146:
	s_or_b32 exec_lo, exec_lo, s0
.LBB48_147:
	s_delay_alu instid0(SALU_CYCLE_1)
	s_or_b32 exec_lo, exec_lo, s4
	v_mov_b32_e32 v120, 0
	ds_load_b64 v[120:121], v120 offset:264
	s_waitcnt lgkmcnt(0)
	v_mul_f64 v[1:2], v[1:2], v[120:121]
	scratch_store_b64 off, v[1:2], off offset:264
.LBB48_148:
	s_or_b32 exec_lo, exec_lo, s2
	scratch_load_b64 v[1:2], off, off offset:256
	v_cmp_lt_u32_e64 s0, 32, v0
	s_waitcnt vmcnt(0)
	ds_store_b64 v3, v[1:2]
	s_waitcnt lgkmcnt(0)
	s_waitcnt_vscnt null, 0x0
	s_barrier
	buffer_gl0_inv
	s_and_saveexec_b32 s2, s0
	s_cbranch_execz .LBB48_158
; %bb.149:
	s_and_not1_b32 vcc_lo, exec_lo, s3
	s_cbranch_vccnz .LBB48_151
; %bb.150:
	scratch_load_b64 v[1:2], v4, off
	ds_load_b64 v[120:121], v3
	s_waitcnt vmcnt(0) lgkmcnt(0)
	v_mul_f64 v[1:2], v[1:2], v[120:121]
	s_cbranch_execz .LBB48_152
	s_branch .LBB48_153
.LBB48_151:
                                        ; implicit-def: $vgpr1_vgpr2
.LBB48_152:
	ds_load_b64 v[1:2], v3
.LBB48_153:
	s_and_saveexec_b32 s4, s1
	s_cbranch_execz .LBB48_157
; %bb.154:
	v_mov_b32_e32 v120, 0
	v_subrev_nc_u32_e32 v121, 33, v0
	s_movk_i32 s5, 0x298
	s_mov_b32 s1, 0
	s_delay_alu instid0(VALU_DEP_2)
	v_add_nc_u32_e32 v120, 0x108, v120
.LBB48_155:                             ; =>This Inner Loop Header: Depth=1
	scratch_load_b64 v[122:123], v120, off
	v_dual_mov_b32 v124, s5 :: v_dual_add_nc_u32 v121, -1, v121
	v_add_nc_u32_e32 v120, 8, v120
	s_add_i32 s5, s5, 8
	ds_load_b64 v[124:125], v124
	v_cmp_eq_u32_e32 vcc_lo, 0, v121
	s_or_b32 s1, vcc_lo, s1
	s_waitcnt vmcnt(0) lgkmcnt(0)
	v_fma_f64 v[1:2], v[122:123], v[124:125], v[1:2]
	s_and_not1_b32 exec_lo, exec_lo, s1
	s_cbranch_execnz .LBB48_155
; %bb.156:
	s_or_b32 exec_lo, exec_lo, s1
.LBB48_157:
	s_delay_alu instid0(SALU_CYCLE_1)
	s_or_b32 exec_lo, exec_lo, s4
	v_mov_b32_e32 v120, 0
	ds_load_b64 v[120:121], v120 offset:256
	s_waitcnt lgkmcnt(0)
	v_mul_f64 v[1:2], v[1:2], v[120:121]
	scratch_store_b64 off, v[1:2], off offset:256
.LBB48_158:
	s_or_b32 exec_lo, exec_lo, s2
	scratch_load_b64 v[1:2], off, off offset:248
	v_cmp_lt_u32_e64 s1, 31, v0
	s_waitcnt vmcnt(0)
	ds_store_b64 v3, v[1:2]
	s_waitcnt lgkmcnt(0)
	s_waitcnt_vscnt null, 0x0
	s_barrier
	buffer_gl0_inv
	s_and_saveexec_b32 s2, s1
	s_cbranch_execz .LBB48_168
; %bb.159:
	s_and_not1_b32 vcc_lo, exec_lo, s3
	s_cbranch_vccnz .LBB48_161
; %bb.160:
	scratch_load_b64 v[1:2], v4, off
	ds_load_b64 v[120:121], v3
	s_waitcnt vmcnt(0) lgkmcnt(0)
	v_mul_f64 v[1:2], v[1:2], v[120:121]
	s_cbranch_execz .LBB48_162
	s_branch .LBB48_163
.LBB48_161:
                                        ; implicit-def: $vgpr1_vgpr2
.LBB48_162:
	ds_load_b64 v[1:2], v3
.LBB48_163:
	s_and_saveexec_b32 s4, s0
	s_cbranch_execz .LBB48_167
; %bb.164:
	v_subrev_nc_u32_e32 v120, 32, v0
	s_movk_i32 s5, 0x290
	s_mov_b32 s0, 0
.LBB48_165:                             ; =>This Inner Loop Header: Depth=1
	scratch_load_b64 v[121:122], v119, off
	v_dual_mov_b32 v123, s5 :: v_dual_add_nc_u32 v120, -1, v120
	v_add_nc_u32_e32 v119, 8, v119
	s_add_i32 s5, s5, 8
	ds_load_b64 v[123:124], v123
	v_cmp_eq_u32_e32 vcc_lo, 0, v120
	s_or_b32 s0, vcc_lo, s0
	s_waitcnt vmcnt(0) lgkmcnt(0)
	v_fma_f64 v[1:2], v[121:122], v[123:124], v[1:2]
	s_and_not1_b32 exec_lo, exec_lo, s0
	s_cbranch_execnz .LBB48_165
; %bb.166:
	s_or_b32 exec_lo, exec_lo, s0
.LBB48_167:
	s_delay_alu instid0(SALU_CYCLE_1)
	s_or_b32 exec_lo, exec_lo, s4
	v_mov_b32_e32 v119, 0
	ds_load_b64 v[119:120], v119 offset:248
	s_waitcnt lgkmcnt(0)
	v_mul_f64 v[1:2], v[1:2], v[119:120]
	scratch_store_b64 off, v[1:2], off offset:248
.LBB48_168:
	s_or_b32 exec_lo, exec_lo, s2
	scratch_load_b64 v[1:2], off, off offset:240
	v_cmp_lt_u32_e64 s0, 30, v0
	s_waitcnt vmcnt(0)
	ds_store_b64 v3, v[1:2]
	s_waitcnt lgkmcnt(0)
	s_waitcnt_vscnt null, 0x0
	s_barrier
	buffer_gl0_inv
	s_and_saveexec_b32 s2, s0
	s_cbranch_execz .LBB48_178
; %bb.169:
	s_and_not1_b32 vcc_lo, exec_lo, s3
	s_cbranch_vccnz .LBB48_171
; %bb.170:
	scratch_load_b64 v[1:2], v4, off
	ds_load_b64 v[119:120], v3
	s_waitcnt vmcnt(0) lgkmcnt(0)
	v_mul_f64 v[1:2], v[1:2], v[119:120]
	s_cbranch_execz .LBB48_172
	s_branch .LBB48_173
.LBB48_171:
                                        ; implicit-def: $vgpr1_vgpr2
.LBB48_172:
	ds_load_b64 v[1:2], v3
.LBB48_173:
	s_and_saveexec_b32 s4, s1
	s_cbranch_execz .LBB48_177
; %bb.174:
	v_mov_b32_e32 v119, 0
	v_subrev_nc_u32_e32 v120, 31, v0
	s_movk_i32 s5, 0x288
	s_mov_b32 s1, 0
	s_delay_alu instid0(VALU_DEP_2)
	v_add_nc_u32_e32 v119, 0xf8, v119
.LBB48_175:                             ; =>This Inner Loop Header: Depth=1
	scratch_load_b64 v[121:122], v119, off
	v_dual_mov_b32 v123, s5 :: v_dual_add_nc_u32 v120, -1, v120
	v_add_nc_u32_e32 v119, 8, v119
	s_add_i32 s5, s5, 8
	ds_load_b64 v[123:124], v123
	v_cmp_eq_u32_e32 vcc_lo, 0, v120
	s_or_b32 s1, vcc_lo, s1
	s_waitcnt vmcnt(0) lgkmcnt(0)
	v_fma_f64 v[1:2], v[121:122], v[123:124], v[1:2]
	s_and_not1_b32 exec_lo, exec_lo, s1
	s_cbranch_execnz .LBB48_175
; %bb.176:
	s_or_b32 exec_lo, exec_lo, s1
.LBB48_177:
	s_delay_alu instid0(SALU_CYCLE_1)
	s_or_b32 exec_lo, exec_lo, s4
	v_mov_b32_e32 v119, 0
	ds_load_b64 v[119:120], v119 offset:240
	s_waitcnt lgkmcnt(0)
	v_mul_f64 v[1:2], v[1:2], v[119:120]
	scratch_store_b64 off, v[1:2], off offset:240
.LBB48_178:
	s_or_b32 exec_lo, exec_lo, s2
	scratch_load_b64 v[1:2], off, off offset:232
	v_cmp_lt_u32_e64 s1, 29, v0
	s_waitcnt vmcnt(0)
	ds_store_b64 v3, v[1:2]
	s_waitcnt lgkmcnt(0)
	s_waitcnt_vscnt null, 0x0
	s_barrier
	buffer_gl0_inv
	s_and_saveexec_b32 s2, s1
	s_cbranch_execz .LBB48_188
; %bb.179:
	s_and_not1_b32 vcc_lo, exec_lo, s3
	s_cbranch_vccnz .LBB48_181
; %bb.180:
	scratch_load_b64 v[1:2], v4, off
	ds_load_b64 v[119:120], v3
	s_waitcnt vmcnt(0) lgkmcnt(0)
	v_mul_f64 v[1:2], v[1:2], v[119:120]
	s_cbranch_execz .LBB48_182
	s_branch .LBB48_183
.LBB48_181:
                                        ; implicit-def: $vgpr1_vgpr2
.LBB48_182:
	ds_load_b64 v[1:2], v3
.LBB48_183:
	s_and_saveexec_b32 s4, s0
	s_cbranch_execz .LBB48_187
; %bb.184:
	v_subrev_nc_u32_e32 v119, 30, v0
	s_movk_i32 s5, 0x280
	s_mov_b32 s0, 0
.LBB48_185:                             ; =>This Inner Loop Header: Depth=1
	scratch_load_b64 v[120:121], v118, off
	v_dual_mov_b32 v122, s5 :: v_dual_add_nc_u32 v119, -1, v119
	v_add_nc_u32_e32 v118, 8, v118
	s_add_i32 s5, s5, 8
	ds_load_b64 v[122:123], v122
	v_cmp_eq_u32_e32 vcc_lo, 0, v119
	s_or_b32 s0, vcc_lo, s0
	s_waitcnt vmcnt(0) lgkmcnt(0)
	v_fma_f64 v[1:2], v[120:121], v[122:123], v[1:2]
	s_and_not1_b32 exec_lo, exec_lo, s0
	s_cbranch_execnz .LBB48_185
; %bb.186:
	s_or_b32 exec_lo, exec_lo, s0
.LBB48_187:
	s_delay_alu instid0(SALU_CYCLE_1)
	s_or_b32 exec_lo, exec_lo, s4
	v_mov_b32_e32 v118, 0
	ds_load_b64 v[118:119], v118 offset:232
	s_waitcnt lgkmcnt(0)
	v_mul_f64 v[1:2], v[1:2], v[118:119]
	scratch_store_b64 off, v[1:2], off offset:232
.LBB48_188:
	s_or_b32 exec_lo, exec_lo, s2
	scratch_load_b64 v[1:2], off, off offset:224
	v_cmp_lt_u32_e64 s0, 28, v0
	s_waitcnt vmcnt(0)
	ds_store_b64 v3, v[1:2]
	s_waitcnt lgkmcnt(0)
	s_waitcnt_vscnt null, 0x0
	s_barrier
	buffer_gl0_inv
	s_and_saveexec_b32 s2, s0
	s_cbranch_execz .LBB48_198
; %bb.189:
	s_and_not1_b32 vcc_lo, exec_lo, s3
	s_cbranch_vccnz .LBB48_191
; %bb.190:
	scratch_load_b64 v[1:2], v4, off
	ds_load_b64 v[118:119], v3
	s_waitcnt vmcnt(0) lgkmcnt(0)
	v_mul_f64 v[1:2], v[1:2], v[118:119]
	s_cbranch_execz .LBB48_192
	s_branch .LBB48_193
.LBB48_191:
                                        ; implicit-def: $vgpr1_vgpr2
.LBB48_192:
	ds_load_b64 v[1:2], v3
.LBB48_193:
	s_and_saveexec_b32 s4, s1
	s_cbranch_execz .LBB48_197
; %bb.194:
	v_mov_b32_e32 v118, 0
	v_subrev_nc_u32_e32 v119, 29, v0
	s_movk_i32 s5, 0x278
	s_mov_b32 s1, 0
	s_delay_alu instid0(VALU_DEP_2)
	v_add_nc_u32_e32 v118, 0xe8, v118
.LBB48_195:                             ; =>This Inner Loop Header: Depth=1
	scratch_load_b64 v[120:121], v118, off
	v_dual_mov_b32 v122, s5 :: v_dual_add_nc_u32 v119, -1, v119
	v_add_nc_u32_e32 v118, 8, v118
	s_add_i32 s5, s5, 8
	ds_load_b64 v[122:123], v122
	v_cmp_eq_u32_e32 vcc_lo, 0, v119
	s_or_b32 s1, vcc_lo, s1
	s_waitcnt vmcnt(0) lgkmcnt(0)
	v_fma_f64 v[1:2], v[120:121], v[122:123], v[1:2]
	s_and_not1_b32 exec_lo, exec_lo, s1
	s_cbranch_execnz .LBB48_195
; %bb.196:
	s_or_b32 exec_lo, exec_lo, s1
.LBB48_197:
	s_delay_alu instid0(SALU_CYCLE_1)
	s_or_b32 exec_lo, exec_lo, s4
	v_mov_b32_e32 v118, 0
	ds_load_b64 v[118:119], v118 offset:224
	s_waitcnt lgkmcnt(0)
	v_mul_f64 v[1:2], v[1:2], v[118:119]
	scratch_store_b64 off, v[1:2], off offset:224
.LBB48_198:
	s_or_b32 exec_lo, exec_lo, s2
	scratch_load_b64 v[1:2], off, off offset:216
	v_cmp_lt_u32_e64 s1, 27, v0
	s_waitcnt vmcnt(0)
	ds_store_b64 v3, v[1:2]
	s_waitcnt lgkmcnt(0)
	s_waitcnt_vscnt null, 0x0
	s_barrier
	buffer_gl0_inv
	s_and_saveexec_b32 s2, s1
	s_cbranch_execz .LBB48_208
; %bb.199:
	s_and_not1_b32 vcc_lo, exec_lo, s3
	s_cbranch_vccnz .LBB48_201
; %bb.200:
	scratch_load_b64 v[1:2], v4, off
	ds_load_b64 v[118:119], v3
	s_waitcnt vmcnt(0) lgkmcnt(0)
	v_mul_f64 v[1:2], v[1:2], v[118:119]
	s_cbranch_execz .LBB48_202
	s_branch .LBB48_203
.LBB48_201:
                                        ; implicit-def: $vgpr1_vgpr2
.LBB48_202:
	ds_load_b64 v[1:2], v3
.LBB48_203:
	s_and_saveexec_b32 s4, s0
	s_cbranch_execz .LBB48_207
; %bb.204:
	v_subrev_nc_u32_e32 v118, 28, v0
	s_movk_i32 s5, 0x270
	s_mov_b32 s0, 0
.LBB48_205:                             ; =>This Inner Loop Header: Depth=1
	scratch_load_b64 v[119:120], v117, off
	v_dual_mov_b32 v121, s5 :: v_dual_add_nc_u32 v118, -1, v118
	v_add_nc_u32_e32 v117, 8, v117
	s_add_i32 s5, s5, 8
	ds_load_b64 v[121:122], v121
	v_cmp_eq_u32_e32 vcc_lo, 0, v118
	s_or_b32 s0, vcc_lo, s0
	s_waitcnt vmcnt(0) lgkmcnt(0)
	v_fma_f64 v[1:2], v[119:120], v[121:122], v[1:2]
	s_and_not1_b32 exec_lo, exec_lo, s0
	s_cbranch_execnz .LBB48_205
; %bb.206:
	s_or_b32 exec_lo, exec_lo, s0
.LBB48_207:
	s_delay_alu instid0(SALU_CYCLE_1)
	s_or_b32 exec_lo, exec_lo, s4
	v_mov_b32_e32 v117, 0
	ds_load_b64 v[117:118], v117 offset:216
	s_waitcnt lgkmcnt(0)
	v_mul_f64 v[1:2], v[1:2], v[117:118]
	scratch_store_b64 off, v[1:2], off offset:216
.LBB48_208:
	s_or_b32 exec_lo, exec_lo, s2
	scratch_load_b64 v[1:2], off, off offset:208
	v_cmp_lt_u32_e64 s0, 26, v0
	s_waitcnt vmcnt(0)
	ds_store_b64 v3, v[1:2]
	s_waitcnt lgkmcnt(0)
	s_waitcnt_vscnt null, 0x0
	s_barrier
	buffer_gl0_inv
	s_and_saveexec_b32 s2, s0
	s_cbranch_execz .LBB48_218
; %bb.209:
	s_and_not1_b32 vcc_lo, exec_lo, s3
	s_cbranch_vccnz .LBB48_211
; %bb.210:
	scratch_load_b64 v[1:2], v4, off
	ds_load_b64 v[117:118], v3
	s_waitcnt vmcnt(0) lgkmcnt(0)
	v_mul_f64 v[1:2], v[1:2], v[117:118]
	s_cbranch_execz .LBB48_212
	s_branch .LBB48_213
.LBB48_211:
                                        ; implicit-def: $vgpr1_vgpr2
.LBB48_212:
	ds_load_b64 v[1:2], v3
.LBB48_213:
	s_and_saveexec_b32 s4, s1
	s_cbranch_execz .LBB48_217
; %bb.214:
	v_mov_b32_e32 v117, 0
	v_subrev_nc_u32_e32 v118, 27, v0
	s_movk_i32 s5, 0x268
	s_mov_b32 s1, 0
	s_delay_alu instid0(VALU_DEP_2)
	v_add_nc_u32_e32 v117, 0xd8, v117
.LBB48_215:                             ; =>This Inner Loop Header: Depth=1
	scratch_load_b64 v[119:120], v117, off
	v_dual_mov_b32 v121, s5 :: v_dual_add_nc_u32 v118, -1, v118
	v_add_nc_u32_e32 v117, 8, v117
	s_add_i32 s5, s5, 8
	ds_load_b64 v[121:122], v121
	v_cmp_eq_u32_e32 vcc_lo, 0, v118
	s_or_b32 s1, vcc_lo, s1
	s_waitcnt vmcnt(0) lgkmcnt(0)
	v_fma_f64 v[1:2], v[119:120], v[121:122], v[1:2]
	s_and_not1_b32 exec_lo, exec_lo, s1
	s_cbranch_execnz .LBB48_215
; %bb.216:
	s_or_b32 exec_lo, exec_lo, s1
.LBB48_217:
	s_delay_alu instid0(SALU_CYCLE_1)
	s_or_b32 exec_lo, exec_lo, s4
	v_mov_b32_e32 v117, 0
	ds_load_b64 v[117:118], v117 offset:208
	s_waitcnt lgkmcnt(0)
	v_mul_f64 v[1:2], v[1:2], v[117:118]
	scratch_store_b64 off, v[1:2], off offset:208
.LBB48_218:
	s_or_b32 exec_lo, exec_lo, s2
	scratch_load_b64 v[1:2], off, off offset:200
	v_cmp_lt_u32_e64 s1, 25, v0
	s_waitcnt vmcnt(0)
	ds_store_b64 v3, v[1:2]
	s_waitcnt lgkmcnt(0)
	s_waitcnt_vscnt null, 0x0
	s_barrier
	buffer_gl0_inv
	s_and_saveexec_b32 s2, s1
	s_cbranch_execz .LBB48_228
; %bb.219:
	s_and_not1_b32 vcc_lo, exec_lo, s3
	s_cbranch_vccnz .LBB48_221
; %bb.220:
	scratch_load_b64 v[1:2], v4, off
	ds_load_b64 v[117:118], v3
	s_waitcnt vmcnt(0) lgkmcnt(0)
	v_mul_f64 v[1:2], v[1:2], v[117:118]
	s_cbranch_execz .LBB48_222
	s_branch .LBB48_223
.LBB48_221:
                                        ; implicit-def: $vgpr1_vgpr2
.LBB48_222:
	ds_load_b64 v[1:2], v3
.LBB48_223:
	s_and_saveexec_b32 s4, s0
	s_cbranch_execz .LBB48_227
; %bb.224:
	v_subrev_nc_u32_e32 v117, 26, v0
	s_movk_i32 s5, 0x260
	s_mov_b32 s0, 0
.LBB48_225:                             ; =>This Inner Loop Header: Depth=1
	scratch_load_b64 v[118:119], v116, off
	v_dual_mov_b32 v120, s5 :: v_dual_add_nc_u32 v117, -1, v117
	v_add_nc_u32_e32 v116, 8, v116
	s_add_i32 s5, s5, 8
	ds_load_b64 v[120:121], v120
	v_cmp_eq_u32_e32 vcc_lo, 0, v117
	s_or_b32 s0, vcc_lo, s0
	s_waitcnt vmcnt(0) lgkmcnt(0)
	v_fma_f64 v[1:2], v[118:119], v[120:121], v[1:2]
	s_and_not1_b32 exec_lo, exec_lo, s0
	s_cbranch_execnz .LBB48_225
; %bb.226:
	s_or_b32 exec_lo, exec_lo, s0
.LBB48_227:
	s_delay_alu instid0(SALU_CYCLE_1)
	s_or_b32 exec_lo, exec_lo, s4
	v_mov_b32_e32 v116, 0
	ds_load_b64 v[116:117], v116 offset:200
	s_waitcnt lgkmcnt(0)
	v_mul_f64 v[1:2], v[1:2], v[116:117]
	scratch_store_b64 off, v[1:2], off offset:200
.LBB48_228:
	s_or_b32 exec_lo, exec_lo, s2
	scratch_load_b64 v[1:2], off, off offset:192
	v_cmp_lt_u32_e64 s0, 24, v0
	s_waitcnt vmcnt(0)
	ds_store_b64 v3, v[1:2]
	s_waitcnt lgkmcnt(0)
	s_waitcnt_vscnt null, 0x0
	s_barrier
	buffer_gl0_inv
	s_and_saveexec_b32 s2, s0
	s_cbranch_execz .LBB48_238
; %bb.229:
	s_and_not1_b32 vcc_lo, exec_lo, s3
	s_cbranch_vccnz .LBB48_231
; %bb.230:
	scratch_load_b64 v[1:2], v4, off
	ds_load_b64 v[116:117], v3
	s_waitcnt vmcnt(0) lgkmcnt(0)
	v_mul_f64 v[1:2], v[1:2], v[116:117]
	s_cbranch_execz .LBB48_232
	s_branch .LBB48_233
.LBB48_231:
                                        ; implicit-def: $vgpr1_vgpr2
.LBB48_232:
	ds_load_b64 v[1:2], v3
.LBB48_233:
	s_and_saveexec_b32 s4, s1
	s_cbranch_execz .LBB48_237
; %bb.234:
	v_mov_b32_e32 v116, 0
	v_subrev_nc_u32_e32 v117, 25, v0
	s_movk_i32 s5, 0x258
	s_mov_b32 s1, 0
	s_delay_alu instid0(VALU_DEP_2)
	v_add_nc_u32_e32 v116, 0xc8, v116
.LBB48_235:                             ; =>This Inner Loop Header: Depth=1
	scratch_load_b64 v[118:119], v116, off
	v_dual_mov_b32 v120, s5 :: v_dual_add_nc_u32 v117, -1, v117
	v_add_nc_u32_e32 v116, 8, v116
	s_add_i32 s5, s5, 8
	ds_load_b64 v[120:121], v120
	v_cmp_eq_u32_e32 vcc_lo, 0, v117
	s_or_b32 s1, vcc_lo, s1
	s_waitcnt vmcnt(0) lgkmcnt(0)
	v_fma_f64 v[1:2], v[118:119], v[120:121], v[1:2]
	s_and_not1_b32 exec_lo, exec_lo, s1
	s_cbranch_execnz .LBB48_235
; %bb.236:
	s_or_b32 exec_lo, exec_lo, s1
.LBB48_237:
	s_delay_alu instid0(SALU_CYCLE_1)
	s_or_b32 exec_lo, exec_lo, s4
	v_mov_b32_e32 v116, 0
	ds_load_b64 v[116:117], v116 offset:192
	s_waitcnt lgkmcnt(0)
	v_mul_f64 v[1:2], v[1:2], v[116:117]
	scratch_store_b64 off, v[1:2], off offset:192
.LBB48_238:
	s_or_b32 exec_lo, exec_lo, s2
	scratch_load_b64 v[1:2], off, off offset:184
	v_cmp_lt_u32_e64 s1, 23, v0
	s_waitcnt vmcnt(0)
	ds_store_b64 v3, v[1:2]
	s_waitcnt lgkmcnt(0)
	s_waitcnt_vscnt null, 0x0
	s_barrier
	buffer_gl0_inv
	s_and_saveexec_b32 s2, s1
	s_cbranch_execz .LBB48_248
; %bb.239:
	s_and_not1_b32 vcc_lo, exec_lo, s3
	s_cbranch_vccnz .LBB48_241
; %bb.240:
	scratch_load_b64 v[1:2], v4, off
	ds_load_b64 v[116:117], v3
	s_waitcnt vmcnt(0) lgkmcnt(0)
	v_mul_f64 v[1:2], v[1:2], v[116:117]
	s_cbranch_execz .LBB48_242
	s_branch .LBB48_243
.LBB48_241:
                                        ; implicit-def: $vgpr1_vgpr2
.LBB48_242:
	ds_load_b64 v[1:2], v3
.LBB48_243:
	s_and_saveexec_b32 s4, s0
	s_cbranch_execz .LBB48_247
; %bb.244:
	v_subrev_nc_u32_e32 v116, 24, v0
	s_movk_i32 s5, 0x250
	s_mov_b32 s0, 0
.LBB48_245:                             ; =>This Inner Loop Header: Depth=1
	scratch_load_b64 v[117:118], v115, off
	v_dual_mov_b32 v119, s5 :: v_dual_add_nc_u32 v116, -1, v116
	v_add_nc_u32_e32 v115, 8, v115
	s_add_i32 s5, s5, 8
	ds_load_b64 v[119:120], v119
	v_cmp_eq_u32_e32 vcc_lo, 0, v116
	s_or_b32 s0, vcc_lo, s0
	s_waitcnt vmcnt(0) lgkmcnt(0)
	v_fma_f64 v[1:2], v[117:118], v[119:120], v[1:2]
	s_and_not1_b32 exec_lo, exec_lo, s0
	s_cbranch_execnz .LBB48_245
; %bb.246:
	s_or_b32 exec_lo, exec_lo, s0
.LBB48_247:
	s_delay_alu instid0(SALU_CYCLE_1)
	s_or_b32 exec_lo, exec_lo, s4
	v_mov_b32_e32 v115, 0
	ds_load_b64 v[115:116], v115 offset:184
	s_waitcnt lgkmcnt(0)
	v_mul_f64 v[1:2], v[1:2], v[115:116]
	scratch_store_b64 off, v[1:2], off offset:184
.LBB48_248:
	s_or_b32 exec_lo, exec_lo, s2
	scratch_load_b64 v[1:2], off, off offset:176
	v_cmp_lt_u32_e64 s0, 22, v0
	s_waitcnt vmcnt(0)
	ds_store_b64 v3, v[1:2]
	s_waitcnt lgkmcnt(0)
	s_waitcnt_vscnt null, 0x0
	s_barrier
	buffer_gl0_inv
	s_and_saveexec_b32 s2, s0
	s_cbranch_execz .LBB48_258
; %bb.249:
	s_and_not1_b32 vcc_lo, exec_lo, s3
	s_cbranch_vccnz .LBB48_251
; %bb.250:
	scratch_load_b64 v[1:2], v4, off
	ds_load_b64 v[115:116], v3
	s_waitcnt vmcnt(0) lgkmcnt(0)
	v_mul_f64 v[1:2], v[1:2], v[115:116]
	s_cbranch_execz .LBB48_252
	s_branch .LBB48_253
.LBB48_251:
                                        ; implicit-def: $vgpr1_vgpr2
.LBB48_252:
	ds_load_b64 v[1:2], v3
.LBB48_253:
	s_and_saveexec_b32 s4, s1
	s_cbranch_execz .LBB48_257
; %bb.254:
	v_mov_b32_e32 v115, 0
	v_subrev_nc_u32_e32 v116, 23, v0
	s_movk_i32 s5, 0x248
	s_mov_b32 s1, 0
	s_delay_alu instid0(VALU_DEP_2)
	v_add_nc_u32_e32 v115, 0xb8, v115
.LBB48_255:                             ; =>This Inner Loop Header: Depth=1
	scratch_load_b64 v[117:118], v115, off
	v_dual_mov_b32 v119, s5 :: v_dual_add_nc_u32 v116, -1, v116
	v_add_nc_u32_e32 v115, 8, v115
	s_add_i32 s5, s5, 8
	ds_load_b64 v[119:120], v119
	v_cmp_eq_u32_e32 vcc_lo, 0, v116
	s_or_b32 s1, vcc_lo, s1
	s_waitcnt vmcnt(0) lgkmcnt(0)
	v_fma_f64 v[1:2], v[117:118], v[119:120], v[1:2]
	s_and_not1_b32 exec_lo, exec_lo, s1
	s_cbranch_execnz .LBB48_255
; %bb.256:
	s_or_b32 exec_lo, exec_lo, s1
.LBB48_257:
	s_delay_alu instid0(SALU_CYCLE_1)
	s_or_b32 exec_lo, exec_lo, s4
	v_mov_b32_e32 v115, 0
	ds_load_b64 v[115:116], v115 offset:176
	s_waitcnt lgkmcnt(0)
	v_mul_f64 v[1:2], v[1:2], v[115:116]
	scratch_store_b64 off, v[1:2], off offset:176
.LBB48_258:
	s_or_b32 exec_lo, exec_lo, s2
	scratch_load_b64 v[1:2], off, off offset:168
	v_cmp_lt_u32_e64 s1, 21, v0
	s_waitcnt vmcnt(0)
	ds_store_b64 v3, v[1:2]
	s_waitcnt lgkmcnt(0)
	s_waitcnt_vscnt null, 0x0
	s_barrier
	buffer_gl0_inv
	s_and_saveexec_b32 s2, s1
	s_cbranch_execz .LBB48_268
; %bb.259:
	s_and_not1_b32 vcc_lo, exec_lo, s3
	s_cbranch_vccnz .LBB48_261
; %bb.260:
	scratch_load_b64 v[1:2], v4, off
	ds_load_b64 v[115:116], v3
	s_waitcnt vmcnt(0) lgkmcnt(0)
	v_mul_f64 v[1:2], v[1:2], v[115:116]
	s_cbranch_execz .LBB48_262
	s_branch .LBB48_263
.LBB48_261:
                                        ; implicit-def: $vgpr1_vgpr2
.LBB48_262:
	ds_load_b64 v[1:2], v3
.LBB48_263:
	s_and_saveexec_b32 s4, s0
	s_cbranch_execz .LBB48_267
; %bb.264:
	v_subrev_nc_u32_e32 v115, 22, v0
	s_movk_i32 s5, 0x240
	s_mov_b32 s0, 0
.LBB48_265:                             ; =>This Inner Loop Header: Depth=1
	scratch_load_b64 v[116:117], v114, off
	v_dual_mov_b32 v118, s5 :: v_dual_add_nc_u32 v115, -1, v115
	v_add_nc_u32_e32 v114, 8, v114
	s_add_i32 s5, s5, 8
	ds_load_b64 v[118:119], v118
	v_cmp_eq_u32_e32 vcc_lo, 0, v115
	s_or_b32 s0, vcc_lo, s0
	s_waitcnt vmcnt(0) lgkmcnt(0)
	v_fma_f64 v[1:2], v[116:117], v[118:119], v[1:2]
	s_and_not1_b32 exec_lo, exec_lo, s0
	s_cbranch_execnz .LBB48_265
; %bb.266:
	s_or_b32 exec_lo, exec_lo, s0
.LBB48_267:
	s_delay_alu instid0(SALU_CYCLE_1)
	s_or_b32 exec_lo, exec_lo, s4
	v_mov_b32_e32 v114, 0
	ds_load_b64 v[114:115], v114 offset:168
	s_waitcnt lgkmcnt(0)
	v_mul_f64 v[1:2], v[1:2], v[114:115]
	scratch_store_b64 off, v[1:2], off offset:168
.LBB48_268:
	s_or_b32 exec_lo, exec_lo, s2
	scratch_load_b64 v[1:2], off, off offset:160
	v_cmp_lt_u32_e64 s0, 20, v0
	s_waitcnt vmcnt(0)
	ds_store_b64 v3, v[1:2]
	s_waitcnt lgkmcnt(0)
	s_waitcnt_vscnt null, 0x0
	s_barrier
	buffer_gl0_inv
	s_and_saveexec_b32 s2, s0
	s_cbranch_execz .LBB48_278
; %bb.269:
	s_and_not1_b32 vcc_lo, exec_lo, s3
	s_cbranch_vccnz .LBB48_271
; %bb.270:
	scratch_load_b64 v[1:2], v4, off
	ds_load_b64 v[114:115], v3
	s_waitcnt vmcnt(0) lgkmcnt(0)
	v_mul_f64 v[1:2], v[1:2], v[114:115]
	s_cbranch_execz .LBB48_272
	s_branch .LBB48_273
.LBB48_271:
                                        ; implicit-def: $vgpr1_vgpr2
.LBB48_272:
	ds_load_b64 v[1:2], v3
.LBB48_273:
	s_and_saveexec_b32 s4, s1
	s_cbranch_execz .LBB48_277
; %bb.274:
	v_mov_b32_e32 v114, 0
	v_subrev_nc_u32_e32 v115, 21, v0
	s_movk_i32 s5, 0x238
	s_mov_b32 s1, 0
	s_delay_alu instid0(VALU_DEP_2)
	v_add_nc_u32_e32 v114, 0xa8, v114
.LBB48_275:                             ; =>This Inner Loop Header: Depth=1
	scratch_load_b64 v[116:117], v114, off
	v_dual_mov_b32 v118, s5 :: v_dual_add_nc_u32 v115, -1, v115
	v_add_nc_u32_e32 v114, 8, v114
	s_add_i32 s5, s5, 8
	ds_load_b64 v[118:119], v118
	v_cmp_eq_u32_e32 vcc_lo, 0, v115
	s_or_b32 s1, vcc_lo, s1
	s_waitcnt vmcnt(0) lgkmcnt(0)
	v_fma_f64 v[1:2], v[116:117], v[118:119], v[1:2]
	s_and_not1_b32 exec_lo, exec_lo, s1
	s_cbranch_execnz .LBB48_275
; %bb.276:
	s_or_b32 exec_lo, exec_lo, s1
.LBB48_277:
	s_delay_alu instid0(SALU_CYCLE_1)
	s_or_b32 exec_lo, exec_lo, s4
	v_mov_b32_e32 v114, 0
	ds_load_b64 v[114:115], v114 offset:160
	s_waitcnt lgkmcnt(0)
	v_mul_f64 v[1:2], v[1:2], v[114:115]
	scratch_store_b64 off, v[1:2], off offset:160
.LBB48_278:
	s_or_b32 exec_lo, exec_lo, s2
	scratch_load_b64 v[1:2], off, off offset:152
	v_cmp_lt_u32_e64 s1, 19, v0
	s_waitcnt vmcnt(0)
	ds_store_b64 v3, v[1:2]
	s_waitcnt lgkmcnt(0)
	s_waitcnt_vscnt null, 0x0
	s_barrier
	buffer_gl0_inv
	s_and_saveexec_b32 s2, s1
	s_cbranch_execz .LBB48_288
; %bb.279:
	s_and_not1_b32 vcc_lo, exec_lo, s3
	s_cbranch_vccnz .LBB48_281
; %bb.280:
	scratch_load_b64 v[1:2], v4, off
	ds_load_b64 v[114:115], v3
	s_waitcnt vmcnt(0) lgkmcnt(0)
	v_mul_f64 v[1:2], v[1:2], v[114:115]
	s_cbranch_execz .LBB48_282
	s_branch .LBB48_283
.LBB48_281:
                                        ; implicit-def: $vgpr1_vgpr2
.LBB48_282:
	ds_load_b64 v[1:2], v3
.LBB48_283:
	s_and_saveexec_b32 s4, s0
	s_cbranch_execz .LBB48_287
; %bb.284:
	v_subrev_nc_u32_e32 v114, 20, v0
	s_movk_i32 s5, 0x230
	s_mov_b32 s0, 0
.LBB48_285:                             ; =>This Inner Loop Header: Depth=1
	scratch_load_b64 v[115:116], v113, off
	v_dual_mov_b32 v117, s5 :: v_dual_add_nc_u32 v114, -1, v114
	v_add_nc_u32_e32 v113, 8, v113
	s_add_i32 s5, s5, 8
	ds_load_b64 v[117:118], v117
	v_cmp_eq_u32_e32 vcc_lo, 0, v114
	s_or_b32 s0, vcc_lo, s0
	s_waitcnt vmcnt(0) lgkmcnt(0)
	v_fma_f64 v[1:2], v[115:116], v[117:118], v[1:2]
	s_and_not1_b32 exec_lo, exec_lo, s0
	s_cbranch_execnz .LBB48_285
; %bb.286:
	s_or_b32 exec_lo, exec_lo, s0
.LBB48_287:
	s_delay_alu instid0(SALU_CYCLE_1)
	s_or_b32 exec_lo, exec_lo, s4
	v_mov_b32_e32 v113, 0
	ds_load_b64 v[113:114], v113 offset:152
	s_waitcnt lgkmcnt(0)
	v_mul_f64 v[1:2], v[1:2], v[113:114]
	scratch_store_b64 off, v[1:2], off offset:152
.LBB48_288:
	s_or_b32 exec_lo, exec_lo, s2
	scratch_load_b64 v[1:2], off, off offset:144
	v_cmp_lt_u32_e64 s0, 18, v0
	s_waitcnt vmcnt(0)
	ds_store_b64 v3, v[1:2]
	s_waitcnt lgkmcnt(0)
	s_waitcnt_vscnt null, 0x0
	s_barrier
	buffer_gl0_inv
	s_and_saveexec_b32 s2, s0
	s_cbranch_execz .LBB48_298
; %bb.289:
	s_and_not1_b32 vcc_lo, exec_lo, s3
	s_cbranch_vccnz .LBB48_291
; %bb.290:
	scratch_load_b64 v[1:2], v4, off
	ds_load_b64 v[113:114], v3
	s_waitcnt vmcnt(0) lgkmcnt(0)
	v_mul_f64 v[1:2], v[1:2], v[113:114]
	s_cbranch_execz .LBB48_292
	s_branch .LBB48_293
.LBB48_291:
                                        ; implicit-def: $vgpr1_vgpr2
.LBB48_292:
	ds_load_b64 v[1:2], v3
.LBB48_293:
	s_and_saveexec_b32 s4, s1
	s_cbranch_execz .LBB48_297
; %bb.294:
	v_mov_b32_e32 v113, 0
	v_subrev_nc_u32_e32 v114, 19, v0
	s_movk_i32 s5, 0x228
	s_mov_b32 s1, 0
	s_delay_alu instid0(VALU_DEP_2)
	v_add_nc_u32_e32 v113, 0x98, v113
.LBB48_295:                             ; =>This Inner Loop Header: Depth=1
	scratch_load_b64 v[115:116], v113, off
	v_dual_mov_b32 v117, s5 :: v_dual_add_nc_u32 v114, -1, v114
	v_add_nc_u32_e32 v113, 8, v113
	s_add_i32 s5, s5, 8
	ds_load_b64 v[117:118], v117
	v_cmp_eq_u32_e32 vcc_lo, 0, v114
	s_or_b32 s1, vcc_lo, s1
	s_waitcnt vmcnt(0) lgkmcnt(0)
	v_fma_f64 v[1:2], v[115:116], v[117:118], v[1:2]
	s_and_not1_b32 exec_lo, exec_lo, s1
	s_cbranch_execnz .LBB48_295
; %bb.296:
	s_or_b32 exec_lo, exec_lo, s1
.LBB48_297:
	s_delay_alu instid0(SALU_CYCLE_1)
	s_or_b32 exec_lo, exec_lo, s4
	v_mov_b32_e32 v113, 0
	ds_load_b64 v[113:114], v113 offset:144
	s_waitcnt lgkmcnt(0)
	v_mul_f64 v[1:2], v[1:2], v[113:114]
	scratch_store_b64 off, v[1:2], off offset:144
.LBB48_298:
	s_or_b32 exec_lo, exec_lo, s2
	scratch_load_b64 v[1:2], off, off offset:136
	v_cmp_lt_u32_e64 s1, 17, v0
	s_waitcnt vmcnt(0)
	ds_store_b64 v3, v[1:2]
	s_waitcnt lgkmcnt(0)
	s_waitcnt_vscnt null, 0x0
	s_barrier
	buffer_gl0_inv
	s_and_saveexec_b32 s2, s1
	s_cbranch_execz .LBB48_308
; %bb.299:
	s_and_not1_b32 vcc_lo, exec_lo, s3
	s_cbranch_vccnz .LBB48_301
; %bb.300:
	scratch_load_b64 v[1:2], v4, off
	ds_load_b64 v[113:114], v3
	s_waitcnt vmcnt(0) lgkmcnt(0)
	v_mul_f64 v[1:2], v[1:2], v[113:114]
	s_cbranch_execz .LBB48_302
	s_branch .LBB48_303
.LBB48_301:
                                        ; implicit-def: $vgpr1_vgpr2
.LBB48_302:
	ds_load_b64 v[1:2], v3
.LBB48_303:
	s_and_saveexec_b32 s4, s0
	s_cbranch_execz .LBB48_307
; %bb.304:
	v_subrev_nc_u32_e32 v113, 18, v0
	s_movk_i32 s5, 0x220
	s_mov_b32 s0, 0
.LBB48_305:                             ; =>This Inner Loop Header: Depth=1
	scratch_load_b64 v[114:115], v112, off
	v_dual_mov_b32 v116, s5 :: v_dual_add_nc_u32 v113, -1, v113
	v_add_nc_u32_e32 v112, 8, v112
	s_add_i32 s5, s5, 8
	ds_load_b64 v[116:117], v116
	v_cmp_eq_u32_e32 vcc_lo, 0, v113
	s_or_b32 s0, vcc_lo, s0
	s_waitcnt vmcnt(0) lgkmcnt(0)
	v_fma_f64 v[1:2], v[114:115], v[116:117], v[1:2]
	s_and_not1_b32 exec_lo, exec_lo, s0
	s_cbranch_execnz .LBB48_305
; %bb.306:
	s_or_b32 exec_lo, exec_lo, s0
.LBB48_307:
	s_delay_alu instid0(SALU_CYCLE_1)
	s_or_b32 exec_lo, exec_lo, s4
	v_mov_b32_e32 v112, 0
	ds_load_b64 v[112:113], v112 offset:136
	s_waitcnt lgkmcnt(0)
	v_mul_f64 v[1:2], v[1:2], v[112:113]
	scratch_store_b64 off, v[1:2], off offset:136
.LBB48_308:
	s_or_b32 exec_lo, exec_lo, s2
	scratch_load_b64 v[1:2], off, off offset:128
	v_cmp_lt_u32_e64 s0, 16, v0
	s_waitcnt vmcnt(0)
	ds_store_b64 v3, v[1:2]
	s_waitcnt lgkmcnt(0)
	s_waitcnt_vscnt null, 0x0
	s_barrier
	buffer_gl0_inv
	s_and_saveexec_b32 s2, s0
	s_cbranch_execz .LBB48_318
; %bb.309:
	s_and_not1_b32 vcc_lo, exec_lo, s3
	s_cbranch_vccnz .LBB48_311
; %bb.310:
	scratch_load_b64 v[1:2], v4, off
	ds_load_b64 v[112:113], v3
	s_waitcnt vmcnt(0) lgkmcnt(0)
	v_mul_f64 v[1:2], v[1:2], v[112:113]
	s_cbranch_execz .LBB48_312
	s_branch .LBB48_313
.LBB48_311:
                                        ; implicit-def: $vgpr1_vgpr2
.LBB48_312:
	ds_load_b64 v[1:2], v3
.LBB48_313:
	s_and_saveexec_b32 s4, s1
	s_cbranch_execz .LBB48_317
; %bb.314:
	v_mov_b32_e32 v112, 0
	v_subrev_nc_u32_e32 v113, 17, v0
	s_movk_i32 s5, 0x218
	s_mov_b32 s1, 0
	s_delay_alu instid0(VALU_DEP_2)
	v_add_nc_u32_e32 v112, 0x88, v112
.LBB48_315:                             ; =>This Inner Loop Header: Depth=1
	scratch_load_b64 v[114:115], v112, off
	v_dual_mov_b32 v116, s5 :: v_dual_add_nc_u32 v113, -1, v113
	v_add_nc_u32_e32 v112, 8, v112
	s_add_i32 s5, s5, 8
	ds_load_b64 v[116:117], v116
	v_cmp_eq_u32_e32 vcc_lo, 0, v113
	s_or_b32 s1, vcc_lo, s1
	s_waitcnt vmcnt(0) lgkmcnt(0)
	v_fma_f64 v[1:2], v[114:115], v[116:117], v[1:2]
	s_and_not1_b32 exec_lo, exec_lo, s1
	s_cbranch_execnz .LBB48_315
; %bb.316:
	s_or_b32 exec_lo, exec_lo, s1
.LBB48_317:
	s_delay_alu instid0(SALU_CYCLE_1)
	s_or_b32 exec_lo, exec_lo, s4
	v_mov_b32_e32 v112, 0
	ds_load_b64 v[112:113], v112 offset:128
	s_waitcnt lgkmcnt(0)
	v_mul_f64 v[1:2], v[1:2], v[112:113]
	scratch_store_b64 off, v[1:2], off offset:128
.LBB48_318:
	s_or_b32 exec_lo, exec_lo, s2
	scratch_load_b64 v[1:2], off, off offset:120
	v_cmp_lt_u32_e64 s1, 15, v0
	s_waitcnt vmcnt(0)
	ds_store_b64 v3, v[1:2]
	s_waitcnt lgkmcnt(0)
	s_waitcnt_vscnt null, 0x0
	s_barrier
	buffer_gl0_inv
	s_and_saveexec_b32 s2, s1
	s_cbranch_execz .LBB48_328
; %bb.319:
	s_and_not1_b32 vcc_lo, exec_lo, s3
	s_cbranch_vccnz .LBB48_321
; %bb.320:
	scratch_load_b64 v[1:2], v4, off
	ds_load_b64 v[112:113], v3
	s_waitcnt vmcnt(0) lgkmcnt(0)
	v_mul_f64 v[1:2], v[1:2], v[112:113]
	s_cbranch_execz .LBB48_322
	s_branch .LBB48_323
.LBB48_321:
                                        ; implicit-def: $vgpr1_vgpr2
.LBB48_322:
	ds_load_b64 v[1:2], v3
.LBB48_323:
	s_and_saveexec_b32 s4, s0
	s_cbranch_execz .LBB48_327
; %bb.324:
	v_add_nc_u32_e32 v112, -16, v0
	s_movk_i32 s5, 0x210
	s_mov_b32 s0, 0
.LBB48_325:                             ; =>This Inner Loop Header: Depth=1
	scratch_load_b64 v[113:114], v12, off
	v_dual_mov_b32 v115, s5 :: v_dual_add_nc_u32 v112, -1, v112
	v_add_nc_u32_e32 v12, 8, v12
	s_add_i32 s5, s5, 8
	ds_load_b64 v[115:116], v115
	v_cmp_eq_u32_e32 vcc_lo, 0, v112
	s_or_b32 s0, vcc_lo, s0
	s_waitcnt vmcnt(0) lgkmcnt(0)
	v_fma_f64 v[1:2], v[113:114], v[115:116], v[1:2]
	s_and_not1_b32 exec_lo, exec_lo, s0
	s_cbranch_execnz .LBB48_325
; %bb.326:
	s_or_b32 exec_lo, exec_lo, s0
.LBB48_327:
	s_delay_alu instid0(SALU_CYCLE_1)
	s_or_b32 exec_lo, exec_lo, s4
	v_mov_b32_e32 v12, 0
	ds_load_b64 v[112:113], v12 offset:120
	s_waitcnt lgkmcnt(0)
	v_mul_f64 v[1:2], v[1:2], v[112:113]
	scratch_store_b64 off, v[1:2], off offset:120
.LBB48_328:
	s_or_b32 exec_lo, exec_lo, s2
	scratch_load_b64 v[1:2], off, off offset:112
	v_cmp_lt_u32_e64 s0, 14, v0
	s_waitcnt vmcnt(0)
	ds_store_b64 v3, v[1:2]
	s_waitcnt lgkmcnt(0)
	s_waitcnt_vscnt null, 0x0
	s_barrier
	buffer_gl0_inv
	s_and_saveexec_b32 s2, s0
	s_cbranch_execz .LBB48_338
; %bb.329:
	s_and_not1_b32 vcc_lo, exec_lo, s3
	s_cbranch_vccnz .LBB48_331
; %bb.330:
	scratch_load_b64 v[1:2], v4, off
	ds_load_b64 v[112:113], v3
	s_waitcnt vmcnt(0) lgkmcnt(0)
	v_mul_f64 v[1:2], v[1:2], v[112:113]
	s_cbranch_execz .LBB48_332
	s_branch .LBB48_333
.LBB48_331:
                                        ; implicit-def: $vgpr1_vgpr2
.LBB48_332:
	ds_load_b64 v[1:2], v3
.LBB48_333:
	s_and_saveexec_b32 s4, s1
	s_cbranch_execz .LBB48_337
; %bb.334:
	v_mov_b32_e32 v12, 0
	v_add_nc_u32_e32 v112, -15, v0
	s_movk_i32 s5, 0x208
	s_mov_b32 s1, 0
	s_delay_alu instid0(VALU_DEP_2)
	v_add_nc_u32_e32 v12, 0x78, v12
.LBB48_335:                             ; =>This Inner Loop Header: Depth=1
	scratch_load_b64 v[113:114], v12, off
	v_dual_mov_b32 v115, s5 :: v_dual_add_nc_u32 v112, -1, v112
	v_add_nc_u32_e32 v12, 8, v12
	s_add_i32 s5, s5, 8
	ds_load_b64 v[115:116], v115
	v_cmp_eq_u32_e32 vcc_lo, 0, v112
	s_or_b32 s1, vcc_lo, s1
	s_waitcnt vmcnt(0) lgkmcnt(0)
	v_fma_f64 v[1:2], v[113:114], v[115:116], v[1:2]
	s_and_not1_b32 exec_lo, exec_lo, s1
	s_cbranch_execnz .LBB48_335
; %bb.336:
	s_or_b32 exec_lo, exec_lo, s1
.LBB48_337:
	s_delay_alu instid0(SALU_CYCLE_1)
	s_or_b32 exec_lo, exec_lo, s4
	v_mov_b32_e32 v12, 0
	ds_load_b64 v[112:113], v12 offset:112
	s_waitcnt lgkmcnt(0)
	v_mul_f64 v[1:2], v[1:2], v[112:113]
	scratch_store_b64 off, v[1:2], off offset:112
.LBB48_338:
	s_or_b32 exec_lo, exec_lo, s2
	scratch_load_b64 v[1:2], off, off offset:104
	v_cmp_lt_u32_e64 s1, 13, v0
	s_waitcnt vmcnt(0)
	ds_store_b64 v3, v[1:2]
	s_waitcnt lgkmcnt(0)
	s_waitcnt_vscnt null, 0x0
	s_barrier
	buffer_gl0_inv
	s_and_saveexec_b32 s2, s1
	s_cbranch_execz .LBB48_348
; %bb.339:
	s_and_not1_b32 vcc_lo, exec_lo, s3
	s_cbranch_vccnz .LBB48_341
; %bb.340:
	scratch_load_b64 v[1:2], v4, off
	ds_load_b64 v[112:113], v3
	s_waitcnt vmcnt(0) lgkmcnt(0)
	v_mul_f64 v[1:2], v[1:2], v[112:113]
	s_cbranch_execz .LBB48_342
	s_branch .LBB48_343
.LBB48_341:
                                        ; implicit-def: $vgpr1_vgpr2
.LBB48_342:
	ds_load_b64 v[1:2], v3
.LBB48_343:
	s_and_saveexec_b32 s4, s0
	s_cbranch_execz .LBB48_347
; %bb.344:
	v_add_nc_u32_e32 v12, -14, v0
	s_movk_i32 s5, 0x200
	s_mov_b32 s0, 0
.LBB48_345:                             ; =>This Inner Loop Header: Depth=1
	scratch_load_b64 v[112:113], v11, off
	v_dual_mov_b32 v114, s5 :: v_dual_add_nc_u32 v11, 8, v11
	v_add_nc_u32_e32 v12, -1, v12
	s_add_i32 s5, s5, 8
	ds_load_b64 v[114:115], v114
	v_cmp_eq_u32_e32 vcc_lo, 0, v12
	s_or_b32 s0, vcc_lo, s0
	s_waitcnt vmcnt(0) lgkmcnt(0)
	v_fma_f64 v[1:2], v[112:113], v[114:115], v[1:2]
	s_and_not1_b32 exec_lo, exec_lo, s0
	s_cbranch_execnz .LBB48_345
; %bb.346:
	s_or_b32 exec_lo, exec_lo, s0
.LBB48_347:
	s_delay_alu instid0(SALU_CYCLE_1)
	s_or_b32 exec_lo, exec_lo, s4
	v_mov_b32_e32 v11, 0
	ds_load_b64 v[11:12], v11 offset:104
	s_waitcnt lgkmcnt(0)
	v_mul_f64 v[1:2], v[1:2], v[11:12]
	scratch_store_b64 off, v[1:2], off offset:104
.LBB48_348:
	s_or_b32 exec_lo, exec_lo, s2
	scratch_load_b64 v[1:2], off, off offset:96
	v_cmp_lt_u32_e64 s0, 12, v0
	s_waitcnt vmcnt(0)
	ds_store_b64 v3, v[1:2]
	s_waitcnt lgkmcnt(0)
	s_waitcnt_vscnt null, 0x0
	s_barrier
	buffer_gl0_inv
	s_and_saveexec_b32 s2, s0
	s_cbranch_execz .LBB48_358
; %bb.349:
	s_and_not1_b32 vcc_lo, exec_lo, s3
	s_cbranch_vccnz .LBB48_351
; %bb.350:
	scratch_load_b64 v[1:2], v4, off
	ds_load_b64 v[11:12], v3
	s_waitcnt vmcnt(0) lgkmcnt(0)
	v_mul_f64 v[1:2], v[1:2], v[11:12]
	s_cbranch_execz .LBB48_352
	s_branch .LBB48_353
.LBB48_351:
                                        ; implicit-def: $vgpr1_vgpr2
.LBB48_352:
	ds_load_b64 v[1:2], v3
.LBB48_353:
	s_and_saveexec_b32 s4, s1
	s_cbranch_execz .LBB48_357
; %bb.354:
	v_dual_mov_b32 v11, 0 :: v_dual_add_nc_u32 v12, -13, v0
	s_movk_i32 s5, 0x1f8
	s_mov_b32 s1, 0
	s_delay_alu instid0(VALU_DEP_1)
	v_add_nc_u32_e32 v11, 0x68, v11
.LBB48_355:                             ; =>This Inner Loop Header: Depth=1
	scratch_load_b64 v[112:113], v11, off
	v_dual_mov_b32 v114, s5 :: v_dual_add_nc_u32 v11, 8, v11
	v_add_nc_u32_e32 v12, -1, v12
	s_add_i32 s5, s5, 8
	ds_load_b64 v[114:115], v114
	v_cmp_eq_u32_e32 vcc_lo, 0, v12
	s_or_b32 s1, vcc_lo, s1
	s_waitcnt vmcnt(0) lgkmcnt(0)
	v_fma_f64 v[1:2], v[112:113], v[114:115], v[1:2]
	s_and_not1_b32 exec_lo, exec_lo, s1
	s_cbranch_execnz .LBB48_355
; %bb.356:
	s_or_b32 exec_lo, exec_lo, s1
.LBB48_357:
	s_delay_alu instid0(SALU_CYCLE_1)
	s_or_b32 exec_lo, exec_lo, s4
	v_mov_b32_e32 v11, 0
	ds_load_b64 v[11:12], v11 offset:96
	s_waitcnt lgkmcnt(0)
	v_mul_f64 v[1:2], v[1:2], v[11:12]
	scratch_store_b64 off, v[1:2], off offset:96
.LBB48_358:
	s_or_b32 exec_lo, exec_lo, s2
	scratch_load_b64 v[1:2], off, off offset:88
	v_cmp_lt_u32_e64 s1, 11, v0
	s_waitcnt vmcnt(0)
	ds_store_b64 v3, v[1:2]
	s_waitcnt lgkmcnt(0)
	s_waitcnt_vscnt null, 0x0
	s_barrier
	buffer_gl0_inv
	s_and_saveexec_b32 s2, s1
	s_cbranch_execz .LBB48_368
; %bb.359:
	s_and_not1_b32 vcc_lo, exec_lo, s3
	s_cbranch_vccnz .LBB48_361
; %bb.360:
	scratch_load_b64 v[1:2], v4, off
	ds_load_b64 v[11:12], v3
	s_waitcnt vmcnt(0) lgkmcnt(0)
	v_mul_f64 v[1:2], v[1:2], v[11:12]
	s_cbranch_execz .LBB48_362
	s_branch .LBB48_363
.LBB48_361:
                                        ; implicit-def: $vgpr1_vgpr2
.LBB48_362:
	ds_load_b64 v[1:2], v3
.LBB48_363:
	s_and_saveexec_b32 s4, s0
	s_cbranch_execz .LBB48_367
; %bb.364:
	v_add_nc_u32_e32 v11, -12, v0
	s_movk_i32 s5, 0x1f0
	s_mov_b32 s0, 0
.LBB48_365:                             ; =>This Inner Loop Header: Depth=1
	scratch_load_b64 v[112:113], v10, off
	v_dual_mov_b32 v12, s5 :: v_dual_add_nc_u32 v11, -1, v11
	v_add_nc_u32_e32 v10, 8, v10
	s_add_i32 s5, s5, 8
	ds_load_b64 v[114:115], v12
	v_cmp_eq_u32_e32 vcc_lo, 0, v11
	s_or_b32 s0, vcc_lo, s0
	s_waitcnt vmcnt(0) lgkmcnt(0)
	v_fma_f64 v[1:2], v[112:113], v[114:115], v[1:2]
	s_and_not1_b32 exec_lo, exec_lo, s0
	s_cbranch_execnz .LBB48_365
; %bb.366:
	s_or_b32 exec_lo, exec_lo, s0
.LBB48_367:
	s_delay_alu instid0(SALU_CYCLE_1)
	s_or_b32 exec_lo, exec_lo, s4
	v_mov_b32_e32 v10, 0
	ds_load_b64 v[10:11], v10 offset:88
	s_waitcnt lgkmcnt(0)
	v_mul_f64 v[1:2], v[1:2], v[10:11]
	scratch_store_b64 off, v[1:2], off offset:88
.LBB48_368:
	s_or_b32 exec_lo, exec_lo, s2
	scratch_load_b64 v[1:2], off, off offset:80
	v_cmp_lt_u32_e64 s0, 10, v0
	s_waitcnt vmcnt(0)
	ds_store_b64 v3, v[1:2]
	s_waitcnt lgkmcnt(0)
	s_waitcnt_vscnt null, 0x0
	s_barrier
	buffer_gl0_inv
	s_and_saveexec_b32 s2, s0
	s_cbranch_execz .LBB48_378
; %bb.369:
	s_and_not1_b32 vcc_lo, exec_lo, s3
	s_cbranch_vccnz .LBB48_371
; %bb.370:
	scratch_load_b64 v[1:2], v4, off
	ds_load_b64 v[10:11], v3
	s_waitcnt vmcnt(0) lgkmcnt(0)
	v_mul_f64 v[1:2], v[1:2], v[10:11]
	s_cbranch_execz .LBB48_372
	s_branch .LBB48_373
.LBB48_371:
                                        ; implicit-def: $vgpr1_vgpr2
.LBB48_372:
	ds_load_b64 v[1:2], v3
.LBB48_373:
	s_and_saveexec_b32 s4, s1
	s_cbranch_execz .LBB48_377
; %bb.374:
	v_dual_mov_b32 v10, 0 :: v_dual_add_nc_u32 v11, -11, v0
	s_movk_i32 s5, 0x1e8
	s_mov_b32 s1, 0
	s_delay_alu instid0(VALU_DEP_1)
	v_add_nc_u32_e32 v10, 0x58, v10
.LBB48_375:                             ; =>This Inner Loop Header: Depth=1
	scratch_load_b64 v[112:113], v10, off
	v_dual_mov_b32 v12, s5 :: v_dual_add_nc_u32 v11, -1, v11
	v_add_nc_u32_e32 v10, 8, v10
	s_add_i32 s5, s5, 8
	ds_load_b64 v[114:115], v12
	v_cmp_eq_u32_e32 vcc_lo, 0, v11
	s_or_b32 s1, vcc_lo, s1
	s_waitcnt vmcnt(0) lgkmcnt(0)
	v_fma_f64 v[1:2], v[112:113], v[114:115], v[1:2]
	s_and_not1_b32 exec_lo, exec_lo, s1
	s_cbranch_execnz .LBB48_375
; %bb.376:
	s_or_b32 exec_lo, exec_lo, s1
.LBB48_377:
	s_delay_alu instid0(SALU_CYCLE_1)
	s_or_b32 exec_lo, exec_lo, s4
	v_mov_b32_e32 v10, 0
	ds_load_b64 v[10:11], v10 offset:80
	s_waitcnt lgkmcnt(0)
	v_mul_f64 v[1:2], v[1:2], v[10:11]
	scratch_store_b64 off, v[1:2], off offset:80
.LBB48_378:
	s_or_b32 exec_lo, exec_lo, s2
	scratch_load_b64 v[1:2], off, off offset:72
	v_cmp_lt_u32_e64 s1, 9, v0
	s_waitcnt vmcnt(0)
	ds_store_b64 v3, v[1:2]
	s_waitcnt lgkmcnt(0)
	s_waitcnt_vscnt null, 0x0
	s_barrier
	buffer_gl0_inv
	s_and_saveexec_b32 s2, s1
	s_cbranch_execz .LBB48_388
; %bb.379:
	s_and_not1_b32 vcc_lo, exec_lo, s3
	s_cbranch_vccnz .LBB48_381
; %bb.380:
	scratch_load_b64 v[1:2], v4, off
	ds_load_b64 v[10:11], v3
	s_waitcnt vmcnt(0) lgkmcnt(0)
	v_mul_f64 v[1:2], v[1:2], v[10:11]
	s_cbranch_execz .LBB48_382
	s_branch .LBB48_383
.LBB48_381:
                                        ; implicit-def: $vgpr1_vgpr2
.LBB48_382:
	ds_load_b64 v[1:2], v3
.LBB48_383:
	s_and_saveexec_b32 s4, s0
	s_cbranch_execz .LBB48_387
; %bb.384:
	v_add_nc_u32_e32 v10, -10, v0
	s_movk_i32 s5, 0x1e0
	s_mov_b32 s0, 0
.LBB48_385:                             ; =>This Inner Loop Header: Depth=1
	scratch_load_b64 v[11:12], v9, off
	v_dual_mov_b32 v112, s5 :: v_dual_add_nc_u32 v9, 8, v9
	v_add_nc_u32_e32 v10, -1, v10
	s_add_i32 s5, s5, 8
	ds_load_b64 v[112:113], v112
	v_cmp_eq_u32_e32 vcc_lo, 0, v10
	s_or_b32 s0, vcc_lo, s0
	s_waitcnt vmcnt(0) lgkmcnt(0)
	v_fma_f64 v[1:2], v[11:12], v[112:113], v[1:2]
	s_and_not1_b32 exec_lo, exec_lo, s0
	s_cbranch_execnz .LBB48_385
; %bb.386:
	s_or_b32 exec_lo, exec_lo, s0
.LBB48_387:
	s_delay_alu instid0(SALU_CYCLE_1)
	s_or_b32 exec_lo, exec_lo, s4
	v_mov_b32_e32 v9, 0
	ds_load_b64 v[9:10], v9 offset:72
	s_waitcnt lgkmcnt(0)
	v_mul_f64 v[1:2], v[1:2], v[9:10]
	scratch_store_b64 off, v[1:2], off offset:72
.LBB48_388:
	s_or_b32 exec_lo, exec_lo, s2
	scratch_load_b64 v[1:2], off, off offset:64
	v_cmp_lt_u32_e64 s0, 8, v0
	s_waitcnt vmcnt(0)
	ds_store_b64 v3, v[1:2]
	s_waitcnt lgkmcnt(0)
	s_waitcnt_vscnt null, 0x0
	s_barrier
	buffer_gl0_inv
	s_and_saveexec_b32 s2, s0
	s_cbranch_execz .LBB48_398
; %bb.389:
	s_and_not1_b32 vcc_lo, exec_lo, s3
	s_cbranch_vccnz .LBB48_391
; %bb.390:
	scratch_load_b64 v[1:2], v4, off
	ds_load_b64 v[9:10], v3
	s_waitcnt vmcnt(0) lgkmcnt(0)
	v_mul_f64 v[1:2], v[1:2], v[9:10]
	s_cbranch_execz .LBB48_392
	s_branch .LBB48_393
.LBB48_391:
                                        ; implicit-def: $vgpr1_vgpr2
.LBB48_392:
	ds_load_b64 v[1:2], v3
.LBB48_393:
	s_and_saveexec_b32 s4, s1
	s_cbranch_execz .LBB48_397
; %bb.394:
	v_dual_mov_b32 v9, 0 :: v_dual_add_nc_u32 v10, -9, v0
	s_movk_i32 s5, 0x1d8
	s_mov_b32 s1, 0
	s_delay_alu instid0(VALU_DEP_1)
	v_add_nc_u32_e32 v9, 0x48, v9
.LBB48_395:                             ; =>This Inner Loop Header: Depth=1
	scratch_load_b64 v[11:12], v9, off
	v_dual_mov_b32 v112, s5 :: v_dual_add_nc_u32 v9, 8, v9
	v_add_nc_u32_e32 v10, -1, v10
	s_add_i32 s5, s5, 8
	ds_load_b64 v[112:113], v112
	v_cmp_eq_u32_e32 vcc_lo, 0, v10
	s_or_b32 s1, vcc_lo, s1
	s_waitcnt vmcnt(0) lgkmcnt(0)
	v_fma_f64 v[1:2], v[11:12], v[112:113], v[1:2]
	s_and_not1_b32 exec_lo, exec_lo, s1
	s_cbranch_execnz .LBB48_395
; %bb.396:
	s_or_b32 exec_lo, exec_lo, s1
.LBB48_397:
	s_delay_alu instid0(SALU_CYCLE_1)
	s_or_b32 exec_lo, exec_lo, s4
	v_mov_b32_e32 v9, 0
	ds_load_b64 v[9:10], v9 offset:64
	s_waitcnt lgkmcnt(0)
	v_mul_f64 v[1:2], v[1:2], v[9:10]
	scratch_store_b64 off, v[1:2], off offset:64
.LBB48_398:
	s_or_b32 exec_lo, exec_lo, s2
	scratch_load_b64 v[1:2], off, off offset:56
	v_cmp_lt_u32_e64 s1, 7, v0
	s_waitcnt vmcnt(0)
	ds_store_b64 v3, v[1:2]
	s_waitcnt lgkmcnt(0)
	s_waitcnt_vscnt null, 0x0
	s_barrier
	buffer_gl0_inv
	s_and_saveexec_b32 s2, s1
	s_cbranch_execz .LBB48_408
; %bb.399:
	s_and_not1_b32 vcc_lo, exec_lo, s3
	s_cbranch_vccnz .LBB48_401
; %bb.400:
	scratch_load_b64 v[1:2], v4, off
	ds_load_b64 v[9:10], v3
	s_waitcnt vmcnt(0) lgkmcnt(0)
	v_mul_f64 v[1:2], v[1:2], v[9:10]
	s_cbranch_execz .LBB48_402
	s_branch .LBB48_403
.LBB48_401:
                                        ; implicit-def: $vgpr1_vgpr2
.LBB48_402:
	ds_load_b64 v[1:2], v3
.LBB48_403:
	s_and_saveexec_b32 s4, s0
	s_cbranch_execz .LBB48_407
; %bb.404:
	v_add_nc_u32_e32 v9, -8, v0
	s_movk_i32 s5, 0x1d0
	s_mov_b32 s0, 0
.LBB48_405:                             ; =>This Inner Loop Header: Depth=1
	scratch_load_b64 v[10:11], v8, off
	v_dual_mov_b32 v12, s5 :: v_dual_add_nc_u32 v9, -1, v9
	v_add_nc_u32_e32 v8, 8, v8
	s_add_i32 s5, s5, 8
	ds_load_b64 v[112:113], v12
	v_cmp_eq_u32_e32 vcc_lo, 0, v9
	s_or_b32 s0, vcc_lo, s0
	s_waitcnt vmcnt(0) lgkmcnt(0)
	v_fma_f64 v[1:2], v[10:11], v[112:113], v[1:2]
	s_and_not1_b32 exec_lo, exec_lo, s0
	s_cbranch_execnz .LBB48_405
; %bb.406:
	s_or_b32 exec_lo, exec_lo, s0
.LBB48_407:
	s_delay_alu instid0(SALU_CYCLE_1)
	s_or_b32 exec_lo, exec_lo, s4
	v_mov_b32_e32 v8, 0
	ds_load_b64 v[8:9], v8 offset:56
	s_waitcnt lgkmcnt(0)
	v_mul_f64 v[1:2], v[1:2], v[8:9]
	scratch_store_b64 off, v[1:2], off offset:56
.LBB48_408:
	s_or_b32 exec_lo, exec_lo, s2
	scratch_load_b64 v[1:2], off, off offset:48
	v_cmp_lt_u32_e64 s0, 6, v0
	s_waitcnt vmcnt(0)
	ds_store_b64 v3, v[1:2]
	s_waitcnt lgkmcnt(0)
	s_waitcnt_vscnt null, 0x0
	s_barrier
	buffer_gl0_inv
	s_and_saveexec_b32 s2, s0
	s_cbranch_execz .LBB48_418
; %bb.409:
	s_and_not1_b32 vcc_lo, exec_lo, s3
	s_cbranch_vccnz .LBB48_411
; %bb.410:
	scratch_load_b64 v[1:2], v4, off
	ds_load_b64 v[8:9], v3
	s_waitcnt vmcnt(0) lgkmcnt(0)
	v_mul_f64 v[1:2], v[1:2], v[8:9]
	s_cbranch_execz .LBB48_412
	s_branch .LBB48_413
.LBB48_411:
                                        ; implicit-def: $vgpr1_vgpr2
.LBB48_412:
	ds_load_b64 v[1:2], v3
.LBB48_413:
	s_and_saveexec_b32 s4, s1
	s_cbranch_execz .LBB48_417
; %bb.414:
	v_add_nc_u32_e64 v8, 0, 56
	v_add_nc_u32_e32 v9, -7, v0
	s_movk_i32 s5, 0x1c8
	s_mov_b32 s1, 0
.LBB48_415:                             ; =>This Inner Loop Header: Depth=1
	scratch_load_b64 v[10:11], v8, off
	v_dual_mov_b32 v12, s5 :: v_dual_add_nc_u32 v9, -1, v9
	v_add_nc_u32_e32 v8, 8, v8
	s_add_i32 s5, s5, 8
	ds_load_b64 v[112:113], v12
	v_cmp_eq_u32_e32 vcc_lo, 0, v9
	s_or_b32 s1, vcc_lo, s1
	s_waitcnt vmcnt(0) lgkmcnt(0)
	v_fma_f64 v[1:2], v[10:11], v[112:113], v[1:2]
	s_and_not1_b32 exec_lo, exec_lo, s1
	s_cbranch_execnz .LBB48_415
; %bb.416:
	s_or_b32 exec_lo, exec_lo, s1
.LBB48_417:
	s_delay_alu instid0(SALU_CYCLE_1)
	s_or_b32 exec_lo, exec_lo, s4
	v_mov_b32_e32 v8, 0
	ds_load_b64 v[8:9], v8 offset:48
	s_waitcnt lgkmcnt(0)
	v_mul_f64 v[1:2], v[1:2], v[8:9]
	scratch_store_b64 off, v[1:2], off offset:48
.LBB48_418:
	s_or_b32 exec_lo, exec_lo, s2
	scratch_load_b64 v[1:2], off, off offset:40
	v_cmp_lt_u32_e64 s1, 5, v0
	s_waitcnt vmcnt(0)
	ds_store_b64 v3, v[1:2]
	s_waitcnt lgkmcnt(0)
	s_waitcnt_vscnt null, 0x0
	s_barrier
	buffer_gl0_inv
	s_and_saveexec_b32 s2, s1
	s_cbranch_execz .LBB48_428
; %bb.419:
	s_and_not1_b32 vcc_lo, exec_lo, s3
	s_cbranch_vccnz .LBB48_421
; %bb.420:
	scratch_load_b64 v[1:2], v4, off
	ds_load_b64 v[8:9], v3
	s_waitcnt vmcnt(0) lgkmcnt(0)
	v_mul_f64 v[1:2], v[1:2], v[8:9]
	s_cbranch_execz .LBB48_422
	s_branch .LBB48_423
.LBB48_421:
                                        ; implicit-def: $vgpr1_vgpr2
.LBB48_422:
	ds_load_b64 v[1:2], v3
.LBB48_423:
	s_and_saveexec_b32 s4, s0
	s_cbranch_execz .LBB48_427
; %bb.424:
	v_add_nc_u32_e32 v8, -6, v0
	s_movk_i32 s5, 0x1c0
	s_mov_b32 s0, 0
.LBB48_425:                             ; =>This Inner Loop Header: Depth=1
	scratch_load_b64 v[9:10], v7, off
	v_dual_mov_b32 v11, s5 :: v_dual_add_nc_u32 v8, -1, v8
	v_add_nc_u32_e32 v7, 8, v7
	s_add_i32 s5, s5, 8
	ds_load_b64 v[11:12], v11
	v_cmp_eq_u32_e32 vcc_lo, 0, v8
	s_or_b32 s0, vcc_lo, s0
	s_waitcnt vmcnt(0) lgkmcnt(0)
	v_fma_f64 v[1:2], v[9:10], v[11:12], v[1:2]
	s_and_not1_b32 exec_lo, exec_lo, s0
	s_cbranch_execnz .LBB48_425
; %bb.426:
	s_or_b32 exec_lo, exec_lo, s0
.LBB48_427:
	s_delay_alu instid0(SALU_CYCLE_1)
	s_or_b32 exec_lo, exec_lo, s4
	v_mov_b32_e32 v7, 0
	ds_load_b64 v[7:8], v7 offset:40
	s_waitcnt lgkmcnt(0)
	v_mul_f64 v[1:2], v[1:2], v[7:8]
	scratch_store_b64 off, v[1:2], off offset:40
.LBB48_428:
	s_or_b32 exec_lo, exec_lo, s2
	scratch_load_b64 v[1:2], off, off offset:32
	v_cmp_lt_u32_e64 s0, 4, v0
	s_waitcnt vmcnt(0)
	ds_store_b64 v3, v[1:2]
	s_waitcnt lgkmcnt(0)
	s_waitcnt_vscnt null, 0x0
	s_barrier
	buffer_gl0_inv
	s_and_saveexec_b32 s2, s0
	s_cbranch_execz .LBB48_438
; %bb.429:
	s_and_not1_b32 vcc_lo, exec_lo, s3
	s_cbranch_vccnz .LBB48_431
; %bb.430:
	scratch_load_b64 v[1:2], v4, off
	ds_load_b64 v[7:8], v3
	s_waitcnt vmcnt(0) lgkmcnt(0)
	v_mul_f64 v[1:2], v[1:2], v[7:8]
	s_cbranch_execz .LBB48_432
	s_branch .LBB48_433
.LBB48_431:
                                        ; implicit-def: $vgpr1_vgpr2
.LBB48_432:
	ds_load_b64 v[1:2], v3
.LBB48_433:
	s_and_saveexec_b32 s4, s1
	s_cbranch_execz .LBB48_437
; %bb.434:
	v_add_nc_u32_e64 v7, 0, 40
	v_add_nc_u32_e32 v8, -5, v0
	s_movk_i32 s5, 0x1b8
	s_mov_b32 s1, 0
.LBB48_435:                             ; =>This Inner Loop Header: Depth=1
	scratch_load_b64 v[9:10], v7, off
	v_dual_mov_b32 v11, s5 :: v_dual_add_nc_u32 v8, -1, v8
	v_add_nc_u32_e32 v7, 8, v7
	s_add_i32 s5, s5, 8
	ds_load_b64 v[11:12], v11
	v_cmp_eq_u32_e32 vcc_lo, 0, v8
	s_or_b32 s1, vcc_lo, s1
	s_waitcnt vmcnt(0) lgkmcnt(0)
	v_fma_f64 v[1:2], v[9:10], v[11:12], v[1:2]
	s_and_not1_b32 exec_lo, exec_lo, s1
	s_cbranch_execnz .LBB48_435
; %bb.436:
	s_or_b32 exec_lo, exec_lo, s1
.LBB48_437:
	s_delay_alu instid0(SALU_CYCLE_1)
	s_or_b32 exec_lo, exec_lo, s4
	v_mov_b32_e32 v7, 0
	ds_load_b64 v[7:8], v7 offset:32
	s_waitcnt lgkmcnt(0)
	v_mul_f64 v[1:2], v[1:2], v[7:8]
	scratch_store_b64 off, v[1:2], off offset:32
.LBB48_438:
	s_or_b32 exec_lo, exec_lo, s2
	scratch_load_b64 v[1:2], off, off offset:24
	v_cmp_lt_u32_e64 s1, 3, v0
	s_waitcnt vmcnt(0)
	ds_store_b64 v3, v[1:2]
	s_waitcnt lgkmcnt(0)
	s_waitcnt_vscnt null, 0x0
	s_barrier
	buffer_gl0_inv
	s_and_saveexec_b32 s2, s1
	s_cbranch_execz .LBB48_448
; %bb.439:
	s_and_not1_b32 vcc_lo, exec_lo, s3
	s_cbranch_vccnz .LBB48_441
; %bb.440:
	scratch_load_b64 v[1:2], v4, off
	ds_load_b64 v[7:8], v3
	s_waitcnt vmcnt(0) lgkmcnt(0)
	v_mul_f64 v[1:2], v[1:2], v[7:8]
	s_cbranch_execz .LBB48_442
	s_branch .LBB48_443
.LBB48_441:
                                        ; implicit-def: $vgpr1_vgpr2
.LBB48_442:
	ds_load_b64 v[1:2], v3
.LBB48_443:
	s_and_saveexec_b32 s4, s0
	s_cbranch_execz .LBB48_447
; %bb.444:
	v_add_nc_u32_e32 v7, -4, v0
	s_movk_i32 s5, 0x1b0
	s_mov_b32 s0, 0
.LBB48_445:                             ; =>This Inner Loop Header: Depth=1
	scratch_load_b64 v[8:9], v6, off
	v_dual_mov_b32 v10, s5 :: v_dual_add_nc_u32 v7, -1, v7
	v_add_nc_u32_e32 v6, 8, v6
	s_add_i32 s5, s5, 8
	ds_load_b64 v[10:11], v10
	v_cmp_eq_u32_e32 vcc_lo, 0, v7
	s_or_b32 s0, vcc_lo, s0
	s_waitcnt vmcnt(0) lgkmcnt(0)
	v_fma_f64 v[1:2], v[8:9], v[10:11], v[1:2]
	s_and_not1_b32 exec_lo, exec_lo, s0
	s_cbranch_execnz .LBB48_445
; %bb.446:
	s_or_b32 exec_lo, exec_lo, s0
.LBB48_447:
	s_delay_alu instid0(SALU_CYCLE_1)
	s_or_b32 exec_lo, exec_lo, s4
	v_mov_b32_e32 v6, 0
	ds_load_b64 v[6:7], v6 offset:24
	s_waitcnt lgkmcnt(0)
	v_mul_f64 v[1:2], v[1:2], v[6:7]
	scratch_store_b64 off, v[1:2], off offset:24
.LBB48_448:
	s_or_b32 exec_lo, exec_lo, s2
	scratch_load_b64 v[1:2], off, off offset:16
	v_cmp_lt_u32_e64 s0, 2, v0
	s_waitcnt vmcnt(0)
	ds_store_b64 v3, v[1:2]
	s_waitcnt lgkmcnt(0)
	s_waitcnt_vscnt null, 0x0
	s_barrier
	buffer_gl0_inv
	s_and_saveexec_b32 s2, s0
	s_cbranch_execz .LBB48_458
; %bb.449:
	s_and_not1_b32 vcc_lo, exec_lo, s3
	s_cbranch_vccnz .LBB48_451
; %bb.450:
	scratch_load_b64 v[1:2], v4, off
	ds_load_b64 v[6:7], v3
	s_waitcnt vmcnt(0) lgkmcnt(0)
	v_mul_f64 v[1:2], v[1:2], v[6:7]
	s_cbranch_execz .LBB48_452
	s_branch .LBB48_453
.LBB48_451:
                                        ; implicit-def: $vgpr1_vgpr2
.LBB48_452:
	ds_load_b64 v[1:2], v3
.LBB48_453:
	s_and_saveexec_b32 s4, s1
	s_cbranch_execz .LBB48_457
; %bb.454:
	v_add_nc_u32_e64 v6, 0, 24
	v_add_nc_u32_e32 v7, -3, v0
	s_movk_i32 s5, 0x1a8
	s_mov_b32 s1, 0
.LBB48_455:                             ; =>This Inner Loop Header: Depth=1
	scratch_load_b64 v[8:9], v6, off
	v_dual_mov_b32 v10, s5 :: v_dual_add_nc_u32 v7, -1, v7
	v_add_nc_u32_e32 v6, 8, v6
	s_add_i32 s5, s5, 8
	ds_load_b64 v[10:11], v10
	v_cmp_eq_u32_e32 vcc_lo, 0, v7
	s_or_b32 s1, vcc_lo, s1
	s_waitcnt vmcnt(0) lgkmcnt(0)
	v_fma_f64 v[1:2], v[8:9], v[10:11], v[1:2]
	s_and_not1_b32 exec_lo, exec_lo, s1
	s_cbranch_execnz .LBB48_455
; %bb.456:
	s_or_b32 exec_lo, exec_lo, s1
.LBB48_457:
	s_delay_alu instid0(SALU_CYCLE_1)
	s_or_b32 exec_lo, exec_lo, s4
	v_mov_b32_e32 v6, 0
	ds_load_b64 v[6:7], v6 offset:16
	s_waitcnt lgkmcnt(0)
	v_mul_f64 v[1:2], v[1:2], v[6:7]
	scratch_store_b64 off, v[1:2], off offset:16
.LBB48_458:
	s_or_b32 exec_lo, exec_lo, s2
	scratch_load_b64 v[1:2], off, off offset:8
	v_cmp_lt_u32_e64 s1, 1, v0
	s_waitcnt vmcnt(0)
	ds_store_b64 v3, v[1:2]
	s_waitcnt lgkmcnt(0)
	s_waitcnt_vscnt null, 0x0
	s_barrier
	buffer_gl0_inv
	s_and_saveexec_b32 s2, s1
	s_cbranch_execz .LBB48_468
; %bb.459:
	s_and_not1_b32 vcc_lo, exec_lo, s3
	s_cbranch_vccnz .LBB48_461
; %bb.460:
	scratch_load_b64 v[1:2], v4, off
	ds_load_b64 v[6:7], v3
	s_waitcnt vmcnt(0) lgkmcnt(0)
	v_mul_f64 v[1:2], v[1:2], v[6:7]
	s_cbranch_execz .LBB48_462
	s_branch .LBB48_463
.LBB48_461:
                                        ; implicit-def: $vgpr1_vgpr2
.LBB48_462:
	ds_load_b64 v[1:2], v3
.LBB48_463:
	s_and_saveexec_b32 s4, s0
	s_cbranch_execz .LBB48_467
; %bb.464:
	v_add_nc_u32_e32 v6, -2, v0
	s_movk_i32 s5, 0x1a0
	s_mov_b32 s0, 0
.LBB48_465:                             ; =>This Inner Loop Header: Depth=1
	scratch_load_b64 v[7:8], v5, off
	v_dual_mov_b32 v9, s5 :: v_dual_add_nc_u32 v6, -1, v6
	v_add_nc_u32_e32 v5, 8, v5
	s_add_i32 s5, s5, 8
	ds_load_b64 v[9:10], v9
	v_cmp_eq_u32_e32 vcc_lo, 0, v6
	s_or_b32 s0, vcc_lo, s0
	s_waitcnt vmcnt(0) lgkmcnt(0)
	v_fma_f64 v[1:2], v[7:8], v[9:10], v[1:2]
	s_and_not1_b32 exec_lo, exec_lo, s0
	s_cbranch_execnz .LBB48_465
; %bb.466:
	s_or_b32 exec_lo, exec_lo, s0
.LBB48_467:
	s_delay_alu instid0(SALU_CYCLE_1)
	s_or_b32 exec_lo, exec_lo, s4
	v_mov_b32_e32 v5, 0
	ds_load_b64 v[5:6], v5 offset:8
	s_waitcnt lgkmcnt(0)
	v_mul_f64 v[1:2], v[1:2], v[5:6]
	scratch_store_b64 off, v[1:2], off offset:8
.LBB48_468:
	s_or_b32 exec_lo, exec_lo, s2
	scratch_load_b64 v[1:2], off, off
	s_mov_b32 s0, 0
	s_mov_b32 s2, exec_lo
	s_waitcnt vmcnt(0)
	ds_store_b64 v3, v[1:2]
	s_waitcnt lgkmcnt(0)
	s_waitcnt_vscnt null, 0x0
	s_barrier
	buffer_gl0_inv
	v_cmpx_ne_u32_e32 0, v0
	s_cbranch_execz .LBB48_478
; %bb.469:
	s_and_not1_b32 vcc_lo, exec_lo, s3
	s_cbranch_vccnz .LBB48_471
; %bb.470:
	scratch_load_b64 v[1:2], v4, off
	ds_load_b64 v[5:6], v3
	s_waitcnt vmcnt(0) lgkmcnt(0)
	v_mul_f64 v[1:2], v[1:2], v[5:6]
	s_cbranch_execz .LBB48_472
	s_branch .LBB48_473
.LBB48_471:
                                        ; implicit-def: $vgpr1_vgpr2
.LBB48_472:
	ds_load_b64 v[1:2], v3
.LBB48_473:
	s_and_saveexec_b32 s4, s1
	s_cbranch_execz .LBB48_477
; %bb.474:
	v_or_b32_e64 v5, 0, 8
	v_add_nc_u32_e32 v6, -1, v0
	s_movk_i32 s5, 0x198
	s_mov_b32 s1, 0
.LBB48_475:                             ; =>This Inner Loop Header: Depth=1
	scratch_load_b64 v[7:8], v5, off
	v_dual_mov_b32 v9, s5 :: v_dual_add_nc_u32 v6, -1, v6
	v_add_nc_u32_e32 v5, 8, v5
	s_add_i32 s5, s5, 8
	ds_load_b64 v[9:10], v9
	v_cmp_eq_u32_e32 vcc_lo, 0, v6
	s_or_b32 s1, vcc_lo, s1
	s_waitcnt vmcnt(0) lgkmcnt(0)
	v_fma_f64 v[1:2], v[7:8], v[9:10], v[1:2]
	s_and_not1_b32 exec_lo, exec_lo, s1
	s_cbranch_execnz .LBB48_475
; %bb.476:
	s_or_b32 exec_lo, exec_lo, s1
.LBB48_477:
	s_delay_alu instid0(SALU_CYCLE_1)
	s_or_b32 exec_lo, exec_lo, s4
	v_mov_b32_e32 v5, 0
	ds_load_b64 v[5:6], v5
	s_waitcnt lgkmcnt(0)
	v_mul_f64 v[1:2], v[1:2], v[5:6]
	scratch_store_b64 off, v[1:2], off
.LBB48_478:
	s_or_b32 exec_lo, exec_lo, s2
.LBB48_479:
	s_delay_alu instid0(SALU_CYCLE_1)
	s_and_b32 vcc_lo, exec_lo, s0
	s_cbranch_vccz .LBB48_955
; %bb.480:
	scratch_load_b64 v[1:2], off, off offset:8
	v_cmp_eq_u32_e64 s0, 0, v0
	s_waitcnt vmcnt(0)
	ds_store_b64 v3, v[1:2]
	s_waitcnt lgkmcnt(0)
	s_waitcnt_vscnt null, 0x0
	s_barrier
	buffer_gl0_inv
	s_and_saveexec_b32 s1, s0
	s_cbranch_execz .LBB48_486
; %bb.481:
	s_and_b32 vcc_lo, exec_lo, s3
	s_cbranch_vccz .LBB48_483
; %bb.482:
	scratch_load_b64 v[1:2], v4, off
	ds_load_b64 v[5:6], v3
	s_waitcnt vmcnt(0) lgkmcnt(0)
	v_mul_f64 v[1:2], v[1:2], v[5:6]
	s_cbranch_execz .LBB48_484
	s_branch .LBB48_485
.LBB48_483:
                                        ; implicit-def: $vgpr1_vgpr2
.LBB48_484:
	ds_load_b64 v[1:2], v3
.LBB48_485:
	v_mov_b32_e32 v5, 0
	ds_load_b64 v[5:6], v5 offset:8
	s_waitcnt lgkmcnt(0)
	v_mul_f64 v[1:2], v[1:2], v[5:6]
	scratch_store_b64 off, v[1:2], off offset:8
.LBB48_486:
	s_or_b32 exec_lo, exec_lo, s1
	scratch_load_b64 v[1:2], off, off offset:16
	v_cndmask_b32_e64 v5, 0, 1, s3
	s_mov_b32 s1, exec_lo
	s_waitcnt vmcnt(0)
	ds_store_b64 v3, v[1:2]
	s_waitcnt lgkmcnt(0)
	s_waitcnt_vscnt null, 0x0
	s_barrier
	buffer_gl0_inv
	v_cmpx_gt_u32_e32 2, v0
	s_cbranch_execz .LBB48_494
; %bb.487:
	s_and_not1_b32 vcc_lo, exec_lo, s3
	s_cbranch_vccnz .LBB48_489
; %bb.488:
	scratch_load_b64 v[1:2], v4, off
	ds_load_b64 v[6:7], v3
	s_waitcnt vmcnt(0) lgkmcnt(0)
	v_mul_f64 v[1:2], v[1:2], v[6:7]
	s_cbranch_execz .LBB48_490
	s_branch .LBB48_491
.LBB48_489:
                                        ; implicit-def: $vgpr1_vgpr2
.LBB48_490:
	ds_load_b64 v[1:2], v3
.LBB48_491:
	s_and_saveexec_b32 s2, s0
	s_cbranch_execz .LBB48_493
; %bb.492:
	scratch_load_b64 v[6:7], v4, off offset:8
	ds_load_b64 v[8:9], v3 offset:8
	s_waitcnt vmcnt(0) lgkmcnt(0)
	v_fma_f64 v[1:2], v[6:7], v[8:9], v[1:2]
.LBB48_493:
	s_or_b32 exec_lo, exec_lo, s2
	v_mov_b32_e32 v6, 0
	ds_load_b64 v[6:7], v6 offset:16
	s_waitcnt lgkmcnt(0)
	v_mul_f64 v[1:2], v[1:2], v[6:7]
	scratch_store_b64 off, v[1:2], off offset:16
.LBB48_494:
	s_or_b32 exec_lo, exec_lo, s1
	scratch_load_b64 v[1:2], off, off offset:24
	s_mov_b32 s1, exec_lo
	s_waitcnt vmcnt(0)
	ds_store_b64 v3, v[1:2]
	s_waitcnt lgkmcnt(0)
	s_waitcnt_vscnt null, 0x0
	s_barrier
	buffer_gl0_inv
	v_cmpx_gt_u32_e32 3, v0
	s_cbranch_execz .LBB48_504
; %bb.495:
	v_cmp_ne_u32_e32 vcc_lo, 1, v5
	s_cbranch_vccnz .LBB48_497
; %bb.496:
	scratch_load_b64 v[1:2], v4, off
	ds_load_b64 v[6:7], v3
	s_waitcnt vmcnt(0) lgkmcnt(0)
	v_mul_f64 v[1:2], v[1:2], v[6:7]
	s_cbranch_execz .LBB48_498
	s_branch .LBB48_499
.LBB48_497:
                                        ; implicit-def: $vgpr1_vgpr2
.LBB48_498:
	ds_load_b64 v[1:2], v3
.LBB48_499:
	s_mov_b32 s2, exec_lo
	v_cmpx_ne_u32_e32 2, v0
	s_cbranch_execz .LBB48_503
; %bb.500:
	scratch_load_b64 v[6:7], v4, off offset:8
	ds_load_b64 v[8:9], v3 offset:8
	s_waitcnt vmcnt(0) lgkmcnt(0)
	v_fma_f64 v[1:2], v[6:7], v[8:9], v[1:2]
	s_and_saveexec_b32 s3, s0
	s_cbranch_execz .LBB48_502
; %bb.501:
	scratch_load_b64 v[6:7], off, off offset:16
	v_mov_b32_e32 v8, 0
	ds_load_b64 v[8:9], v8 offset:416
	s_waitcnt vmcnt(0) lgkmcnt(0)
	v_fma_f64 v[1:2], v[6:7], v[8:9], v[1:2]
.LBB48_502:
	s_or_b32 exec_lo, exec_lo, s3
.LBB48_503:
	s_delay_alu instid0(SALU_CYCLE_1)
	s_or_b32 exec_lo, exec_lo, s2
	v_mov_b32_e32 v6, 0
	ds_load_b64 v[6:7], v6 offset:24
	s_waitcnt lgkmcnt(0)
	v_mul_f64 v[1:2], v[1:2], v[6:7]
	scratch_store_b64 off, v[1:2], off offset:24
.LBB48_504:
	s_or_b32 exec_lo, exec_lo, s1
	scratch_load_b64 v[1:2], off, off offset:32
	s_mov_b32 s0, exec_lo
	s_waitcnt vmcnt(0)
	ds_store_b64 v3, v[1:2]
	s_waitcnt lgkmcnt(0)
	s_waitcnt_vscnt null, 0x0
	s_barrier
	buffer_gl0_inv
	v_cmpx_gt_u32_e32 4, v0
	s_cbranch_execz .LBB48_514
; %bb.505:
	v_cmp_ne_u32_e32 vcc_lo, 1, v5
	s_cbranch_vccnz .LBB48_507
; %bb.506:
	scratch_load_b64 v[1:2], v4, off
	ds_load_b64 v[6:7], v3
	s_waitcnt vmcnt(0) lgkmcnt(0)
	v_mul_f64 v[1:2], v[1:2], v[6:7]
	s_cbranch_execz .LBB48_508
	s_branch .LBB48_509
.LBB48_507:
                                        ; implicit-def: $vgpr1_vgpr2
.LBB48_508:
	ds_load_b64 v[1:2], v3
.LBB48_509:
	s_mov_b32 s1, exec_lo
	v_cmpx_ne_u32_e32 3, v0
	s_cbranch_execz .LBB48_513
; %bb.510:
	v_add_nc_u32_e32 v6, 0x198, v111
	v_add3_u32 v7, 0, v111, 8
	v_mov_b32_e32 v8, v0
	s_mov_b32 s2, 0
.LBB48_511:                             ; =>This Inner Loop Header: Depth=1
	scratch_load_b64 v[9:10], v7, off
	ds_load_b64 v[11:12], v6
	v_add_nc_u32_e32 v8, 1, v8
	v_add_nc_u32_e32 v6, 8, v6
	v_add_nc_u32_e32 v7, 8, v7
	s_delay_alu instid0(VALU_DEP_3)
	v_cmp_lt_u32_e32 vcc_lo, 2, v8
	s_or_b32 s2, vcc_lo, s2
	s_waitcnt vmcnt(0) lgkmcnt(0)
	v_fma_f64 v[1:2], v[9:10], v[11:12], v[1:2]
	s_and_not1_b32 exec_lo, exec_lo, s2
	s_cbranch_execnz .LBB48_511
; %bb.512:
	s_or_b32 exec_lo, exec_lo, s2
.LBB48_513:
	s_delay_alu instid0(SALU_CYCLE_1)
	s_or_b32 exec_lo, exec_lo, s1
	v_mov_b32_e32 v6, 0
	ds_load_b64 v[6:7], v6 offset:32
	s_waitcnt lgkmcnt(0)
	v_mul_f64 v[1:2], v[1:2], v[6:7]
	scratch_store_b64 off, v[1:2], off offset:32
.LBB48_514:
	s_or_b32 exec_lo, exec_lo, s0
	scratch_load_b64 v[1:2], off, off offset:40
	s_mov_b32 s0, exec_lo
	s_waitcnt vmcnt(0)
	ds_store_b64 v3, v[1:2]
	s_waitcnt lgkmcnt(0)
	s_waitcnt_vscnt null, 0x0
	s_barrier
	buffer_gl0_inv
	v_cmpx_gt_u32_e32 5, v0
	s_cbranch_execz .LBB48_524
; %bb.515:
	v_cmp_ne_u32_e32 vcc_lo, 1, v5
	s_cbranch_vccnz .LBB48_517
; %bb.516:
	scratch_load_b64 v[1:2], v4, off
	ds_load_b64 v[6:7], v3
	s_waitcnt vmcnt(0) lgkmcnt(0)
	v_mul_f64 v[1:2], v[1:2], v[6:7]
	s_cbranch_execz .LBB48_518
	s_branch .LBB48_519
.LBB48_517:
                                        ; implicit-def: $vgpr1_vgpr2
.LBB48_518:
	ds_load_b64 v[1:2], v3
.LBB48_519:
	s_mov_b32 s1, exec_lo
	v_cmpx_ne_u32_e32 4, v0
	s_cbranch_execz .LBB48_523
; %bb.520:
	v_add_nc_u32_e32 v6, 0x198, v111
	v_add3_u32 v7, 0, v111, 8
	v_mov_b32_e32 v8, v0
	s_mov_b32 s2, 0
.LBB48_521:                             ; =>This Inner Loop Header: Depth=1
	scratch_load_b64 v[9:10], v7, off
	ds_load_b64 v[11:12], v6
	v_add_nc_u32_e32 v8, 1, v8
	v_add_nc_u32_e32 v6, 8, v6
	v_add_nc_u32_e32 v7, 8, v7
	s_delay_alu instid0(VALU_DEP_3)
	v_cmp_lt_u32_e32 vcc_lo, 3, v8
	s_or_b32 s2, vcc_lo, s2
	s_waitcnt vmcnt(0) lgkmcnt(0)
	v_fma_f64 v[1:2], v[9:10], v[11:12], v[1:2]
	s_and_not1_b32 exec_lo, exec_lo, s2
	s_cbranch_execnz .LBB48_521
; %bb.522:
	s_or_b32 exec_lo, exec_lo, s2
.LBB48_523:
	s_delay_alu instid0(SALU_CYCLE_1)
	s_or_b32 exec_lo, exec_lo, s1
	v_mov_b32_e32 v6, 0
	ds_load_b64 v[6:7], v6 offset:40
	s_waitcnt lgkmcnt(0)
	v_mul_f64 v[1:2], v[1:2], v[6:7]
	scratch_store_b64 off, v[1:2], off offset:40
.LBB48_524:
	;; [unrolled: 58-line block ×43, first 2 shown]
	s_or_b32 exec_lo, exec_lo, s0
	scratch_load_b64 v[1:2], off, off offset:376
	v_cmp_gt_u32_e64 s0, 47, v0
	s_waitcnt vmcnt(0)
	ds_store_b64 v3, v[1:2]
	s_waitcnt lgkmcnt(0)
	s_waitcnt_vscnt null, 0x0
	s_barrier
	buffer_gl0_inv
	s_and_saveexec_b32 s1, s0
	s_cbranch_execz .LBB48_944
; %bb.935:
	v_cmp_ne_u32_e32 vcc_lo, 1, v5
	s_cbranch_vccnz .LBB48_937
; %bb.936:
	scratch_load_b64 v[1:2], v4, off
	ds_load_b64 v[6:7], v3
	s_waitcnt vmcnt(0) lgkmcnt(0)
	v_mul_f64 v[1:2], v[1:2], v[6:7]
	s_cbranch_execz .LBB48_938
	s_branch .LBB48_939
.LBB48_937:
                                        ; implicit-def: $vgpr1_vgpr2
.LBB48_938:
	ds_load_b64 v[1:2], v3
.LBB48_939:
	s_mov_b32 s2, exec_lo
	v_cmpx_ne_u32_e32 46, v0
	s_cbranch_execz .LBB48_943
; %bb.940:
	v_add_nc_u32_e32 v6, 0x198, v111
	v_add3_u32 v7, 0, v111, 8
	v_mov_b32_e32 v8, v0
	s_mov_b32 s3, 0
.LBB48_941:                             ; =>This Inner Loop Header: Depth=1
	scratch_load_b64 v[9:10], v7, off
	ds_load_b64 v[11:12], v6
	v_add_nc_u32_e32 v8, 1, v8
	v_add_nc_u32_e32 v6, 8, v6
	;; [unrolled: 1-line block ×3, first 2 shown]
	s_delay_alu instid0(VALU_DEP_3)
	v_cmp_lt_u32_e32 vcc_lo, 45, v8
	s_or_b32 s3, vcc_lo, s3
	s_waitcnt vmcnt(0) lgkmcnt(0)
	v_fma_f64 v[1:2], v[9:10], v[11:12], v[1:2]
	s_and_not1_b32 exec_lo, exec_lo, s3
	s_cbranch_execnz .LBB48_941
; %bb.942:
	s_or_b32 exec_lo, exec_lo, s3
.LBB48_943:
	s_delay_alu instid0(SALU_CYCLE_1)
	s_or_b32 exec_lo, exec_lo, s2
	v_mov_b32_e32 v6, 0
	ds_load_b64 v[6:7], v6 offset:376
	s_waitcnt lgkmcnt(0)
	v_mul_f64 v[1:2], v[1:2], v[6:7]
	scratch_store_b64 off, v[1:2], off offset:376
.LBB48_944:
	s_or_b32 exec_lo, exec_lo, s1
	scratch_load_b64 v[1:2], off, off offset:384
	s_mov_b32 s1, exec_lo
	s_waitcnt vmcnt(0)
	ds_store_b64 v3, v[1:2]
	s_waitcnt lgkmcnt(0)
	s_waitcnt_vscnt null, 0x0
	s_barrier
	buffer_gl0_inv
	v_cmpx_ne_u32_e32 48, v0
	s_cbranch_execz .LBB48_954
; %bb.945:
	v_cmp_ne_u32_e32 vcc_lo, 1, v5
	s_cbranch_vccnz .LBB48_947
; %bb.946:
	scratch_load_b64 v[1:2], v4, off
	ds_load_b64 v[4:5], v3
	s_waitcnt vmcnt(0) lgkmcnt(0)
	v_mul_f64 v[1:2], v[1:2], v[4:5]
	s_cbranch_execz .LBB48_948
	s_branch .LBB48_949
.LBB48_947:
                                        ; implicit-def: $vgpr1_vgpr2
.LBB48_948:
	ds_load_b64 v[1:2], v3
.LBB48_949:
	s_and_saveexec_b32 s2, s0
	s_cbranch_execz .LBB48_953
; %bb.950:
	v_add_nc_u32_e32 v3, 0x198, v111
	v_add3_u32 v4, 0, v111, 8
	s_mov_b32 s0, 0
.LBB48_951:                             ; =>This Inner Loop Header: Depth=1
	scratch_load_b64 v[5:6], v4, off
	ds_load_b64 v[7:8], v3
	v_add_nc_u32_e32 v0, 1, v0
	v_add_nc_u32_e32 v3, 8, v3
	;; [unrolled: 1-line block ×3, first 2 shown]
	s_delay_alu instid0(VALU_DEP_3)
	v_cmp_lt_u32_e32 vcc_lo, 46, v0
	s_or_b32 s0, vcc_lo, s0
	s_waitcnt vmcnt(0) lgkmcnt(0)
	v_fma_f64 v[1:2], v[5:6], v[7:8], v[1:2]
	s_and_not1_b32 exec_lo, exec_lo, s0
	s_cbranch_execnz .LBB48_951
; %bb.952:
	s_or_b32 exec_lo, exec_lo, s0
.LBB48_953:
	s_delay_alu instid0(SALU_CYCLE_1)
	s_or_b32 exec_lo, exec_lo, s2
	v_mov_b32_e32 v0, 0
	ds_load_b64 v[3:4], v0 offset:384
	s_waitcnt lgkmcnt(0)
	v_mul_f64 v[0:1], v[1:2], v[3:4]
	scratch_store_b64 off, v[0:1], off offset:384
.LBB48_954:
	s_or_b32 exec_lo, exec_lo, s1
.LBB48_955:
	s_clause 0xb
	scratch_load_b128 v[0:3], off, off
	scratch_load_b128 v[4:7], off, off offset:16
	scratch_load_b128 v[8:11], off, off offset:32
	;; [unrolled: 1-line block ×11, first 2 shown]
	s_waitcnt vmcnt(11)
	s_clause 0x1
	global_store_b64 v[15:16], v[0:1], off
	global_store_b64 v[19:20], v[2:3], off
	scratch_load_b128 v[0:3], off, off offset:176
	s_waitcnt vmcnt(11)
	s_clause 0x1
	global_store_b64 v[13:14], v[4:5], off
	global_store_b64 v[17:18], v[6:7], off
	s_waitcnt vmcnt(10)
	s_clause 0x1
	global_store_b64 v[21:22], v[8:9], off
	global_store_b64 v[23:24], v[10:11], off
	;; [unrolled: 4-line block ×6, first 2 shown]
	s_clause 0xb
	scratch_load_b128 v[12:15], off, off offset:192
	scratch_load_b128 v[4:7], off, off offset:208
	scratch_load_b128 v[16:19], off, off offset:224
	scratch_load_b128 v[8:11], off, off offset:240
	scratch_load_b128 v[20:23], off, off offset:256
	scratch_load_b128 v[24:27], off, off offset:272
	scratch_load_b128 v[111:114], off, off offset:288
	scratch_load_b128 v[28:31], off, off offset:304
	scratch_load_b128 v[115:118], off, off offset:320
	scratch_load_b128 v[119:122], off, off offset:336
	scratch_load_b128 v[41:44], off, off offset:368
	scratch_load_b64 v[47:48], off, off offset:384
	s_waitcnt vmcnt(17)
	s_clause 0x1
	global_store_b64 v[33:34], v[127:128], off
	global_store_b64 v[35:36], v[129:130], off
	s_waitcnt vmcnt(16)
	s_clause 0x1
	global_store_b64 v[37:38], v[131:132], off
	global_store_b64 v[39:40], v[133:134], off
	s_waitcnt vmcnt(15)
	s_clause 0x1
	global_store_b64 v[45:46], v[135:136], off
	global_store_b64 v[49:50], v[137:138], off
	s_waitcnt vmcnt(14)
	s_clause 0x1
	global_store_b64 v[51:52], v[139:140], off
	global_store_b64 v[55:56], v[141:142], off
	s_waitcnt vmcnt(12)
	s_clause 0x1
	global_store_b64 v[57:58], v[0:1], off
	global_store_b64 v[59:60], v[2:3], off
	s_waitcnt vmcnt(11)
	s_clause 0x1
	global_store_b64 v[61:62], v[12:13], off
	global_store_b64 v[63:64], v[14:15], off
	s_waitcnt vmcnt(10)
	s_clause 0x1
	global_store_b64 v[65:66], v[4:5], off
	global_store_b64 v[67:68], v[6:7], off
	s_waitcnt vmcnt(9)
	s_clause 0x1
	global_store_b64 v[69:70], v[16:17], off
	global_store_b64 v[71:72], v[18:19], off
	s_waitcnt vmcnt(8)
	s_clause 0x1
	global_store_b64 v[73:74], v[8:9], off
	global_store_b64 v[75:76], v[10:11], off
	s_waitcnt vmcnt(7)
	s_clause 0x1
	global_store_b64 v[77:78], v[20:21], off
	global_store_b64 v[79:80], v[22:23], off
	s_waitcnt vmcnt(6)
	s_clause 0x1
	global_store_b64 v[81:82], v[24:25], off
	global_store_b64 v[83:84], v[26:27], off
	s_waitcnt vmcnt(5)
	s_clause 0x1
	global_store_b64 v[85:86], v[111:112], off
	global_store_b64 v[87:88], v[113:114], off
	s_waitcnt vmcnt(4)
	s_clause 0x1
	global_store_b64 v[89:90], v[28:29], off
	global_store_b64 v[91:92], v[30:31], off
	s_waitcnt vmcnt(3)
	s_clause 0x1
	global_store_b64 v[93:94], v[115:116], off
	global_store_b64 v[95:96], v[117:118], off
	s_waitcnt vmcnt(2)
	s_clause 0x3
	global_store_b64 v[97:98], v[119:120], off
	global_store_b64 v[99:100], v[121:122], off
	global_store_b64 v[101:102], v[143:144], off
	global_store_b64 v[103:104], v[145:146], off
	s_waitcnt vmcnt(1)
	s_clause 0x1
	global_store_b64 v[105:106], v[41:42], off
	global_store_b64 v[107:108], v[43:44], off
	s_waitcnt vmcnt(0)
	global_store_b64 v[109:110], v[47:48], off
.LBB48_956:
	s_endpgm
	.section	.rodata,"a",@progbits
	.p2align	6, 0x0
	.amdhsa_kernel _ZN9rocsolver6v33100L18trti2_kernel_smallILi49EdPdEEv13rocblas_fill_17rocblas_diagonal_T1_iil
		.amdhsa_group_segment_fixed_size 792
		.amdhsa_private_segment_fixed_size 400
		.amdhsa_kernarg_size 32
		.amdhsa_user_sgpr_count 15
		.amdhsa_user_sgpr_dispatch_ptr 0
		.amdhsa_user_sgpr_queue_ptr 0
		.amdhsa_user_sgpr_kernarg_segment_ptr 1
		.amdhsa_user_sgpr_dispatch_id 0
		.amdhsa_user_sgpr_private_segment_size 0
		.amdhsa_wavefront_size32 1
		.amdhsa_uses_dynamic_stack 0
		.amdhsa_enable_private_segment 1
		.amdhsa_system_sgpr_workgroup_id_x 1
		.amdhsa_system_sgpr_workgroup_id_y 0
		.amdhsa_system_sgpr_workgroup_id_z 0
		.amdhsa_system_sgpr_workgroup_info 0
		.amdhsa_system_vgpr_workitem_id 0
		.amdhsa_next_free_vgpr 147
		.amdhsa_next_free_sgpr 22
		.amdhsa_reserve_vcc 1
		.amdhsa_float_round_mode_32 0
		.amdhsa_float_round_mode_16_64 0
		.amdhsa_float_denorm_mode_32 3
		.amdhsa_float_denorm_mode_16_64 3
		.amdhsa_dx10_clamp 1
		.amdhsa_ieee_mode 1
		.amdhsa_fp16_overflow 0
		.amdhsa_workgroup_processor_mode 1
		.amdhsa_memory_ordered 1
		.amdhsa_forward_progress 0
		.amdhsa_shared_vgpr_count 0
		.amdhsa_exception_fp_ieee_invalid_op 0
		.amdhsa_exception_fp_denorm_src 0
		.amdhsa_exception_fp_ieee_div_zero 0
		.amdhsa_exception_fp_ieee_overflow 0
		.amdhsa_exception_fp_ieee_underflow 0
		.amdhsa_exception_fp_ieee_inexact 0
		.amdhsa_exception_int_div_zero 0
	.end_amdhsa_kernel
	.section	.text._ZN9rocsolver6v33100L18trti2_kernel_smallILi49EdPdEEv13rocblas_fill_17rocblas_diagonal_T1_iil,"axG",@progbits,_ZN9rocsolver6v33100L18trti2_kernel_smallILi49EdPdEEv13rocblas_fill_17rocblas_diagonal_T1_iil,comdat
.Lfunc_end48:
	.size	_ZN9rocsolver6v33100L18trti2_kernel_smallILi49EdPdEEv13rocblas_fill_17rocblas_diagonal_T1_iil, .Lfunc_end48-_ZN9rocsolver6v33100L18trti2_kernel_smallILi49EdPdEEv13rocblas_fill_17rocblas_diagonal_T1_iil
                                        ; -- End function
	.section	.AMDGPU.csdata,"",@progbits
; Kernel info:
; codeLenInByte = 26776
; NumSgprs: 24
; NumVgprs: 147
; ScratchSize: 400
; MemoryBound: 0
; FloatMode: 240
; IeeeMode: 1
; LDSByteSize: 792 bytes/workgroup (compile time only)
; SGPRBlocks: 2
; VGPRBlocks: 18
; NumSGPRsForWavesPerEU: 24
; NumVGPRsForWavesPerEU: 147
; Occupancy: 9
; WaveLimiterHint : 0
; COMPUTE_PGM_RSRC2:SCRATCH_EN: 1
; COMPUTE_PGM_RSRC2:USER_SGPR: 15
; COMPUTE_PGM_RSRC2:TRAP_HANDLER: 0
; COMPUTE_PGM_RSRC2:TGID_X_EN: 1
; COMPUTE_PGM_RSRC2:TGID_Y_EN: 0
; COMPUTE_PGM_RSRC2:TGID_Z_EN: 0
; COMPUTE_PGM_RSRC2:TIDIG_COMP_CNT: 0
	.section	.text._ZN9rocsolver6v33100L18trti2_kernel_smallILi50EdPdEEv13rocblas_fill_17rocblas_diagonal_T1_iil,"axG",@progbits,_ZN9rocsolver6v33100L18trti2_kernel_smallILi50EdPdEEv13rocblas_fill_17rocblas_diagonal_T1_iil,comdat
	.globl	_ZN9rocsolver6v33100L18trti2_kernel_smallILi50EdPdEEv13rocblas_fill_17rocblas_diagonal_T1_iil ; -- Begin function _ZN9rocsolver6v33100L18trti2_kernel_smallILi50EdPdEEv13rocblas_fill_17rocblas_diagonal_T1_iil
	.p2align	8
	.type	_ZN9rocsolver6v33100L18trti2_kernel_smallILi50EdPdEEv13rocblas_fill_17rocblas_diagonal_T1_iil,@function
_ZN9rocsolver6v33100L18trti2_kernel_smallILi50EdPdEEv13rocblas_fill_17rocblas_diagonal_T1_iil: ; @_ZN9rocsolver6v33100L18trti2_kernel_smallILi50EdPdEEv13rocblas_fill_17rocblas_diagonal_T1_iil
; %bb.0:
	s_mov_b32 s2, exec_lo
	v_cmpx_gt_u32_e32 50, v0
	s_cbranch_execz .LBB49_976
; %bb.1:
	s_load_b256 s[0:7], s[0:1], 0x0
	s_ashr_i32 s8, s15, 31
	v_lshlrev_b32_e32 v103, 3, v0
	s_waitcnt lgkmcnt(0)
	s_mul_i32 s7, s15, s7
	s_mul_hi_u32 s10, s15, s6
	v_add3_u32 v1, s5, s5, v0
	s_ashr_i32 s9, s4, 31
	s_mul_i32 s11, s8, s6
	s_mov_b32 s8, s4
	s_add_i32 s4, s10, s7
	s_mul_i32 s6, s15, s6
	s_add_i32 s7, s4, s11
	v_add_nc_u32_e32 v3, s5, v1
	s_lshl_b64 s[6:7], s[6:7], 3
	v_ashrrev_i32_e32 v2, 31, v1
	s_add_u32 s4, s2, s6
	s_addc_u32 s6, s3, s7
	s_lshl_b64 s[2:3], s[8:9], 3
	v_add_nc_u32_e32 v5, s5, v3
	s_add_u32 s2, s4, s2
	s_addc_u32 s3, s6, s3
	v_add_co_u32 v31, s4, s2, v103
	s_mov_b32 s10, s5
	s_ashr_i32 s11, s5, 31
	v_ashrrev_i32_e32 v4, 31, v3
	v_lshlrev_b64 v[1:2], 3, v[1:2]
	v_add_co_ci_u32_e64 v32, null, s3, 0, s4
	s_lshl_b64 s[6:7], s[10:11], 3
	v_add_nc_u32_e32 v7, s5, v5
	v_add_co_u32 v33, vcc_lo, v31, s6
	s_delay_alu instid0(VALU_DEP_3)
	v_add_co_ci_u32_e32 v34, vcc_lo, s7, v32, vcc_lo
	v_lshlrev_b64 v[3:4], 3, v[3:4]
	v_ashrrev_i32_e32 v6, 31, v5
	v_add_co_u32 v23, vcc_lo, s2, v1
	v_add_nc_u32_e32 v1, s5, v7
	v_add_co_ci_u32_e32 v24, vcc_lo, s3, v2, vcc_lo
	s_delay_alu instid0(VALU_DEP_4) | instskip(SKIP_4) | instid1(VALU_DEP_4)
	v_lshlrev_b64 v[5:6], 3, v[5:6]
	v_ashrrev_i32_e32 v8, 31, v7
	v_add_co_u32 v29, vcc_lo, s2, v3
	v_add_nc_u32_e32 v3, s5, v1
	v_add_co_ci_u32_e32 v30, vcc_lo, s3, v4, vcc_lo
	v_lshlrev_b64 v[7:8], 3, v[7:8]
	v_ashrrev_i32_e32 v2, 31, v1
	v_add_co_u32 v19, vcc_lo, s2, v5
	v_add_nc_u32_e32 v5, s5, v3
	v_add_co_ci_u32_e32 v20, vcc_lo, s3, v6, vcc_lo
	s_delay_alu instid0(VALU_DEP_4)
	v_lshlrev_b64 v[1:2], 3, v[1:2]
	v_ashrrev_i32_e32 v4, 31, v3
	v_add_co_u32 v25, vcc_lo, s2, v7
	v_add_nc_u32_e32 v7, s5, v5
	s_clause 0x1
	global_load_b64 v[39:40], v103, s[2:3]
	global_load_b64 v[41:42], v[33:34], off
	v_add_co_ci_u32_e32 v26, vcc_lo, s3, v8, vcc_lo
	v_lshlrev_b64 v[3:4], 3, v[3:4]
	v_ashrrev_i32_e32 v6, 31, v5
	v_add_co_u32 v17, vcc_lo, s2, v1
	v_add_nc_u32_e32 v1, s5, v7
	v_add_co_ci_u32_e32 v18, vcc_lo, s3, v2, vcc_lo
	s_delay_alu instid0(VALU_DEP_4) | instskip(SKIP_4) | instid1(VALU_DEP_4)
	v_lshlrev_b64 v[5:6], 3, v[5:6]
	v_ashrrev_i32_e32 v8, 31, v7
	v_add_co_u32 v27, vcc_lo, s2, v3
	v_add_nc_u32_e32 v3, s5, v1
	v_add_co_ci_u32_e32 v28, vcc_lo, s3, v4, vcc_lo
	v_lshlrev_b64 v[7:8], 3, v[7:8]
	v_ashrrev_i32_e32 v2, 31, v1
	s_clause 0x2
	global_load_b64 v[47:48], v[23:24], off
	global_load_b64 v[49:50], v[29:30], off
	;; [unrolled: 1-line block ×3, first 2 shown]
	v_add_co_u32 v11, vcc_lo, s2, v5
	v_add_nc_u32_e32 v5, s5, v3
	global_load_b64 v[53:54], v[25:26], off
	v_ashrrev_i32_e32 v4, 31, v3
	v_add_co_ci_u32_e32 v12, vcc_lo, s3, v6, vcc_lo
	v_lshlrev_b64 v[1:2], 3, v[1:2]
	v_add_co_u32 v15, vcc_lo, s2, v7
	v_add_nc_u32_e32 v7, s5, v5
	v_add_co_ci_u32_e32 v16, vcc_lo, s3, v8, vcc_lo
	v_lshlrev_b64 v[3:4], 3, v[3:4]
	v_ashrrev_i32_e32 v6, 31, v5
	s_clause 0x3
	global_load_b64 v[55:56], v[17:18], off
	global_load_b64 v[57:58], v[27:28], off
	;; [unrolled: 1-line block ×4, first 2 shown]
	v_add_co_u32 v13, vcc_lo, s2, v1
	v_ashrrev_i32_e32 v8, 31, v7
	v_add_co_ci_u32_e32 v14, vcc_lo, s3, v2, vcc_lo
	v_lshlrev_b64 v[1:2], 3, v[5:6]
	v_add_nc_u32_e32 v5, s5, v7
	v_add_co_u32 v21, vcc_lo, s2, v3
	v_add_co_ci_u32_e32 v22, vcc_lo, s3, v4, vcc_lo
	v_lshlrev_b64 v[3:4], 3, v[7:8]
	s_delay_alu instid0(VALU_DEP_4)
	v_add_nc_u32_e32 v9, s5, v5
	v_add_co_u32 v1, vcc_lo, s2, v1
	v_ashrrev_i32_e32 v6, 31, v5
	v_add_co_ci_u32_e32 v2, vcc_lo, s3, v2, vcc_lo
	v_add_co_u32 v3, vcc_lo, s2, v3
	v_ashrrev_i32_e32 v10, 31, v9
	v_add_co_ci_u32_e32 v4, vcc_lo, s3, v4, vcc_lo
	v_lshlrev_b64 v[5:6], 3, v[5:6]
	s_clause 0x3
	global_load_b64 v[63:64], v[13:14], off
	global_load_b64 v[65:66], v[21:22], off
	;; [unrolled: 1-line block ×4, first 2 shown]
	v_lshlrev_b64 v[7:8], 3, v[9:10]
	v_add_nc_u32_e32 v9, s5, v9
	s_cmpk_lg_i32 s1, 0x84
	v_add_co_u32 v5, vcc_lo, s2, v5
	v_add_co_ci_u32_e32 v6, vcc_lo, s3, v6, vcc_lo
	s_delay_alu instid0(VALU_DEP_4)
	v_add_co_u32 v7, vcc_lo, s2, v7
	v_add_co_ci_u32_e32 v8, vcc_lo, s3, v8, vcc_lo
	s_clause 0x1
	global_load_b64 v[71:72], v[5:6], off
	global_load_b64 v[73:74], v[7:8], off
	v_add_nc_u32_e32 v35, s5, v9
	v_ashrrev_i32_e32 v10, 31, v9
	s_delay_alu instid0(VALU_DEP_2) | instskip(NEXT) | instid1(VALU_DEP_2)
	v_add_nc_u32_e32 v37, s5, v35
	v_lshlrev_b64 v[9:10], 3, v[9:10]
	v_ashrrev_i32_e32 v36, 31, v35
	s_delay_alu instid0(VALU_DEP_3) | instskip(SKIP_1) | instid1(VALU_DEP_3)
	v_add_nc_u32_e32 v43, s5, v37
	v_ashrrev_i32_e32 v38, 31, v37
	v_lshlrev_b64 v[77:78], 3, v[35:36]
	v_add_co_u32 v35, vcc_lo, s2, v9
	s_delay_alu instid0(VALU_DEP_4) | instskip(SKIP_3) | instid1(VALU_DEP_4)
	v_add_nc_u32_e32 v45, s5, v43
	v_ashrrev_i32_e32 v44, 31, v43
	v_add_co_ci_u32_e32 v36, vcc_lo, s3, v10, vcc_lo
	v_lshlrev_b64 v[82:83], 3, v[37:38]
	v_add_nc_u32_e32 v79, s5, v45
	v_ashrrev_i32_e32 v46, 31, v45
	s_delay_alu instid0(VALU_DEP_2) | instskip(SKIP_1) | instid1(VALU_DEP_2)
	v_add_nc_u32_e32 v81, s5, v79
	v_ashrrev_i32_e32 v80, 31, v79
	v_add_nc_u32_e32 v87, s5, v81
	s_delay_alu instid0(VALU_DEP_1) | instskip(SKIP_1) | instid1(VALU_DEP_2)
	v_add_nc_u32_e32 v89, s5, v87
	v_ashrrev_i32_e32 v88, 31, v87
	v_add_nc_u32_e32 v91, s5, v89
	v_ashrrev_i32_e32 v90, 31, v89
	s_delay_alu instid0(VALU_DEP_2) | instskip(NEXT) | instid1(VALU_DEP_1)
	v_add_nc_u32_e32 v95, s5, v91
	v_add_nc_u32_e32 v97, s5, v95
	v_ashrrev_i32_e32 v96, 31, v95
	s_delay_alu instid0(VALU_DEP_2) | instskip(SKIP_1) | instid1(VALU_DEP_2)
	v_add_nc_u32_e32 v99, s5, v97
	v_ashrrev_i32_e32 v98, 31, v97
	v_add_nc_u32_e32 v101, s5, v99
	v_ashrrev_i32_e32 v100, 31, v99
	s_delay_alu instid0(VALU_DEP_2) | instskip(SKIP_1) | instid1(VALU_DEP_2)
	v_add_nc_u32_e32 v104, s5, v101
	v_ashrrev_i32_e32 v102, 31, v101
	;; [unrolled: 5-line block ×11, first 2 shown]
	v_add_nc_u32_e32 v75, s5, v144
	v_ashrrev_i32_e32 v145, 31, v144
	s_delay_alu instid0(VALU_DEP_2) | instskip(NEXT) | instid1(VALU_DEP_1)
	v_ashrrev_i32_e32 v76, 31, v75
	v_lshlrev_b64 v[75:76], 3, v[75:76]
	s_delay_alu instid0(VALU_DEP_1) | instskip(NEXT) | instid1(VALU_DEP_2)
	v_add_co_u32 v9, vcc_lo, s2, v75
	v_add_co_ci_u32_e32 v10, vcc_lo, s3, v76, vcc_lo
	v_add_co_u32 v37, vcc_lo, s2, v77
	v_add_co_ci_u32_e32 v38, vcc_lo, s3, v78, vcc_lo
	s_clause 0x2
	global_load_b64 v[106:107], v[9:10], off
	global_load_b64 v[75:76], v[35:36], off
	;; [unrolled: 1-line block ×3, first 2 shown]
	s_waitcnt vmcnt(17)
	scratch_store_b128 off, v[39:42], off
	v_lshlrev_b64 v[41:42], 3, v[43:44]
	v_add_co_u32 v39, vcc_lo, s2, v82
	v_lshlrev_b64 v[43:44], 3, v[45:46]
	v_ashrrev_i32_e32 v82, 31, v81
	v_add_co_ci_u32_e32 v40, vcc_lo, s3, v83, vcc_lo
	v_add_co_u32 v41, vcc_lo, s2, v41
	v_lshlrev_b64 v[45:46], 3, v[79:80]
	v_add_co_ci_u32_e32 v42, vcc_lo, s3, v42, vcc_lo
	v_add_co_u32 v43, vcc_lo, s2, v43
	v_lshlrev_b64 v[92:93], 3, v[81:82]
	v_add_co_ci_u32_e32 v44, vcc_lo, s3, v44, vcc_lo
	v_add_co_u32 v45, vcc_lo, s2, v45
	v_add_co_ci_u32_e32 v46, vcc_lo, s3, v46, vcc_lo
	s_waitcnt vmcnt(15)
	scratch_store_b128 off, v[47:50], off offset:16
	s_waitcnt vmcnt(13)
	scratch_store_b128 off, v[51:54], off offset:32
	v_lshlrev_b64 v[49:50], 3, v[87:88]
	v_add_co_u32 v47, vcc_lo, s2, v92
	v_ashrrev_i32_e32 v92, 31, v91
	v_lshlrev_b64 v[51:52], 3, v[89:90]
	s_clause 0x3
	global_load_b64 v[79:80], v[39:40], off
	global_load_b64 v[81:82], v[41:42], off
	;; [unrolled: 1-line block ×4, first 2 shown]
	v_add_co_ci_u32_e32 v48, vcc_lo, s3, v93, vcc_lo
	v_add_co_u32 v49, vcc_lo, s2, v49
	v_lshlrev_b64 v[53:54], 3, v[91:92]
	v_add_co_ci_u32_e32 v50, vcc_lo, s3, v50, vcc_lo
	v_add_co_u32 v51, vcc_lo, s2, v51
	s_waitcnt vmcnt(15)
	scratch_store_b128 off, v[55:58], off offset:48
	s_waitcnt vmcnt(13)
	scratch_store_b128 off, v[59:62], off offset:64
	v_lshlrev_b64 v[55:56], 3, v[95:96]
	v_add_co_ci_u32_e32 v52, vcc_lo, s3, v52, vcc_lo
	v_add_co_u32 v53, vcc_lo, s2, v53
	v_lshlrev_b64 v[57:58], 3, v[97:98]
	v_add_co_ci_u32_e32 v54, vcc_lo, s3, v54, vcc_lo
	v_add_co_u32 v55, vcc_lo, s2, v55
	v_lshlrev_b64 v[59:60], 3, v[99:100]
	s_clause 0x3
	global_load_b64 v[87:88], v[47:48], off
	global_load_b64 v[89:90], v[49:50], off
	;; [unrolled: 1-line block ×4, first 2 shown]
	v_add_co_ci_u32_e32 v56, vcc_lo, s3, v56, vcc_lo
	v_add_co_u32 v57, vcc_lo, s2, v57
	v_lshlrev_b64 v[61:62], 3, v[101:102]
	v_add_co_ci_u32_e32 v58, vcc_lo, s3, v58, vcc_lo
	v_add_co_u32 v59, vcc_lo, s2, v59
	v_add_co_ci_u32_e32 v60, vcc_lo, s3, v60, vcc_lo
	s_delay_alu instid0(VALU_DEP_4)
	v_add_co_u32 v61, vcc_lo, s2, v61
	s_waitcnt vmcnt(15)
	scratch_store_b128 off, v[63:66], off offset:80
	s_waitcnt vmcnt(13)
	scratch_store_b128 off, v[67:70], off offset:96
	v_lshlrev_b64 v[63:64], 3, v[104:105]
	v_add_co_ci_u32_e32 v62, vcc_lo, s3, v62, vcc_lo
	s_clause 0x3
	global_load_b64 v[95:96], v[55:56], off
	global_load_b64 v[97:98], v[57:58], off
	;; [unrolled: 1-line block ×4, first 2 shown]
	v_lshlrev_b64 v[65:66], 3, v[108:109]
	v_lshlrev_b64 v[67:68], 3, v[112:113]
	v_add_co_u32 v63, vcc_lo, s2, v63
	v_add_co_ci_u32_e32 v64, vcc_lo, s3, v64, vcc_lo
	s_delay_alu instid0(VALU_DEP_4)
	v_add_co_u32 v65, vcc_lo, s2, v65
	v_add_co_ci_u32_e32 v66, vcc_lo, s3, v66, vcc_lo
	s_waitcnt vmcnt(15)
	scratch_store_b128 off, v[71:74], off offset:112
	s_clause 0x1
	global_load_b64 v[108:109], v[63:64], off
	global_load_b64 v[110:111], v[65:66], off
	v_lshlrev_b64 v[69:70], 3, v[114:115]
	v_add_co_u32 v67, vcc_lo, s2, v67
	v_lshlrev_b64 v[71:72], 3, v[116:117]
	v_add_co_ci_u32_e32 v68, vcc_lo, s3, v68, vcc_lo
	s_delay_alu instid0(VALU_DEP_4) | instskip(SKIP_4) | instid1(VALU_DEP_4)
	v_add_co_u32 v69, vcc_lo, s2, v69
	v_lshlrev_b64 v[73:74], 3, v[118:119]
	v_add_co_ci_u32_e32 v70, vcc_lo, s3, v70, vcc_lo
	v_add_co_u32 v71, vcc_lo, s2, v71
	v_add_co_ci_u32_e32 v72, vcc_lo, s3, v72, vcc_lo
	v_add_co_u32 v73, vcc_lo, s2, v73
	v_add_co_ci_u32_e32 v74, vcc_lo, s3, v74, vcc_lo
	v_lshlrev_b64 v[104:105], 3, v[124:125]
	global_load_b64 v[112:113], v[67:68], off
	s_waitcnt vmcnt(15)
	scratch_store_b128 off, v[75:78], off offset:128
	v_lshlrev_b64 v[75:76], 3, v[120:121]
	v_lshlrev_b64 v[77:78], 3, v[122:123]
	s_waitcnt vmcnt(13)
	scratch_store_b128 off, v[79:82], off offset:144
	s_waitcnt vmcnt(11)
	scratch_store_b128 off, v[83:86], off offset:160
	v_add_co_u32 v75, vcc_lo, s2, v75
	v_add_co_ci_u32_e32 v76, vcc_lo, s3, v76, vcc_lo
	v_add_co_u32 v77, vcc_lo, s2, v77
	v_lshlrev_b64 v[81:82], 3, v[126:127]
	v_add_co_ci_u32_e32 v78, vcc_lo, s3, v78, vcc_lo
	v_add_co_u32 v79, vcc_lo, s2, v104
	v_lshlrev_b64 v[83:84], 3, v[128:129]
	;; [unrolled: 3-line block ×4, first 2 shown]
	v_add_co_ci_u32_e32 v84, vcc_lo, s3, v84, vcc_lo
	s_clause 0x3
	global_load_b64 v[114:115], v[69:70], off
	global_load_b64 v[116:117], v[71:72], off
	;; [unrolled: 1-line block ×4, first 2 shown]
	s_waitcnt vmcnt(13)
	scratch_store_b128 off, v[87:90], off offset:176
	s_waitcnt vmcnt(11)
	scratch_store_b128 off, v[91:94], off offset:192
	v_add_co_u32 v85, vcc_lo, s2, v85
	v_lshlrev_b64 v[89:90], 3, v[134:135]
	v_add_co_ci_u32_e32 v86, vcc_lo, s3, v86, vcc_lo
	v_add_co_u32 v87, vcc_lo, s2, v104
	v_lshlrev_b64 v[91:92], 3, v[136:137]
	v_add_co_ci_u32_e32 v88, vcc_lo, s3, v105, vcc_lo
	;; [unrolled: 3-line block ×4, first 2 shown]
	s_clause 0x3
	global_load_b64 v[122:123], v[77:78], off
	global_load_b64 v[124:125], v[79:80], off
	;; [unrolled: 1-line block ×4, first 2 shown]
	s_waitcnt vmcnt(13)
	scratch_store_b128 off, v[95:98], off offset:208
	s_waitcnt vmcnt(11)
	scratch_store_b128 off, v[99:102], off offset:224
	v_add_co_u32 v93, vcc_lo, s2, v93
	v_lshlrev_b64 v[95:96], 3, v[142:143]
	v_add_co_ci_u32_e32 v94, vcc_lo, s3, v94, vcc_lo
	v_add_co_u32 v97, vcc_lo, s2, v104
	v_lshlrev_b64 v[101:102], 3, v[144:145]
	v_add_co_ci_u32_e32 v98, vcc_lo, s3, v105, vcc_lo
	v_add_co_u32 v99, vcc_lo, s2, v95
	v_add_co_ci_u32_e32 v100, vcc_lo, s3, v96, vcc_lo
	s_delay_alu instid0(VALU_DEP_4)
	v_add_co_u32 v95, vcc_lo, s2, v101
	v_add_co_ci_u32_e32 v96, vcc_lo, s3, v102, vcc_lo
	s_clause 0x3
	global_load_b64 v[130:131], v[85:86], off
	global_load_b64 v[132:133], v[87:88], off
	;; [unrolled: 1-line block ×4, first 2 shown]
	s_waitcnt vmcnt(13)
	scratch_store_b128 off, v[108:111], off offset:240
	s_clause 0x3
	global_load_b64 v[138:139], v[93:94], off
	global_load_b64 v[108:109], v[97:98], off
	;; [unrolled: 1-line block ×4, first 2 shown]
	v_mov_b32_e32 v101, 0
	v_mov_b32_e32 v102, 0xbff00000
	s_cselect_b32 s2, -1, 0
	s_cmpk_eq_i32 s1, 0x84
	s_waitcnt vmcnt(15)
	scratch_store_b128 off, v[112:115], off offset:256
	s_waitcnt vmcnt(13)
	scratch_store_b128 off, v[116:119], off offset:272
	s_waitcnt vmcnt(11)
	scratch_store_b128 off, v[120:123], off offset:288
	s_waitcnt vmcnt(9)
	scratch_store_b128 off, v[124:127], off offset:304
	s_waitcnt vmcnt(7)
	scratch_store_b128 off, v[128:131], off offset:320
	s_waitcnt vmcnt(5)
	scratch_store_b128 off, v[132:135], off offset:336
	s_waitcnt vmcnt(3)
	scratch_store_b128 off, v[136:139], off offset:352
	s_waitcnt vmcnt(1)
	scratch_store_b128 off, v[108:111], off offset:368
	s_waitcnt vmcnt(0)
	scratch_store_b128 off, v[104:107], off offset:384
	s_cbranch_scc1 .LBB49_3
; %bb.2:
	scratch_load_b64 v[101:102], v103, off
	s_waitcnt vmcnt(0)
	v_div_scale_f64 v[104:105], null, v[101:102], v[101:102], 1.0
	v_div_scale_f64 v[110:111], vcc_lo, 1.0, v[101:102], 1.0
	s_delay_alu instid0(VALU_DEP_2) | instskip(SKIP_2) | instid1(VALU_DEP_1)
	v_rcp_f64_e32 v[106:107], v[104:105]
	s_waitcnt_depctr 0xfff
	v_fma_f64 v[108:109], -v[104:105], v[106:107], 1.0
	v_fma_f64 v[106:107], v[106:107], v[108:109], v[106:107]
	s_delay_alu instid0(VALU_DEP_1) | instskip(NEXT) | instid1(VALU_DEP_1)
	v_fma_f64 v[108:109], -v[104:105], v[106:107], 1.0
	v_fma_f64 v[106:107], v[106:107], v[108:109], v[106:107]
	s_delay_alu instid0(VALU_DEP_1) | instskip(NEXT) | instid1(VALU_DEP_1)
	v_mul_f64 v[108:109], v[110:111], v[106:107]
	v_fma_f64 v[104:105], -v[104:105], v[108:109], v[110:111]
	s_delay_alu instid0(VALU_DEP_1) | instskip(NEXT) | instid1(VALU_DEP_1)
	v_div_fmas_f64 v[104:105], v[104:105], v[106:107], v[108:109]
	v_div_fixup_f64 v[101:102], v[104:105], v[101:102], 1.0
	scratch_store_b64 v103, v[101:102], off
	v_xor_b32_e32 v102, 0x80000000, v102
.LBB49_3:
	v_add_nc_u32_e32 v104, 0x190, v103
	v_add_nc_u32_e32 v105, 0, v103
	s_cmpk_eq_i32 s0, 0x79
	s_mov_b32 s0, -1
	ds_store_b64 v103, v[101:102]
	s_cbranch_scc1 .LBB49_489
; %bb.4:
	scratch_load_b64 v[101:102], off, off offset:384
	v_cmp_eq_u32_e64 s0, 49, v0
	s_movk_i32 s1, 0x50
	s_movk_i32 s3, 0x60
	;; [unrolled: 1-line block ×19, first 2 shown]
	s_waitcnt vmcnt(0)
	ds_store_b64 v104, v[101:102]
	s_waitcnt lgkmcnt(0)
	s_waitcnt_vscnt null, 0x0
	s_barrier
	buffer_gl0_inv
	s_and_saveexec_b32 s21, s0
	s_cbranch_execz .LBB49_10
; %bb.5:
	s_and_b32 vcc_lo, exec_lo, s2
	s_cbranch_vccz .LBB49_7
; %bb.6:
	scratch_load_b64 v[101:102], v105, off
	ds_load_b64 v[106:107], v104
	s_waitcnt vmcnt(0) lgkmcnt(0)
	v_mul_f64 v[101:102], v[101:102], v[106:107]
	s_cbranch_execz .LBB49_8
	s_branch .LBB49_9
.LBB49_7:
                                        ; implicit-def: $vgpr101_vgpr102
.LBB49_8:
	ds_load_b64 v[101:102], v104
.LBB49_9:
	v_mov_b32_e32 v106, 0
	ds_load_b64 v[106:107], v106 offset:384
	s_waitcnt lgkmcnt(0)
	v_mul_f64 v[101:102], v[101:102], v[106:107]
	scratch_store_b64 off, v[101:102], off offset:384
.LBB49_10:
	s_or_b32 exec_lo, exec_lo, s21
	scratch_load_b64 v[101:102], off, off offset:376
	v_add_nc_u32_e64 v106, 0, 16
	v_add_nc_u32_e64 v107, 0, 32
	;; [unrolled: 1-line block ×23, first 2 shown]
	v_cmp_lt_u32_e64 s1, 47, v0
	s_waitcnt vmcnt(0)
	ds_store_b64 v104, v[101:102]
	s_waitcnt lgkmcnt(0)
	s_waitcnt_vscnt null, 0x0
	s_barrier
	buffer_gl0_inv
	s_and_saveexec_b32 s3, s1
	s_cbranch_execz .LBB49_18
; %bb.11:
	s_and_not1_b32 vcc_lo, exec_lo, s2
	s_cbranch_vccnz .LBB49_13
; %bb.12:
	scratch_load_b64 v[101:102], v105, off
	ds_load_b64 v[129:130], v104
	s_waitcnt vmcnt(0) lgkmcnt(0)
	v_mul_f64 v[101:102], v[101:102], v[129:130]
	s_cbranch_execz .LBB49_14
	s_branch .LBB49_15
.LBB49_13:
                                        ; implicit-def: $vgpr101_vgpr102
.LBB49_14:
	ds_load_b64 v[101:102], v104
.LBB49_15:
	s_and_saveexec_b32 s4, s0
	s_cbranch_execz .LBB49_17
; %bb.16:
	scratch_load_b64 v[129:130], off, off offset:384
	v_mov_b32_e32 v131, 0
	ds_load_b64 v[131:132], v131 offset:784
	s_waitcnt vmcnt(0) lgkmcnt(0)
	v_fma_f64 v[101:102], v[129:130], v[131:132], v[101:102]
.LBB49_17:
	s_or_b32 exec_lo, exec_lo, s4
	v_mov_b32_e32 v129, 0
	ds_load_b64 v[129:130], v129 offset:376
	s_waitcnt lgkmcnt(0)
	v_mul_f64 v[101:102], v[101:102], v[129:130]
	scratch_store_b64 off, v[101:102], off offset:376
.LBB49_18:
	s_or_b32 exec_lo, exec_lo, s3
	scratch_load_b64 v[101:102], off, off offset:368
	v_cmp_lt_u32_e64 s0, 46, v0
	s_waitcnt vmcnt(0)
	ds_store_b64 v104, v[101:102]
	s_waitcnt lgkmcnt(0)
	s_waitcnt_vscnt null, 0x0
	s_barrier
	buffer_gl0_inv
	s_and_saveexec_b32 s3, s0
	s_cbranch_execz .LBB49_28
; %bb.19:
	s_and_not1_b32 vcc_lo, exec_lo, s2
	s_cbranch_vccnz .LBB49_21
; %bb.20:
	scratch_load_b64 v[101:102], v105, off
	ds_load_b64 v[129:130], v104
	s_waitcnt vmcnt(0) lgkmcnt(0)
	v_mul_f64 v[101:102], v[101:102], v[129:130]
	s_cbranch_execz .LBB49_22
	s_branch .LBB49_23
.LBB49_21:
                                        ; implicit-def: $vgpr101_vgpr102
.LBB49_22:
	ds_load_b64 v[101:102], v104
.LBB49_23:
	s_and_saveexec_b32 s4, s1
	s_cbranch_execz .LBB49_27
; %bb.24:
	v_mov_b32_e32 v129, 0
	v_subrev_nc_u32_e32 v130, 47, v0
	s_movk_i32 s5, 0x308
	s_mov_b32 s1, 0
	s_delay_alu instid0(VALU_DEP_2)
	v_add_nc_u32_e32 v129, 0x178, v129
.LBB49_25:                              ; =>This Inner Loop Header: Depth=1
	scratch_load_b64 v[131:132], v129, off
	v_dual_mov_b32 v133, s5 :: v_dual_add_nc_u32 v130, -1, v130
	v_add_nc_u32_e32 v129, 8, v129
	s_add_i32 s5, s5, 8
	ds_load_b64 v[133:134], v133
	v_cmp_eq_u32_e32 vcc_lo, 0, v130
	s_or_b32 s1, vcc_lo, s1
	s_waitcnt vmcnt(0) lgkmcnt(0)
	v_fma_f64 v[101:102], v[131:132], v[133:134], v[101:102]
	s_and_not1_b32 exec_lo, exec_lo, s1
	s_cbranch_execnz .LBB49_25
; %bb.26:
	s_or_b32 exec_lo, exec_lo, s1
.LBB49_27:
	s_delay_alu instid0(SALU_CYCLE_1)
	s_or_b32 exec_lo, exec_lo, s4
	v_mov_b32_e32 v129, 0
	ds_load_b64 v[129:130], v129 offset:368
	s_waitcnt lgkmcnt(0)
	v_mul_f64 v[101:102], v[101:102], v[129:130]
	scratch_store_b64 off, v[101:102], off offset:368
.LBB49_28:
	s_or_b32 exec_lo, exec_lo, s3
	scratch_load_b64 v[101:102], off, off offset:360
	v_cmp_lt_u32_e64 s1, 45, v0
	s_waitcnt vmcnt(0)
	ds_store_b64 v104, v[101:102]
	s_waitcnt lgkmcnt(0)
	s_waitcnt_vscnt null, 0x0
	s_barrier
	buffer_gl0_inv
	s_and_saveexec_b32 s3, s1
	s_cbranch_execz .LBB49_38
; %bb.29:
	s_and_not1_b32 vcc_lo, exec_lo, s2
	s_cbranch_vccnz .LBB49_31
; %bb.30:
	scratch_load_b64 v[101:102], v105, off
	ds_load_b64 v[129:130], v104
	s_waitcnt vmcnt(0) lgkmcnt(0)
	v_mul_f64 v[101:102], v[101:102], v[129:130]
	s_cbranch_execz .LBB49_32
	s_branch .LBB49_33
.LBB49_31:
                                        ; implicit-def: $vgpr101_vgpr102
.LBB49_32:
	ds_load_b64 v[101:102], v104
.LBB49_33:
	s_and_saveexec_b32 s4, s0
	s_cbranch_execz .LBB49_37
; %bb.34:
	v_subrev_nc_u32_e32 v129, 46, v0
	s_movk_i32 s5, 0x300
	s_mov_b32 s0, 0
.LBB49_35:                              ; =>This Inner Loop Header: Depth=1
	scratch_load_b64 v[130:131], v128, off
	v_dual_mov_b32 v132, s5 :: v_dual_add_nc_u32 v129, -1, v129
	v_add_nc_u32_e32 v128, 8, v128
	s_add_i32 s5, s5, 8
	ds_load_b64 v[132:133], v132
	v_cmp_eq_u32_e32 vcc_lo, 0, v129
	s_or_b32 s0, vcc_lo, s0
	s_waitcnt vmcnt(0) lgkmcnt(0)
	v_fma_f64 v[101:102], v[130:131], v[132:133], v[101:102]
	s_and_not1_b32 exec_lo, exec_lo, s0
	s_cbranch_execnz .LBB49_35
; %bb.36:
	s_or_b32 exec_lo, exec_lo, s0
.LBB49_37:
	s_delay_alu instid0(SALU_CYCLE_1)
	s_or_b32 exec_lo, exec_lo, s4
	v_mov_b32_e32 v128, 0
	ds_load_b64 v[128:129], v128 offset:360
	s_waitcnt lgkmcnt(0)
	v_mul_f64 v[101:102], v[101:102], v[128:129]
	scratch_store_b64 off, v[101:102], off offset:360
.LBB49_38:
	s_or_b32 exec_lo, exec_lo, s3
	scratch_load_b64 v[101:102], off, off offset:352
	v_cmp_lt_u32_e64 s0, 44, v0
	s_waitcnt vmcnt(0)
	ds_store_b64 v104, v[101:102]
	s_waitcnt lgkmcnt(0)
	s_waitcnt_vscnt null, 0x0
	s_barrier
	buffer_gl0_inv
	s_and_saveexec_b32 s3, s0
	s_cbranch_execz .LBB49_48
; %bb.39:
	s_and_not1_b32 vcc_lo, exec_lo, s2
	s_cbranch_vccnz .LBB49_41
; %bb.40:
	scratch_load_b64 v[101:102], v105, off
	ds_load_b64 v[128:129], v104
	s_waitcnt vmcnt(0) lgkmcnt(0)
	v_mul_f64 v[101:102], v[101:102], v[128:129]
	s_cbranch_execz .LBB49_42
	s_branch .LBB49_43
.LBB49_41:
                                        ; implicit-def: $vgpr101_vgpr102
.LBB49_42:
	ds_load_b64 v[101:102], v104
.LBB49_43:
	s_and_saveexec_b32 s4, s1
	s_cbranch_execz .LBB49_47
; %bb.44:
	v_mov_b32_e32 v128, 0
	v_subrev_nc_u32_e32 v129, 45, v0
	s_movk_i32 s5, 0x2f8
	s_mov_b32 s1, 0
	s_delay_alu instid0(VALU_DEP_2)
	v_add_nc_u32_e32 v128, 0x168, v128
.LBB49_45:                              ; =>This Inner Loop Header: Depth=1
	scratch_load_b64 v[130:131], v128, off
	v_dual_mov_b32 v132, s5 :: v_dual_add_nc_u32 v129, -1, v129
	v_add_nc_u32_e32 v128, 8, v128
	s_add_i32 s5, s5, 8
	ds_load_b64 v[132:133], v132
	v_cmp_eq_u32_e32 vcc_lo, 0, v129
	s_or_b32 s1, vcc_lo, s1
	s_waitcnt vmcnt(0) lgkmcnt(0)
	v_fma_f64 v[101:102], v[130:131], v[132:133], v[101:102]
	s_and_not1_b32 exec_lo, exec_lo, s1
	s_cbranch_execnz .LBB49_45
; %bb.46:
	s_or_b32 exec_lo, exec_lo, s1
.LBB49_47:
	s_delay_alu instid0(SALU_CYCLE_1)
	s_or_b32 exec_lo, exec_lo, s4
	v_mov_b32_e32 v128, 0
	ds_load_b64 v[128:129], v128 offset:352
	s_waitcnt lgkmcnt(0)
	v_mul_f64 v[101:102], v[101:102], v[128:129]
	scratch_store_b64 off, v[101:102], off offset:352
.LBB49_48:
	s_or_b32 exec_lo, exec_lo, s3
	scratch_load_b64 v[101:102], off, off offset:344
	v_cmp_lt_u32_e64 s1, 43, v0
	s_waitcnt vmcnt(0)
	ds_store_b64 v104, v[101:102]
	s_waitcnt lgkmcnt(0)
	s_waitcnt_vscnt null, 0x0
	s_barrier
	buffer_gl0_inv
	s_and_saveexec_b32 s3, s1
	s_cbranch_execz .LBB49_58
; %bb.49:
	s_and_not1_b32 vcc_lo, exec_lo, s2
	s_cbranch_vccnz .LBB49_51
; %bb.50:
	scratch_load_b64 v[101:102], v105, off
	ds_load_b64 v[128:129], v104
	s_waitcnt vmcnt(0) lgkmcnt(0)
	v_mul_f64 v[101:102], v[101:102], v[128:129]
	s_cbranch_execz .LBB49_52
	s_branch .LBB49_53
.LBB49_51:
                                        ; implicit-def: $vgpr101_vgpr102
.LBB49_52:
	ds_load_b64 v[101:102], v104
.LBB49_53:
	s_and_saveexec_b32 s4, s0
	s_cbranch_execz .LBB49_57
; %bb.54:
	v_subrev_nc_u32_e32 v128, 44, v0
	s_movk_i32 s5, 0x2f0
	s_mov_b32 s0, 0
.LBB49_55:                              ; =>This Inner Loop Header: Depth=1
	scratch_load_b64 v[129:130], v127, off
	v_dual_mov_b32 v131, s5 :: v_dual_add_nc_u32 v128, -1, v128
	v_add_nc_u32_e32 v127, 8, v127
	s_add_i32 s5, s5, 8
	ds_load_b64 v[131:132], v131
	v_cmp_eq_u32_e32 vcc_lo, 0, v128
	s_or_b32 s0, vcc_lo, s0
	s_waitcnt vmcnt(0) lgkmcnt(0)
	v_fma_f64 v[101:102], v[129:130], v[131:132], v[101:102]
	s_and_not1_b32 exec_lo, exec_lo, s0
	s_cbranch_execnz .LBB49_55
; %bb.56:
	s_or_b32 exec_lo, exec_lo, s0
.LBB49_57:
	s_delay_alu instid0(SALU_CYCLE_1)
	s_or_b32 exec_lo, exec_lo, s4
	v_mov_b32_e32 v127, 0
	ds_load_b64 v[127:128], v127 offset:344
	s_waitcnt lgkmcnt(0)
	v_mul_f64 v[101:102], v[101:102], v[127:128]
	scratch_store_b64 off, v[101:102], off offset:344
.LBB49_58:
	s_or_b32 exec_lo, exec_lo, s3
	scratch_load_b64 v[101:102], off, off offset:336
	v_cmp_lt_u32_e64 s0, 42, v0
	s_waitcnt vmcnt(0)
	ds_store_b64 v104, v[101:102]
	s_waitcnt lgkmcnt(0)
	s_waitcnt_vscnt null, 0x0
	s_barrier
	buffer_gl0_inv
	s_and_saveexec_b32 s3, s0
	s_cbranch_execz .LBB49_68
; %bb.59:
	s_and_not1_b32 vcc_lo, exec_lo, s2
	s_cbranch_vccnz .LBB49_61
; %bb.60:
	scratch_load_b64 v[101:102], v105, off
	ds_load_b64 v[127:128], v104
	s_waitcnt vmcnt(0) lgkmcnt(0)
	v_mul_f64 v[101:102], v[101:102], v[127:128]
	s_cbranch_execz .LBB49_62
	s_branch .LBB49_63
.LBB49_61:
                                        ; implicit-def: $vgpr101_vgpr102
.LBB49_62:
	ds_load_b64 v[101:102], v104
.LBB49_63:
	s_and_saveexec_b32 s4, s1
	s_cbranch_execz .LBB49_67
; %bb.64:
	v_mov_b32_e32 v127, 0
	v_subrev_nc_u32_e32 v128, 43, v0
	s_movk_i32 s5, 0x2e8
	s_mov_b32 s1, 0
	s_delay_alu instid0(VALU_DEP_2)
	v_add_nc_u32_e32 v127, 0x158, v127
.LBB49_65:                              ; =>This Inner Loop Header: Depth=1
	scratch_load_b64 v[129:130], v127, off
	v_dual_mov_b32 v131, s5 :: v_dual_add_nc_u32 v128, -1, v128
	v_add_nc_u32_e32 v127, 8, v127
	s_add_i32 s5, s5, 8
	ds_load_b64 v[131:132], v131
	v_cmp_eq_u32_e32 vcc_lo, 0, v128
	s_or_b32 s1, vcc_lo, s1
	s_waitcnt vmcnt(0) lgkmcnt(0)
	v_fma_f64 v[101:102], v[129:130], v[131:132], v[101:102]
	s_and_not1_b32 exec_lo, exec_lo, s1
	s_cbranch_execnz .LBB49_65
; %bb.66:
	s_or_b32 exec_lo, exec_lo, s1
.LBB49_67:
	s_delay_alu instid0(SALU_CYCLE_1)
	s_or_b32 exec_lo, exec_lo, s4
	v_mov_b32_e32 v127, 0
	ds_load_b64 v[127:128], v127 offset:336
	s_waitcnt lgkmcnt(0)
	v_mul_f64 v[101:102], v[101:102], v[127:128]
	scratch_store_b64 off, v[101:102], off offset:336
.LBB49_68:
	s_or_b32 exec_lo, exec_lo, s3
	scratch_load_b64 v[101:102], off, off offset:328
	v_cmp_lt_u32_e64 s1, 41, v0
	s_waitcnt vmcnt(0)
	ds_store_b64 v104, v[101:102]
	s_waitcnt lgkmcnt(0)
	s_waitcnt_vscnt null, 0x0
	s_barrier
	buffer_gl0_inv
	s_and_saveexec_b32 s3, s1
	s_cbranch_execz .LBB49_78
; %bb.69:
	s_and_not1_b32 vcc_lo, exec_lo, s2
	s_cbranch_vccnz .LBB49_71
; %bb.70:
	scratch_load_b64 v[101:102], v105, off
	ds_load_b64 v[127:128], v104
	s_waitcnt vmcnt(0) lgkmcnt(0)
	v_mul_f64 v[101:102], v[101:102], v[127:128]
	s_cbranch_execz .LBB49_72
	s_branch .LBB49_73
.LBB49_71:
                                        ; implicit-def: $vgpr101_vgpr102
.LBB49_72:
	ds_load_b64 v[101:102], v104
.LBB49_73:
	s_and_saveexec_b32 s4, s0
	s_cbranch_execz .LBB49_77
; %bb.74:
	v_subrev_nc_u32_e32 v127, 42, v0
	s_movk_i32 s5, 0x2e0
	s_mov_b32 s0, 0
.LBB49_75:                              ; =>This Inner Loop Header: Depth=1
	scratch_load_b64 v[128:129], v126, off
	v_dual_mov_b32 v130, s5 :: v_dual_add_nc_u32 v127, -1, v127
	v_add_nc_u32_e32 v126, 8, v126
	s_add_i32 s5, s5, 8
	ds_load_b64 v[130:131], v130
	v_cmp_eq_u32_e32 vcc_lo, 0, v127
	s_or_b32 s0, vcc_lo, s0
	s_waitcnt vmcnt(0) lgkmcnt(0)
	v_fma_f64 v[101:102], v[128:129], v[130:131], v[101:102]
	s_and_not1_b32 exec_lo, exec_lo, s0
	s_cbranch_execnz .LBB49_75
; %bb.76:
	s_or_b32 exec_lo, exec_lo, s0
.LBB49_77:
	s_delay_alu instid0(SALU_CYCLE_1)
	s_or_b32 exec_lo, exec_lo, s4
	v_mov_b32_e32 v126, 0
	ds_load_b64 v[126:127], v126 offset:328
	s_waitcnt lgkmcnt(0)
	v_mul_f64 v[101:102], v[101:102], v[126:127]
	scratch_store_b64 off, v[101:102], off offset:328
.LBB49_78:
	s_or_b32 exec_lo, exec_lo, s3
	scratch_load_b64 v[101:102], off, off offset:320
	v_cmp_lt_u32_e64 s0, 40, v0
	s_waitcnt vmcnt(0)
	ds_store_b64 v104, v[101:102]
	s_waitcnt lgkmcnt(0)
	s_waitcnt_vscnt null, 0x0
	s_barrier
	buffer_gl0_inv
	s_and_saveexec_b32 s3, s0
	s_cbranch_execz .LBB49_88
; %bb.79:
	s_and_not1_b32 vcc_lo, exec_lo, s2
	s_cbranch_vccnz .LBB49_81
; %bb.80:
	scratch_load_b64 v[101:102], v105, off
	ds_load_b64 v[126:127], v104
	s_waitcnt vmcnt(0) lgkmcnt(0)
	v_mul_f64 v[101:102], v[101:102], v[126:127]
	s_cbranch_execz .LBB49_82
	s_branch .LBB49_83
.LBB49_81:
                                        ; implicit-def: $vgpr101_vgpr102
.LBB49_82:
	ds_load_b64 v[101:102], v104
.LBB49_83:
	s_and_saveexec_b32 s4, s1
	s_cbranch_execz .LBB49_87
; %bb.84:
	v_mov_b32_e32 v126, 0
	v_subrev_nc_u32_e32 v127, 41, v0
	s_movk_i32 s5, 0x2d8
	s_mov_b32 s1, 0
	s_delay_alu instid0(VALU_DEP_2)
	v_add_nc_u32_e32 v126, 0x148, v126
.LBB49_85:                              ; =>This Inner Loop Header: Depth=1
	scratch_load_b64 v[128:129], v126, off
	v_dual_mov_b32 v130, s5 :: v_dual_add_nc_u32 v127, -1, v127
	v_add_nc_u32_e32 v126, 8, v126
	s_add_i32 s5, s5, 8
	ds_load_b64 v[130:131], v130
	v_cmp_eq_u32_e32 vcc_lo, 0, v127
	s_or_b32 s1, vcc_lo, s1
	s_waitcnt vmcnt(0) lgkmcnt(0)
	v_fma_f64 v[101:102], v[128:129], v[130:131], v[101:102]
	s_and_not1_b32 exec_lo, exec_lo, s1
	s_cbranch_execnz .LBB49_85
; %bb.86:
	s_or_b32 exec_lo, exec_lo, s1
.LBB49_87:
	s_delay_alu instid0(SALU_CYCLE_1)
	s_or_b32 exec_lo, exec_lo, s4
	v_mov_b32_e32 v126, 0
	ds_load_b64 v[126:127], v126 offset:320
	s_waitcnt lgkmcnt(0)
	v_mul_f64 v[101:102], v[101:102], v[126:127]
	scratch_store_b64 off, v[101:102], off offset:320
.LBB49_88:
	s_or_b32 exec_lo, exec_lo, s3
	scratch_load_b64 v[101:102], off, off offset:312
	v_cmp_lt_u32_e64 s1, 39, v0
	s_waitcnt vmcnt(0)
	ds_store_b64 v104, v[101:102]
	s_waitcnt lgkmcnt(0)
	s_waitcnt_vscnt null, 0x0
	s_barrier
	buffer_gl0_inv
	s_and_saveexec_b32 s3, s1
	s_cbranch_execz .LBB49_98
; %bb.89:
	s_and_not1_b32 vcc_lo, exec_lo, s2
	s_cbranch_vccnz .LBB49_91
; %bb.90:
	scratch_load_b64 v[101:102], v105, off
	ds_load_b64 v[126:127], v104
	s_waitcnt vmcnt(0) lgkmcnt(0)
	v_mul_f64 v[101:102], v[101:102], v[126:127]
	s_cbranch_execz .LBB49_92
	s_branch .LBB49_93
.LBB49_91:
                                        ; implicit-def: $vgpr101_vgpr102
.LBB49_92:
	ds_load_b64 v[101:102], v104
.LBB49_93:
	s_and_saveexec_b32 s4, s0
	s_cbranch_execz .LBB49_97
; %bb.94:
	v_subrev_nc_u32_e32 v126, 40, v0
	s_movk_i32 s5, 0x2d0
	s_mov_b32 s0, 0
.LBB49_95:                              ; =>This Inner Loop Header: Depth=1
	scratch_load_b64 v[127:128], v125, off
	v_dual_mov_b32 v129, s5 :: v_dual_add_nc_u32 v126, -1, v126
	v_add_nc_u32_e32 v125, 8, v125
	s_add_i32 s5, s5, 8
	ds_load_b64 v[129:130], v129
	v_cmp_eq_u32_e32 vcc_lo, 0, v126
	s_or_b32 s0, vcc_lo, s0
	s_waitcnt vmcnt(0) lgkmcnt(0)
	v_fma_f64 v[101:102], v[127:128], v[129:130], v[101:102]
	s_and_not1_b32 exec_lo, exec_lo, s0
	s_cbranch_execnz .LBB49_95
; %bb.96:
	s_or_b32 exec_lo, exec_lo, s0
.LBB49_97:
	s_delay_alu instid0(SALU_CYCLE_1)
	s_or_b32 exec_lo, exec_lo, s4
	v_mov_b32_e32 v125, 0
	ds_load_b64 v[125:126], v125 offset:312
	s_waitcnt lgkmcnt(0)
	v_mul_f64 v[101:102], v[101:102], v[125:126]
	scratch_store_b64 off, v[101:102], off offset:312
.LBB49_98:
	s_or_b32 exec_lo, exec_lo, s3
	scratch_load_b64 v[101:102], off, off offset:304
	v_cmp_lt_u32_e64 s0, 38, v0
	s_waitcnt vmcnt(0)
	ds_store_b64 v104, v[101:102]
	s_waitcnt lgkmcnt(0)
	s_waitcnt_vscnt null, 0x0
	s_barrier
	buffer_gl0_inv
	s_and_saveexec_b32 s3, s0
	s_cbranch_execz .LBB49_108
; %bb.99:
	s_and_not1_b32 vcc_lo, exec_lo, s2
	s_cbranch_vccnz .LBB49_101
; %bb.100:
	scratch_load_b64 v[101:102], v105, off
	ds_load_b64 v[125:126], v104
	s_waitcnt vmcnt(0) lgkmcnt(0)
	v_mul_f64 v[101:102], v[101:102], v[125:126]
	s_cbranch_execz .LBB49_102
	s_branch .LBB49_103
.LBB49_101:
                                        ; implicit-def: $vgpr101_vgpr102
.LBB49_102:
	ds_load_b64 v[101:102], v104
.LBB49_103:
	s_and_saveexec_b32 s4, s1
	s_cbranch_execz .LBB49_107
; %bb.104:
	v_mov_b32_e32 v125, 0
	v_subrev_nc_u32_e32 v126, 39, v0
	s_movk_i32 s5, 0x2c8
	s_mov_b32 s1, 0
	s_delay_alu instid0(VALU_DEP_2)
	v_add_nc_u32_e32 v125, 0x138, v125
.LBB49_105:                             ; =>This Inner Loop Header: Depth=1
	scratch_load_b64 v[127:128], v125, off
	v_dual_mov_b32 v129, s5 :: v_dual_add_nc_u32 v126, -1, v126
	v_add_nc_u32_e32 v125, 8, v125
	s_add_i32 s5, s5, 8
	ds_load_b64 v[129:130], v129
	v_cmp_eq_u32_e32 vcc_lo, 0, v126
	s_or_b32 s1, vcc_lo, s1
	s_waitcnt vmcnt(0) lgkmcnt(0)
	v_fma_f64 v[101:102], v[127:128], v[129:130], v[101:102]
	s_and_not1_b32 exec_lo, exec_lo, s1
	s_cbranch_execnz .LBB49_105
; %bb.106:
	s_or_b32 exec_lo, exec_lo, s1
.LBB49_107:
	s_delay_alu instid0(SALU_CYCLE_1)
	s_or_b32 exec_lo, exec_lo, s4
	v_mov_b32_e32 v125, 0
	ds_load_b64 v[125:126], v125 offset:304
	s_waitcnt lgkmcnt(0)
	v_mul_f64 v[101:102], v[101:102], v[125:126]
	scratch_store_b64 off, v[101:102], off offset:304
.LBB49_108:
	s_or_b32 exec_lo, exec_lo, s3
	scratch_load_b64 v[101:102], off, off offset:296
	v_cmp_lt_u32_e64 s1, 37, v0
	s_waitcnt vmcnt(0)
	ds_store_b64 v104, v[101:102]
	s_waitcnt lgkmcnt(0)
	s_waitcnt_vscnt null, 0x0
	s_barrier
	buffer_gl0_inv
	s_and_saveexec_b32 s3, s1
	s_cbranch_execz .LBB49_118
; %bb.109:
	s_and_not1_b32 vcc_lo, exec_lo, s2
	s_cbranch_vccnz .LBB49_111
; %bb.110:
	scratch_load_b64 v[101:102], v105, off
	ds_load_b64 v[125:126], v104
	s_waitcnt vmcnt(0) lgkmcnt(0)
	v_mul_f64 v[101:102], v[101:102], v[125:126]
	s_cbranch_execz .LBB49_112
	s_branch .LBB49_113
.LBB49_111:
                                        ; implicit-def: $vgpr101_vgpr102
.LBB49_112:
	ds_load_b64 v[101:102], v104
.LBB49_113:
	s_and_saveexec_b32 s4, s0
	s_cbranch_execz .LBB49_117
; %bb.114:
	v_subrev_nc_u32_e32 v125, 38, v0
	s_movk_i32 s5, 0x2c0
	s_mov_b32 s0, 0
.LBB49_115:                             ; =>This Inner Loop Header: Depth=1
	scratch_load_b64 v[126:127], v124, off
	v_dual_mov_b32 v128, s5 :: v_dual_add_nc_u32 v125, -1, v125
	v_add_nc_u32_e32 v124, 8, v124
	s_add_i32 s5, s5, 8
	ds_load_b64 v[128:129], v128
	v_cmp_eq_u32_e32 vcc_lo, 0, v125
	s_or_b32 s0, vcc_lo, s0
	s_waitcnt vmcnt(0) lgkmcnt(0)
	v_fma_f64 v[101:102], v[126:127], v[128:129], v[101:102]
	s_and_not1_b32 exec_lo, exec_lo, s0
	s_cbranch_execnz .LBB49_115
; %bb.116:
	s_or_b32 exec_lo, exec_lo, s0
.LBB49_117:
	s_delay_alu instid0(SALU_CYCLE_1)
	s_or_b32 exec_lo, exec_lo, s4
	v_mov_b32_e32 v124, 0
	ds_load_b64 v[124:125], v124 offset:296
	s_waitcnt lgkmcnt(0)
	v_mul_f64 v[101:102], v[101:102], v[124:125]
	scratch_store_b64 off, v[101:102], off offset:296
.LBB49_118:
	s_or_b32 exec_lo, exec_lo, s3
	scratch_load_b64 v[101:102], off, off offset:288
	v_cmp_lt_u32_e64 s0, 36, v0
	s_waitcnt vmcnt(0)
	ds_store_b64 v104, v[101:102]
	s_waitcnt lgkmcnt(0)
	s_waitcnt_vscnt null, 0x0
	s_barrier
	buffer_gl0_inv
	s_and_saveexec_b32 s3, s0
	s_cbranch_execz .LBB49_128
; %bb.119:
	s_and_not1_b32 vcc_lo, exec_lo, s2
	s_cbranch_vccnz .LBB49_121
; %bb.120:
	scratch_load_b64 v[101:102], v105, off
	ds_load_b64 v[124:125], v104
	s_waitcnt vmcnt(0) lgkmcnt(0)
	v_mul_f64 v[101:102], v[101:102], v[124:125]
	s_cbranch_execz .LBB49_122
	s_branch .LBB49_123
.LBB49_121:
                                        ; implicit-def: $vgpr101_vgpr102
.LBB49_122:
	ds_load_b64 v[101:102], v104
.LBB49_123:
	s_and_saveexec_b32 s4, s1
	s_cbranch_execz .LBB49_127
; %bb.124:
	v_mov_b32_e32 v124, 0
	v_subrev_nc_u32_e32 v125, 37, v0
	s_movk_i32 s5, 0x2b8
	s_mov_b32 s1, 0
	s_delay_alu instid0(VALU_DEP_2)
	v_add_nc_u32_e32 v124, 0x128, v124
.LBB49_125:                             ; =>This Inner Loop Header: Depth=1
	scratch_load_b64 v[126:127], v124, off
	v_dual_mov_b32 v128, s5 :: v_dual_add_nc_u32 v125, -1, v125
	v_add_nc_u32_e32 v124, 8, v124
	s_add_i32 s5, s5, 8
	ds_load_b64 v[128:129], v128
	v_cmp_eq_u32_e32 vcc_lo, 0, v125
	s_or_b32 s1, vcc_lo, s1
	s_waitcnt vmcnt(0) lgkmcnt(0)
	v_fma_f64 v[101:102], v[126:127], v[128:129], v[101:102]
	s_and_not1_b32 exec_lo, exec_lo, s1
	s_cbranch_execnz .LBB49_125
; %bb.126:
	s_or_b32 exec_lo, exec_lo, s1
.LBB49_127:
	s_delay_alu instid0(SALU_CYCLE_1)
	s_or_b32 exec_lo, exec_lo, s4
	v_mov_b32_e32 v124, 0
	ds_load_b64 v[124:125], v124 offset:288
	s_waitcnt lgkmcnt(0)
	v_mul_f64 v[101:102], v[101:102], v[124:125]
	scratch_store_b64 off, v[101:102], off offset:288
.LBB49_128:
	s_or_b32 exec_lo, exec_lo, s3
	scratch_load_b64 v[101:102], off, off offset:280
	v_cmp_lt_u32_e64 s1, 35, v0
	s_waitcnt vmcnt(0)
	ds_store_b64 v104, v[101:102]
	s_waitcnt lgkmcnt(0)
	s_waitcnt_vscnt null, 0x0
	s_barrier
	buffer_gl0_inv
	s_and_saveexec_b32 s3, s1
	s_cbranch_execz .LBB49_138
; %bb.129:
	s_and_not1_b32 vcc_lo, exec_lo, s2
	s_cbranch_vccnz .LBB49_131
; %bb.130:
	scratch_load_b64 v[101:102], v105, off
	ds_load_b64 v[124:125], v104
	s_waitcnt vmcnt(0) lgkmcnt(0)
	v_mul_f64 v[101:102], v[101:102], v[124:125]
	s_cbranch_execz .LBB49_132
	s_branch .LBB49_133
.LBB49_131:
                                        ; implicit-def: $vgpr101_vgpr102
.LBB49_132:
	ds_load_b64 v[101:102], v104
.LBB49_133:
	s_and_saveexec_b32 s4, s0
	s_cbranch_execz .LBB49_137
; %bb.134:
	v_subrev_nc_u32_e32 v124, 36, v0
	s_movk_i32 s5, 0x2b0
	s_mov_b32 s0, 0
.LBB49_135:                             ; =>This Inner Loop Header: Depth=1
	scratch_load_b64 v[125:126], v123, off
	v_dual_mov_b32 v127, s5 :: v_dual_add_nc_u32 v124, -1, v124
	v_add_nc_u32_e32 v123, 8, v123
	s_add_i32 s5, s5, 8
	ds_load_b64 v[127:128], v127
	v_cmp_eq_u32_e32 vcc_lo, 0, v124
	s_or_b32 s0, vcc_lo, s0
	s_waitcnt vmcnt(0) lgkmcnt(0)
	v_fma_f64 v[101:102], v[125:126], v[127:128], v[101:102]
	s_and_not1_b32 exec_lo, exec_lo, s0
	s_cbranch_execnz .LBB49_135
; %bb.136:
	s_or_b32 exec_lo, exec_lo, s0
.LBB49_137:
	s_delay_alu instid0(SALU_CYCLE_1)
	s_or_b32 exec_lo, exec_lo, s4
	v_mov_b32_e32 v123, 0
	ds_load_b64 v[123:124], v123 offset:280
	s_waitcnt lgkmcnt(0)
	v_mul_f64 v[101:102], v[101:102], v[123:124]
	scratch_store_b64 off, v[101:102], off offset:280
.LBB49_138:
	s_or_b32 exec_lo, exec_lo, s3
	scratch_load_b64 v[101:102], off, off offset:272
	v_cmp_lt_u32_e64 s0, 34, v0
	s_waitcnt vmcnt(0)
	ds_store_b64 v104, v[101:102]
	s_waitcnt lgkmcnt(0)
	s_waitcnt_vscnt null, 0x0
	s_barrier
	buffer_gl0_inv
	s_and_saveexec_b32 s3, s0
	s_cbranch_execz .LBB49_148
; %bb.139:
	s_and_not1_b32 vcc_lo, exec_lo, s2
	s_cbranch_vccnz .LBB49_141
; %bb.140:
	scratch_load_b64 v[101:102], v105, off
	ds_load_b64 v[123:124], v104
	s_waitcnt vmcnt(0) lgkmcnt(0)
	v_mul_f64 v[101:102], v[101:102], v[123:124]
	s_cbranch_execz .LBB49_142
	s_branch .LBB49_143
.LBB49_141:
                                        ; implicit-def: $vgpr101_vgpr102
.LBB49_142:
	ds_load_b64 v[101:102], v104
.LBB49_143:
	s_and_saveexec_b32 s4, s1
	s_cbranch_execz .LBB49_147
; %bb.144:
	v_mov_b32_e32 v123, 0
	v_subrev_nc_u32_e32 v124, 35, v0
	s_movk_i32 s5, 0x2a8
	s_mov_b32 s1, 0
	s_delay_alu instid0(VALU_DEP_2)
	v_add_nc_u32_e32 v123, 0x118, v123
.LBB49_145:                             ; =>This Inner Loop Header: Depth=1
	scratch_load_b64 v[125:126], v123, off
	v_dual_mov_b32 v127, s5 :: v_dual_add_nc_u32 v124, -1, v124
	v_add_nc_u32_e32 v123, 8, v123
	s_add_i32 s5, s5, 8
	ds_load_b64 v[127:128], v127
	v_cmp_eq_u32_e32 vcc_lo, 0, v124
	s_or_b32 s1, vcc_lo, s1
	s_waitcnt vmcnt(0) lgkmcnt(0)
	v_fma_f64 v[101:102], v[125:126], v[127:128], v[101:102]
	s_and_not1_b32 exec_lo, exec_lo, s1
	s_cbranch_execnz .LBB49_145
; %bb.146:
	s_or_b32 exec_lo, exec_lo, s1
.LBB49_147:
	s_delay_alu instid0(SALU_CYCLE_1)
	s_or_b32 exec_lo, exec_lo, s4
	v_mov_b32_e32 v123, 0
	ds_load_b64 v[123:124], v123 offset:272
	s_waitcnt lgkmcnt(0)
	v_mul_f64 v[101:102], v[101:102], v[123:124]
	scratch_store_b64 off, v[101:102], off offset:272
.LBB49_148:
	s_or_b32 exec_lo, exec_lo, s3
	scratch_load_b64 v[101:102], off, off offset:264
	v_cmp_lt_u32_e64 s1, 33, v0
	s_waitcnt vmcnt(0)
	ds_store_b64 v104, v[101:102]
	s_waitcnt lgkmcnt(0)
	s_waitcnt_vscnt null, 0x0
	s_barrier
	buffer_gl0_inv
	s_and_saveexec_b32 s3, s1
	s_cbranch_execz .LBB49_158
; %bb.149:
	s_and_not1_b32 vcc_lo, exec_lo, s2
	s_cbranch_vccnz .LBB49_151
; %bb.150:
	scratch_load_b64 v[101:102], v105, off
	ds_load_b64 v[123:124], v104
	s_waitcnt vmcnt(0) lgkmcnt(0)
	v_mul_f64 v[101:102], v[101:102], v[123:124]
	s_cbranch_execz .LBB49_152
	s_branch .LBB49_153
.LBB49_151:
                                        ; implicit-def: $vgpr101_vgpr102
.LBB49_152:
	ds_load_b64 v[101:102], v104
.LBB49_153:
	s_and_saveexec_b32 s4, s0
	s_cbranch_execz .LBB49_157
; %bb.154:
	v_subrev_nc_u32_e32 v123, 34, v0
	s_movk_i32 s5, 0x2a0
	s_mov_b32 s0, 0
.LBB49_155:                             ; =>This Inner Loop Header: Depth=1
	scratch_load_b64 v[124:125], v122, off
	v_dual_mov_b32 v126, s5 :: v_dual_add_nc_u32 v123, -1, v123
	v_add_nc_u32_e32 v122, 8, v122
	s_add_i32 s5, s5, 8
	ds_load_b64 v[126:127], v126
	v_cmp_eq_u32_e32 vcc_lo, 0, v123
	s_or_b32 s0, vcc_lo, s0
	s_waitcnt vmcnt(0) lgkmcnt(0)
	v_fma_f64 v[101:102], v[124:125], v[126:127], v[101:102]
	s_and_not1_b32 exec_lo, exec_lo, s0
	s_cbranch_execnz .LBB49_155
; %bb.156:
	s_or_b32 exec_lo, exec_lo, s0
.LBB49_157:
	s_delay_alu instid0(SALU_CYCLE_1)
	s_or_b32 exec_lo, exec_lo, s4
	v_mov_b32_e32 v122, 0
	ds_load_b64 v[122:123], v122 offset:264
	s_waitcnt lgkmcnt(0)
	v_mul_f64 v[101:102], v[101:102], v[122:123]
	scratch_store_b64 off, v[101:102], off offset:264
.LBB49_158:
	s_or_b32 exec_lo, exec_lo, s3
	scratch_load_b64 v[101:102], off, off offset:256
	v_cmp_lt_u32_e64 s0, 32, v0
	s_waitcnt vmcnt(0)
	ds_store_b64 v104, v[101:102]
	s_waitcnt lgkmcnt(0)
	s_waitcnt_vscnt null, 0x0
	s_barrier
	buffer_gl0_inv
	s_and_saveexec_b32 s3, s0
	s_cbranch_execz .LBB49_168
; %bb.159:
	s_and_not1_b32 vcc_lo, exec_lo, s2
	s_cbranch_vccnz .LBB49_161
; %bb.160:
	scratch_load_b64 v[101:102], v105, off
	ds_load_b64 v[122:123], v104
	s_waitcnt vmcnt(0) lgkmcnt(0)
	v_mul_f64 v[101:102], v[101:102], v[122:123]
	s_cbranch_execz .LBB49_162
	s_branch .LBB49_163
.LBB49_161:
                                        ; implicit-def: $vgpr101_vgpr102
.LBB49_162:
	ds_load_b64 v[101:102], v104
.LBB49_163:
	s_and_saveexec_b32 s4, s1
	s_cbranch_execz .LBB49_167
; %bb.164:
	v_mov_b32_e32 v122, 0
	v_subrev_nc_u32_e32 v123, 33, v0
	s_movk_i32 s5, 0x298
	s_mov_b32 s1, 0
	s_delay_alu instid0(VALU_DEP_2)
	v_add_nc_u32_e32 v122, 0x108, v122
.LBB49_165:                             ; =>This Inner Loop Header: Depth=1
	scratch_load_b64 v[124:125], v122, off
	v_dual_mov_b32 v126, s5 :: v_dual_add_nc_u32 v123, -1, v123
	v_add_nc_u32_e32 v122, 8, v122
	s_add_i32 s5, s5, 8
	ds_load_b64 v[126:127], v126
	v_cmp_eq_u32_e32 vcc_lo, 0, v123
	s_or_b32 s1, vcc_lo, s1
	s_waitcnt vmcnt(0) lgkmcnt(0)
	v_fma_f64 v[101:102], v[124:125], v[126:127], v[101:102]
	s_and_not1_b32 exec_lo, exec_lo, s1
	s_cbranch_execnz .LBB49_165
; %bb.166:
	s_or_b32 exec_lo, exec_lo, s1
.LBB49_167:
	s_delay_alu instid0(SALU_CYCLE_1)
	s_or_b32 exec_lo, exec_lo, s4
	v_mov_b32_e32 v122, 0
	ds_load_b64 v[122:123], v122 offset:256
	s_waitcnt lgkmcnt(0)
	v_mul_f64 v[101:102], v[101:102], v[122:123]
	scratch_store_b64 off, v[101:102], off offset:256
.LBB49_168:
	s_or_b32 exec_lo, exec_lo, s3
	scratch_load_b64 v[101:102], off, off offset:248
	v_cmp_lt_u32_e64 s1, 31, v0
	s_waitcnt vmcnt(0)
	ds_store_b64 v104, v[101:102]
	s_waitcnt lgkmcnt(0)
	s_waitcnt_vscnt null, 0x0
	s_barrier
	buffer_gl0_inv
	s_and_saveexec_b32 s3, s1
	s_cbranch_execz .LBB49_178
; %bb.169:
	s_and_not1_b32 vcc_lo, exec_lo, s2
	s_cbranch_vccnz .LBB49_171
; %bb.170:
	scratch_load_b64 v[101:102], v105, off
	ds_load_b64 v[122:123], v104
	s_waitcnt vmcnt(0) lgkmcnt(0)
	v_mul_f64 v[101:102], v[101:102], v[122:123]
	s_cbranch_execz .LBB49_172
	s_branch .LBB49_173
.LBB49_171:
                                        ; implicit-def: $vgpr101_vgpr102
.LBB49_172:
	ds_load_b64 v[101:102], v104
.LBB49_173:
	s_and_saveexec_b32 s4, s0
	s_cbranch_execz .LBB49_177
; %bb.174:
	v_subrev_nc_u32_e32 v122, 32, v0
	s_movk_i32 s5, 0x290
	s_mov_b32 s0, 0
.LBB49_175:                             ; =>This Inner Loop Header: Depth=1
	scratch_load_b64 v[123:124], v121, off
	v_dual_mov_b32 v125, s5 :: v_dual_add_nc_u32 v122, -1, v122
	v_add_nc_u32_e32 v121, 8, v121
	s_add_i32 s5, s5, 8
	ds_load_b64 v[125:126], v125
	v_cmp_eq_u32_e32 vcc_lo, 0, v122
	s_or_b32 s0, vcc_lo, s0
	s_waitcnt vmcnt(0) lgkmcnt(0)
	v_fma_f64 v[101:102], v[123:124], v[125:126], v[101:102]
	s_and_not1_b32 exec_lo, exec_lo, s0
	s_cbranch_execnz .LBB49_175
; %bb.176:
	s_or_b32 exec_lo, exec_lo, s0
.LBB49_177:
	s_delay_alu instid0(SALU_CYCLE_1)
	s_or_b32 exec_lo, exec_lo, s4
	v_mov_b32_e32 v121, 0
	ds_load_b64 v[121:122], v121 offset:248
	s_waitcnt lgkmcnt(0)
	v_mul_f64 v[101:102], v[101:102], v[121:122]
	scratch_store_b64 off, v[101:102], off offset:248
.LBB49_178:
	s_or_b32 exec_lo, exec_lo, s3
	scratch_load_b64 v[101:102], off, off offset:240
	v_cmp_lt_u32_e64 s0, 30, v0
	s_waitcnt vmcnt(0)
	ds_store_b64 v104, v[101:102]
	s_waitcnt lgkmcnt(0)
	s_waitcnt_vscnt null, 0x0
	s_barrier
	buffer_gl0_inv
	s_and_saveexec_b32 s3, s0
	s_cbranch_execz .LBB49_188
; %bb.179:
	s_and_not1_b32 vcc_lo, exec_lo, s2
	s_cbranch_vccnz .LBB49_181
; %bb.180:
	scratch_load_b64 v[101:102], v105, off
	ds_load_b64 v[121:122], v104
	s_waitcnt vmcnt(0) lgkmcnt(0)
	v_mul_f64 v[101:102], v[101:102], v[121:122]
	s_cbranch_execz .LBB49_182
	s_branch .LBB49_183
.LBB49_181:
                                        ; implicit-def: $vgpr101_vgpr102
.LBB49_182:
	ds_load_b64 v[101:102], v104
.LBB49_183:
	s_and_saveexec_b32 s4, s1
	s_cbranch_execz .LBB49_187
; %bb.184:
	v_mov_b32_e32 v121, 0
	v_subrev_nc_u32_e32 v122, 31, v0
	s_movk_i32 s5, 0x288
	s_mov_b32 s1, 0
	s_delay_alu instid0(VALU_DEP_2)
	v_add_nc_u32_e32 v121, 0xf8, v121
.LBB49_185:                             ; =>This Inner Loop Header: Depth=1
	scratch_load_b64 v[123:124], v121, off
	v_dual_mov_b32 v125, s5 :: v_dual_add_nc_u32 v122, -1, v122
	v_add_nc_u32_e32 v121, 8, v121
	s_add_i32 s5, s5, 8
	ds_load_b64 v[125:126], v125
	v_cmp_eq_u32_e32 vcc_lo, 0, v122
	s_or_b32 s1, vcc_lo, s1
	s_waitcnt vmcnt(0) lgkmcnt(0)
	v_fma_f64 v[101:102], v[123:124], v[125:126], v[101:102]
	s_and_not1_b32 exec_lo, exec_lo, s1
	s_cbranch_execnz .LBB49_185
; %bb.186:
	s_or_b32 exec_lo, exec_lo, s1
.LBB49_187:
	s_delay_alu instid0(SALU_CYCLE_1)
	s_or_b32 exec_lo, exec_lo, s4
	v_mov_b32_e32 v121, 0
	ds_load_b64 v[121:122], v121 offset:240
	s_waitcnt lgkmcnt(0)
	v_mul_f64 v[101:102], v[101:102], v[121:122]
	scratch_store_b64 off, v[101:102], off offset:240
.LBB49_188:
	s_or_b32 exec_lo, exec_lo, s3
	scratch_load_b64 v[101:102], off, off offset:232
	v_cmp_lt_u32_e64 s1, 29, v0
	s_waitcnt vmcnt(0)
	ds_store_b64 v104, v[101:102]
	s_waitcnt lgkmcnt(0)
	s_waitcnt_vscnt null, 0x0
	s_barrier
	buffer_gl0_inv
	s_and_saveexec_b32 s3, s1
	s_cbranch_execz .LBB49_198
; %bb.189:
	s_and_not1_b32 vcc_lo, exec_lo, s2
	s_cbranch_vccnz .LBB49_191
; %bb.190:
	scratch_load_b64 v[101:102], v105, off
	ds_load_b64 v[121:122], v104
	s_waitcnt vmcnt(0) lgkmcnt(0)
	v_mul_f64 v[101:102], v[101:102], v[121:122]
	s_cbranch_execz .LBB49_192
	s_branch .LBB49_193
.LBB49_191:
                                        ; implicit-def: $vgpr101_vgpr102
.LBB49_192:
	ds_load_b64 v[101:102], v104
.LBB49_193:
	s_and_saveexec_b32 s4, s0
	s_cbranch_execz .LBB49_197
; %bb.194:
	v_subrev_nc_u32_e32 v121, 30, v0
	s_movk_i32 s5, 0x280
	s_mov_b32 s0, 0
.LBB49_195:                             ; =>This Inner Loop Header: Depth=1
	scratch_load_b64 v[122:123], v120, off
	v_dual_mov_b32 v124, s5 :: v_dual_add_nc_u32 v121, -1, v121
	v_add_nc_u32_e32 v120, 8, v120
	s_add_i32 s5, s5, 8
	ds_load_b64 v[124:125], v124
	v_cmp_eq_u32_e32 vcc_lo, 0, v121
	s_or_b32 s0, vcc_lo, s0
	s_waitcnt vmcnt(0) lgkmcnt(0)
	v_fma_f64 v[101:102], v[122:123], v[124:125], v[101:102]
	s_and_not1_b32 exec_lo, exec_lo, s0
	s_cbranch_execnz .LBB49_195
; %bb.196:
	s_or_b32 exec_lo, exec_lo, s0
.LBB49_197:
	s_delay_alu instid0(SALU_CYCLE_1)
	s_or_b32 exec_lo, exec_lo, s4
	v_mov_b32_e32 v120, 0
	ds_load_b64 v[120:121], v120 offset:232
	s_waitcnt lgkmcnt(0)
	v_mul_f64 v[101:102], v[101:102], v[120:121]
	scratch_store_b64 off, v[101:102], off offset:232
.LBB49_198:
	s_or_b32 exec_lo, exec_lo, s3
	scratch_load_b64 v[101:102], off, off offset:224
	v_cmp_lt_u32_e64 s0, 28, v0
	s_waitcnt vmcnt(0)
	ds_store_b64 v104, v[101:102]
	s_waitcnt lgkmcnt(0)
	s_waitcnt_vscnt null, 0x0
	s_barrier
	buffer_gl0_inv
	s_and_saveexec_b32 s3, s0
	s_cbranch_execz .LBB49_208
; %bb.199:
	s_and_not1_b32 vcc_lo, exec_lo, s2
	s_cbranch_vccnz .LBB49_201
; %bb.200:
	scratch_load_b64 v[101:102], v105, off
	ds_load_b64 v[120:121], v104
	s_waitcnt vmcnt(0) lgkmcnt(0)
	v_mul_f64 v[101:102], v[101:102], v[120:121]
	s_cbranch_execz .LBB49_202
	s_branch .LBB49_203
.LBB49_201:
                                        ; implicit-def: $vgpr101_vgpr102
.LBB49_202:
	ds_load_b64 v[101:102], v104
.LBB49_203:
	s_and_saveexec_b32 s4, s1
	s_cbranch_execz .LBB49_207
; %bb.204:
	v_mov_b32_e32 v120, 0
	v_subrev_nc_u32_e32 v121, 29, v0
	s_movk_i32 s5, 0x278
	s_mov_b32 s1, 0
	s_delay_alu instid0(VALU_DEP_2)
	v_add_nc_u32_e32 v120, 0xe8, v120
.LBB49_205:                             ; =>This Inner Loop Header: Depth=1
	scratch_load_b64 v[122:123], v120, off
	v_dual_mov_b32 v124, s5 :: v_dual_add_nc_u32 v121, -1, v121
	v_add_nc_u32_e32 v120, 8, v120
	s_add_i32 s5, s5, 8
	ds_load_b64 v[124:125], v124
	v_cmp_eq_u32_e32 vcc_lo, 0, v121
	s_or_b32 s1, vcc_lo, s1
	s_waitcnt vmcnt(0) lgkmcnt(0)
	v_fma_f64 v[101:102], v[122:123], v[124:125], v[101:102]
	s_and_not1_b32 exec_lo, exec_lo, s1
	s_cbranch_execnz .LBB49_205
; %bb.206:
	s_or_b32 exec_lo, exec_lo, s1
.LBB49_207:
	s_delay_alu instid0(SALU_CYCLE_1)
	s_or_b32 exec_lo, exec_lo, s4
	v_mov_b32_e32 v120, 0
	ds_load_b64 v[120:121], v120 offset:224
	s_waitcnt lgkmcnt(0)
	v_mul_f64 v[101:102], v[101:102], v[120:121]
	scratch_store_b64 off, v[101:102], off offset:224
.LBB49_208:
	s_or_b32 exec_lo, exec_lo, s3
	scratch_load_b64 v[101:102], off, off offset:216
	v_cmp_lt_u32_e64 s1, 27, v0
	s_waitcnt vmcnt(0)
	ds_store_b64 v104, v[101:102]
	s_waitcnt lgkmcnt(0)
	s_waitcnt_vscnt null, 0x0
	s_barrier
	buffer_gl0_inv
	s_and_saveexec_b32 s3, s1
	s_cbranch_execz .LBB49_218
; %bb.209:
	s_and_not1_b32 vcc_lo, exec_lo, s2
	s_cbranch_vccnz .LBB49_211
; %bb.210:
	scratch_load_b64 v[101:102], v105, off
	ds_load_b64 v[120:121], v104
	s_waitcnt vmcnt(0) lgkmcnt(0)
	v_mul_f64 v[101:102], v[101:102], v[120:121]
	s_cbranch_execz .LBB49_212
	s_branch .LBB49_213
.LBB49_211:
                                        ; implicit-def: $vgpr101_vgpr102
.LBB49_212:
	ds_load_b64 v[101:102], v104
.LBB49_213:
	s_and_saveexec_b32 s4, s0
	s_cbranch_execz .LBB49_217
; %bb.214:
	v_subrev_nc_u32_e32 v120, 28, v0
	s_movk_i32 s5, 0x270
	s_mov_b32 s0, 0
.LBB49_215:                             ; =>This Inner Loop Header: Depth=1
	scratch_load_b64 v[121:122], v119, off
	v_dual_mov_b32 v123, s5 :: v_dual_add_nc_u32 v120, -1, v120
	v_add_nc_u32_e32 v119, 8, v119
	s_add_i32 s5, s5, 8
	ds_load_b64 v[123:124], v123
	v_cmp_eq_u32_e32 vcc_lo, 0, v120
	s_or_b32 s0, vcc_lo, s0
	s_waitcnt vmcnt(0) lgkmcnt(0)
	v_fma_f64 v[101:102], v[121:122], v[123:124], v[101:102]
	s_and_not1_b32 exec_lo, exec_lo, s0
	s_cbranch_execnz .LBB49_215
; %bb.216:
	s_or_b32 exec_lo, exec_lo, s0
.LBB49_217:
	s_delay_alu instid0(SALU_CYCLE_1)
	s_or_b32 exec_lo, exec_lo, s4
	v_mov_b32_e32 v119, 0
	ds_load_b64 v[119:120], v119 offset:216
	s_waitcnt lgkmcnt(0)
	v_mul_f64 v[101:102], v[101:102], v[119:120]
	scratch_store_b64 off, v[101:102], off offset:216
.LBB49_218:
	s_or_b32 exec_lo, exec_lo, s3
	scratch_load_b64 v[101:102], off, off offset:208
	v_cmp_lt_u32_e64 s0, 26, v0
	s_waitcnt vmcnt(0)
	ds_store_b64 v104, v[101:102]
	s_waitcnt lgkmcnt(0)
	s_waitcnt_vscnt null, 0x0
	s_barrier
	buffer_gl0_inv
	s_and_saveexec_b32 s3, s0
	s_cbranch_execz .LBB49_228
; %bb.219:
	s_and_not1_b32 vcc_lo, exec_lo, s2
	s_cbranch_vccnz .LBB49_221
; %bb.220:
	scratch_load_b64 v[101:102], v105, off
	ds_load_b64 v[119:120], v104
	s_waitcnt vmcnt(0) lgkmcnt(0)
	v_mul_f64 v[101:102], v[101:102], v[119:120]
	s_cbranch_execz .LBB49_222
	s_branch .LBB49_223
.LBB49_221:
                                        ; implicit-def: $vgpr101_vgpr102
.LBB49_222:
	ds_load_b64 v[101:102], v104
.LBB49_223:
	s_and_saveexec_b32 s4, s1
	s_cbranch_execz .LBB49_227
; %bb.224:
	v_mov_b32_e32 v119, 0
	v_subrev_nc_u32_e32 v120, 27, v0
	s_movk_i32 s5, 0x268
	s_mov_b32 s1, 0
	s_delay_alu instid0(VALU_DEP_2)
	v_add_nc_u32_e32 v119, 0xd8, v119
.LBB49_225:                             ; =>This Inner Loop Header: Depth=1
	scratch_load_b64 v[121:122], v119, off
	v_dual_mov_b32 v123, s5 :: v_dual_add_nc_u32 v120, -1, v120
	v_add_nc_u32_e32 v119, 8, v119
	s_add_i32 s5, s5, 8
	ds_load_b64 v[123:124], v123
	v_cmp_eq_u32_e32 vcc_lo, 0, v120
	s_or_b32 s1, vcc_lo, s1
	s_waitcnt vmcnt(0) lgkmcnt(0)
	v_fma_f64 v[101:102], v[121:122], v[123:124], v[101:102]
	s_and_not1_b32 exec_lo, exec_lo, s1
	s_cbranch_execnz .LBB49_225
; %bb.226:
	s_or_b32 exec_lo, exec_lo, s1
.LBB49_227:
	s_delay_alu instid0(SALU_CYCLE_1)
	s_or_b32 exec_lo, exec_lo, s4
	v_mov_b32_e32 v119, 0
	ds_load_b64 v[119:120], v119 offset:208
	s_waitcnt lgkmcnt(0)
	v_mul_f64 v[101:102], v[101:102], v[119:120]
	scratch_store_b64 off, v[101:102], off offset:208
.LBB49_228:
	s_or_b32 exec_lo, exec_lo, s3
	scratch_load_b64 v[101:102], off, off offset:200
	v_cmp_lt_u32_e64 s1, 25, v0
	s_waitcnt vmcnt(0)
	ds_store_b64 v104, v[101:102]
	s_waitcnt lgkmcnt(0)
	s_waitcnt_vscnt null, 0x0
	s_barrier
	buffer_gl0_inv
	s_and_saveexec_b32 s3, s1
	s_cbranch_execz .LBB49_238
; %bb.229:
	s_and_not1_b32 vcc_lo, exec_lo, s2
	s_cbranch_vccnz .LBB49_231
; %bb.230:
	scratch_load_b64 v[101:102], v105, off
	ds_load_b64 v[119:120], v104
	s_waitcnt vmcnt(0) lgkmcnt(0)
	v_mul_f64 v[101:102], v[101:102], v[119:120]
	s_cbranch_execz .LBB49_232
	s_branch .LBB49_233
.LBB49_231:
                                        ; implicit-def: $vgpr101_vgpr102
.LBB49_232:
	ds_load_b64 v[101:102], v104
.LBB49_233:
	s_and_saveexec_b32 s4, s0
	s_cbranch_execz .LBB49_237
; %bb.234:
	v_subrev_nc_u32_e32 v119, 26, v0
	s_movk_i32 s5, 0x260
	s_mov_b32 s0, 0
.LBB49_235:                             ; =>This Inner Loop Header: Depth=1
	scratch_load_b64 v[120:121], v118, off
	v_dual_mov_b32 v122, s5 :: v_dual_add_nc_u32 v119, -1, v119
	v_add_nc_u32_e32 v118, 8, v118
	s_add_i32 s5, s5, 8
	ds_load_b64 v[122:123], v122
	v_cmp_eq_u32_e32 vcc_lo, 0, v119
	s_or_b32 s0, vcc_lo, s0
	s_waitcnt vmcnt(0) lgkmcnt(0)
	v_fma_f64 v[101:102], v[120:121], v[122:123], v[101:102]
	s_and_not1_b32 exec_lo, exec_lo, s0
	s_cbranch_execnz .LBB49_235
; %bb.236:
	s_or_b32 exec_lo, exec_lo, s0
.LBB49_237:
	s_delay_alu instid0(SALU_CYCLE_1)
	s_or_b32 exec_lo, exec_lo, s4
	v_mov_b32_e32 v118, 0
	ds_load_b64 v[118:119], v118 offset:200
	s_waitcnt lgkmcnt(0)
	v_mul_f64 v[101:102], v[101:102], v[118:119]
	scratch_store_b64 off, v[101:102], off offset:200
.LBB49_238:
	s_or_b32 exec_lo, exec_lo, s3
	scratch_load_b64 v[101:102], off, off offset:192
	v_cmp_lt_u32_e64 s0, 24, v0
	s_waitcnt vmcnt(0)
	ds_store_b64 v104, v[101:102]
	s_waitcnt lgkmcnt(0)
	s_waitcnt_vscnt null, 0x0
	s_barrier
	buffer_gl0_inv
	s_and_saveexec_b32 s3, s0
	s_cbranch_execz .LBB49_248
; %bb.239:
	s_and_not1_b32 vcc_lo, exec_lo, s2
	s_cbranch_vccnz .LBB49_241
; %bb.240:
	scratch_load_b64 v[101:102], v105, off
	ds_load_b64 v[118:119], v104
	s_waitcnt vmcnt(0) lgkmcnt(0)
	v_mul_f64 v[101:102], v[101:102], v[118:119]
	s_cbranch_execz .LBB49_242
	s_branch .LBB49_243
.LBB49_241:
                                        ; implicit-def: $vgpr101_vgpr102
.LBB49_242:
	ds_load_b64 v[101:102], v104
.LBB49_243:
	s_and_saveexec_b32 s4, s1
	s_cbranch_execz .LBB49_247
; %bb.244:
	v_mov_b32_e32 v118, 0
	v_subrev_nc_u32_e32 v119, 25, v0
	s_movk_i32 s5, 0x258
	s_mov_b32 s1, 0
	s_delay_alu instid0(VALU_DEP_2)
	v_add_nc_u32_e32 v118, 0xc8, v118
.LBB49_245:                             ; =>This Inner Loop Header: Depth=1
	scratch_load_b64 v[120:121], v118, off
	v_dual_mov_b32 v122, s5 :: v_dual_add_nc_u32 v119, -1, v119
	v_add_nc_u32_e32 v118, 8, v118
	s_add_i32 s5, s5, 8
	ds_load_b64 v[122:123], v122
	v_cmp_eq_u32_e32 vcc_lo, 0, v119
	s_or_b32 s1, vcc_lo, s1
	s_waitcnt vmcnt(0) lgkmcnt(0)
	v_fma_f64 v[101:102], v[120:121], v[122:123], v[101:102]
	s_and_not1_b32 exec_lo, exec_lo, s1
	s_cbranch_execnz .LBB49_245
; %bb.246:
	s_or_b32 exec_lo, exec_lo, s1
.LBB49_247:
	s_delay_alu instid0(SALU_CYCLE_1)
	s_or_b32 exec_lo, exec_lo, s4
	v_mov_b32_e32 v118, 0
	ds_load_b64 v[118:119], v118 offset:192
	s_waitcnt lgkmcnt(0)
	v_mul_f64 v[101:102], v[101:102], v[118:119]
	scratch_store_b64 off, v[101:102], off offset:192
.LBB49_248:
	s_or_b32 exec_lo, exec_lo, s3
	scratch_load_b64 v[101:102], off, off offset:184
	v_cmp_lt_u32_e64 s1, 23, v0
	s_waitcnt vmcnt(0)
	ds_store_b64 v104, v[101:102]
	s_waitcnt lgkmcnt(0)
	s_waitcnt_vscnt null, 0x0
	s_barrier
	buffer_gl0_inv
	s_and_saveexec_b32 s3, s1
	s_cbranch_execz .LBB49_258
; %bb.249:
	s_and_not1_b32 vcc_lo, exec_lo, s2
	s_cbranch_vccnz .LBB49_251
; %bb.250:
	scratch_load_b64 v[101:102], v105, off
	ds_load_b64 v[118:119], v104
	s_waitcnt vmcnt(0) lgkmcnt(0)
	v_mul_f64 v[101:102], v[101:102], v[118:119]
	s_cbranch_execz .LBB49_252
	s_branch .LBB49_253
.LBB49_251:
                                        ; implicit-def: $vgpr101_vgpr102
.LBB49_252:
	ds_load_b64 v[101:102], v104
.LBB49_253:
	s_and_saveexec_b32 s4, s0
	s_cbranch_execz .LBB49_257
; %bb.254:
	v_subrev_nc_u32_e32 v118, 24, v0
	s_movk_i32 s5, 0x250
	s_mov_b32 s0, 0
.LBB49_255:                             ; =>This Inner Loop Header: Depth=1
	scratch_load_b64 v[119:120], v117, off
	v_dual_mov_b32 v121, s5 :: v_dual_add_nc_u32 v118, -1, v118
	v_add_nc_u32_e32 v117, 8, v117
	s_add_i32 s5, s5, 8
	ds_load_b64 v[121:122], v121
	v_cmp_eq_u32_e32 vcc_lo, 0, v118
	s_or_b32 s0, vcc_lo, s0
	s_waitcnt vmcnt(0) lgkmcnt(0)
	v_fma_f64 v[101:102], v[119:120], v[121:122], v[101:102]
	s_and_not1_b32 exec_lo, exec_lo, s0
	s_cbranch_execnz .LBB49_255
; %bb.256:
	s_or_b32 exec_lo, exec_lo, s0
.LBB49_257:
	s_delay_alu instid0(SALU_CYCLE_1)
	s_or_b32 exec_lo, exec_lo, s4
	v_mov_b32_e32 v117, 0
	ds_load_b64 v[117:118], v117 offset:184
	s_waitcnt lgkmcnt(0)
	v_mul_f64 v[101:102], v[101:102], v[117:118]
	scratch_store_b64 off, v[101:102], off offset:184
.LBB49_258:
	s_or_b32 exec_lo, exec_lo, s3
	scratch_load_b64 v[101:102], off, off offset:176
	v_cmp_lt_u32_e64 s0, 22, v0
	s_waitcnt vmcnt(0)
	ds_store_b64 v104, v[101:102]
	s_waitcnt lgkmcnt(0)
	s_waitcnt_vscnt null, 0x0
	s_barrier
	buffer_gl0_inv
	s_and_saveexec_b32 s3, s0
	s_cbranch_execz .LBB49_268
; %bb.259:
	s_and_not1_b32 vcc_lo, exec_lo, s2
	s_cbranch_vccnz .LBB49_261
; %bb.260:
	scratch_load_b64 v[101:102], v105, off
	ds_load_b64 v[117:118], v104
	s_waitcnt vmcnt(0) lgkmcnt(0)
	v_mul_f64 v[101:102], v[101:102], v[117:118]
	s_cbranch_execz .LBB49_262
	s_branch .LBB49_263
.LBB49_261:
                                        ; implicit-def: $vgpr101_vgpr102
.LBB49_262:
	ds_load_b64 v[101:102], v104
.LBB49_263:
	s_and_saveexec_b32 s4, s1
	s_cbranch_execz .LBB49_267
; %bb.264:
	v_mov_b32_e32 v117, 0
	v_subrev_nc_u32_e32 v118, 23, v0
	s_movk_i32 s5, 0x248
	s_mov_b32 s1, 0
	s_delay_alu instid0(VALU_DEP_2)
	v_add_nc_u32_e32 v117, 0xb8, v117
.LBB49_265:                             ; =>This Inner Loop Header: Depth=1
	scratch_load_b64 v[119:120], v117, off
	v_dual_mov_b32 v121, s5 :: v_dual_add_nc_u32 v118, -1, v118
	v_add_nc_u32_e32 v117, 8, v117
	s_add_i32 s5, s5, 8
	ds_load_b64 v[121:122], v121
	v_cmp_eq_u32_e32 vcc_lo, 0, v118
	s_or_b32 s1, vcc_lo, s1
	s_waitcnt vmcnt(0) lgkmcnt(0)
	v_fma_f64 v[101:102], v[119:120], v[121:122], v[101:102]
	s_and_not1_b32 exec_lo, exec_lo, s1
	s_cbranch_execnz .LBB49_265
; %bb.266:
	s_or_b32 exec_lo, exec_lo, s1
.LBB49_267:
	s_delay_alu instid0(SALU_CYCLE_1)
	s_or_b32 exec_lo, exec_lo, s4
	v_mov_b32_e32 v117, 0
	ds_load_b64 v[117:118], v117 offset:176
	s_waitcnt lgkmcnt(0)
	v_mul_f64 v[101:102], v[101:102], v[117:118]
	scratch_store_b64 off, v[101:102], off offset:176
.LBB49_268:
	s_or_b32 exec_lo, exec_lo, s3
	scratch_load_b64 v[101:102], off, off offset:168
	v_cmp_lt_u32_e64 s1, 21, v0
	s_waitcnt vmcnt(0)
	ds_store_b64 v104, v[101:102]
	s_waitcnt lgkmcnt(0)
	s_waitcnt_vscnt null, 0x0
	s_barrier
	buffer_gl0_inv
	s_and_saveexec_b32 s3, s1
	s_cbranch_execz .LBB49_278
; %bb.269:
	s_and_not1_b32 vcc_lo, exec_lo, s2
	s_cbranch_vccnz .LBB49_271
; %bb.270:
	scratch_load_b64 v[101:102], v105, off
	ds_load_b64 v[117:118], v104
	s_waitcnt vmcnt(0) lgkmcnt(0)
	v_mul_f64 v[101:102], v[101:102], v[117:118]
	s_cbranch_execz .LBB49_272
	s_branch .LBB49_273
.LBB49_271:
                                        ; implicit-def: $vgpr101_vgpr102
.LBB49_272:
	ds_load_b64 v[101:102], v104
.LBB49_273:
	s_and_saveexec_b32 s4, s0
	s_cbranch_execz .LBB49_277
; %bb.274:
	v_subrev_nc_u32_e32 v117, 22, v0
	s_movk_i32 s5, 0x240
	s_mov_b32 s0, 0
.LBB49_275:                             ; =>This Inner Loop Header: Depth=1
	scratch_load_b64 v[118:119], v116, off
	v_dual_mov_b32 v120, s5 :: v_dual_add_nc_u32 v117, -1, v117
	v_add_nc_u32_e32 v116, 8, v116
	s_add_i32 s5, s5, 8
	ds_load_b64 v[120:121], v120
	v_cmp_eq_u32_e32 vcc_lo, 0, v117
	s_or_b32 s0, vcc_lo, s0
	s_waitcnt vmcnt(0) lgkmcnt(0)
	v_fma_f64 v[101:102], v[118:119], v[120:121], v[101:102]
	s_and_not1_b32 exec_lo, exec_lo, s0
	s_cbranch_execnz .LBB49_275
; %bb.276:
	s_or_b32 exec_lo, exec_lo, s0
.LBB49_277:
	s_delay_alu instid0(SALU_CYCLE_1)
	s_or_b32 exec_lo, exec_lo, s4
	v_mov_b32_e32 v116, 0
	ds_load_b64 v[116:117], v116 offset:168
	s_waitcnt lgkmcnt(0)
	v_mul_f64 v[101:102], v[101:102], v[116:117]
	scratch_store_b64 off, v[101:102], off offset:168
.LBB49_278:
	s_or_b32 exec_lo, exec_lo, s3
	scratch_load_b64 v[101:102], off, off offset:160
	v_cmp_lt_u32_e64 s0, 20, v0
	s_waitcnt vmcnt(0)
	ds_store_b64 v104, v[101:102]
	s_waitcnt lgkmcnt(0)
	s_waitcnt_vscnt null, 0x0
	s_barrier
	buffer_gl0_inv
	s_and_saveexec_b32 s3, s0
	s_cbranch_execz .LBB49_288
; %bb.279:
	s_and_not1_b32 vcc_lo, exec_lo, s2
	s_cbranch_vccnz .LBB49_281
; %bb.280:
	scratch_load_b64 v[101:102], v105, off
	ds_load_b64 v[116:117], v104
	s_waitcnt vmcnt(0) lgkmcnt(0)
	v_mul_f64 v[101:102], v[101:102], v[116:117]
	s_cbranch_execz .LBB49_282
	s_branch .LBB49_283
.LBB49_281:
                                        ; implicit-def: $vgpr101_vgpr102
.LBB49_282:
	ds_load_b64 v[101:102], v104
.LBB49_283:
	s_and_saveexec_b32 s4, s1
	s_cbranch_execz .LBB49_287
; %bb.284:
	v_mov_b32_e32 v116, 0
	v_subrev_nc_u32_e32 v117, 21, v0
	s_movk_i32 s5, 0x238
	s_mov_b32 s1, 0
	s_delay_alu instid0(VALU_DEP_2)
	v_add_nc_u32_e32 v116, 0xa8, v116
.LBB49_285:                             ; =>This Inner Loop Header: Depth=1
	scratch_load_b64 v[118:119], v116, off
	v_dual_mov_b32 v120, s5 :: v_dual_add_nc_u32 v117, -1, v117
	v_add_nc_u32_e32 v116, 8, v116
	s_add_i32 s5, s5, 8
	ds_load_b64 v[120:121], v120
	v_cmp_eq_u32_e32 vcc_lo, 0, v117
	s_or_b32 s1, vcc_lo, s1
	s_waitcnt vmcnt(0) lgkmcnt(0)
	v_fma_f64 v[101:102], v[118:119], v[120:121], v[101:102]
	s_and_not1_b32 exec_lo, exec_lo, s1
	s_cbranch_execnz .LBB49_285
; %bb.286:
	s_or_b32 exec_lo, exec_lo, s1
.LBB49_287:
	s_delay_alu instid0(SALU_CYCLE_1)
	s_or_b32 exec_lo, exec_lo, s4
	v_mov_b32_e32 v116, 0
	ds_load_b64 v[116:117], v116 offset:160
	s_waitcnt lgkmcnt(0)
	v_mul_f64 v[101:102], v[101:102], v[116:117]
	scratch_store_b64 off, v[101:102], off offset:160
.LBB49_288:
	s_or_b32 exec_lo, exec_lo, s3
	scratch_load_b64 v[101:102], off, off offset:152
	v_cmp_lt_u32_e64 s1, 19, v0
	s_waitcnt vmcnt(0)
	ds_store_b64 v104, v[101:102]
	s_waitcnt lgkmcnt(0)
	s_waitcnt_vscnt null, 0x0
	s_barrier
	buffer_gl0_inv
	s_and_saveexec_b32 s3, s1
	s_cbranch_execz .LBB49_298
; %bb.289:
	s_and_not1_b32 vcc_lo, exec_lo, s2
	s_cbranch_vccnz .LBB49_291
; %bb.290:
	scratch_load_b64 v[101:102], v105, off
	ds_load_b64 v[116:117], v104
	s_waitcnt vmcnt(0) lgkmcnt(0)
	v_mul_f64 v[101:102], v[101:102], v[116:117]
	s_cbranch_execz .LBB49_292
	s_branch .LBB49_293
.LBB49_291:
                                        ; implicit-def: $vgpr101_vgpr102
.LBB49_292:
	ds_load_b64 v[101:102], v104
.LBB49_293:
	s_and_saveexec_b32 s4, s0
	s_cbranch_execz .LBB49_297
; %bb.294:
	v_subrev_nc_u32_e32 v116, 20, v0
	s_movk_i32 s5, 0x230
	s_mov_b32 s0, 0
.LBB49_295:                             ; =>This Inner Loop Header: Depth=1
	scratch_load_b64 v[117:118], v115, off
	v_dual_mov_b32 v119, s5 :: v_dual_add_nc_u32 v116, -1, v116
	v_add_nc_u32_e32 v115, 8, v115
	s_add_i32 s5, s5, 8
	ds_load_b64 v[119:120], v119
	v_cmp_eq_u32_e32 vcc_lo, 0, v116
	s_or_b32 s0, vcc_lo, s0
	s_waitcnt vmcnt(0) lgkmcnt(0)
	v_fma_f64 v[101:102], v[117:118], v[119:120], v[101:102]
	s_and_not1_b32 exec_lo, exec_lo, s0
	s_cbranch_execnz .LBB49_295
; %bb.296:
	s_or_b32 exec_lo, exec_lo, s0
.LBB49_297:
	s_delay_alu instid0(SALU_CYCLE_1)
	s_or_b32 exec_lo, exec_lo, s4
	v_mov_b32_e32 v115, 0
	ds_load_b64 v[115:116], v115 offset:152
	s_waitcnt lgkmcnt(0)
	v_mul_f64 v[101:102], v[101:102], v[115:116]
	scratch_store_b64 off, v[101:102], off offset:152
.LBB49_298:
	s_or_b32 exec_lo, exec_lo, s3
	scratch_load_b64 v[101:102], off, off offset:144
	v_cmp_lt_u32_e64 s0, 18, v0
	s_waitcnt vmcnt(0)
	ds_store_b64 v104, v[101:102]
	s_waitcnt lgkmcnt(0)
	s_waitcnt_vscnt null, 0x0
	s_barrier
	buffer_gl0_inv
	s_and_saveexec_b32 s3, s0
	s_cbranch_execz .LBB49_308
; %bb.299:
	s_and_not1_b32 vcc_lo, exec_lo, s2
	s_cbranch_vccnz .LBB49_301
; %bb.300:
	scratch_load_b64 v[101:102], v105, off
	ds_load_b64 v[115:116], v104
	s_waitcnt vmcnt(0) lgkmcnt(0)
	v_mul_f64 v[101:102], v[101:102], v[115:116]
	s_cbranch_execz .LBB49_302
	s_branch .LBB49_303
.LBB49_301:
                                        ; implicit-def: $vgpr101_vgpr102
.LBB49_302:
	ds_load_b64 v[101:102], v104
.LBB49_303:
	s_and_saveexec_b32 s4, s1
	s_cbranch_execz .LBB49_307
; %bb.304:
	v_mov_b32_e32 v115, 0
	v_subrev_nc_u32_e32 v116, 19, v0
	s_movk_i32 s5, 0x228
	s_mov_b32 s1, 0
	s_delay_alu instid0(VALU_DEP_2)
	v_add_nc_u32_e32 v115, 0x98, v115
.LBB49_305:                             ; =>This Inner Loop Header: Depth=1
	scratch_load_b64 v[117:118], v115, off
	v_dual_mov_b32 v119, s5 :: v_dual_add_nc_u32 v116, -1, v116
	v_add_nc_u32_e32 v115, 8, v115
	s_add_i32 s5, s5, 8
	ds_load_b64 v[119:120], v119
	v_cmp_eq_u32_e32 vcc_lo, 0, v116
	s_or_b32 s1, vcc_lo, s1
	s_waitcnt vmcnt(0) lgkmcnt(0)
	v_fma_f64 v[101:102], v[117:118], v[119:120], v[101:102]
	s_and_not1_b32 exec_lo, exec_lo, s1
	s_cbranch_execnz .LBB49_305
; %bb.306:
	s_or_b32 exec_lo, exec_lo, s1
.LBB49_307:
	s_delay_alu instid0(SALU_CYCLE_1)
	s_or_b32 exec_lo, exec_lo, s4
	v_mov_b32_e32 v115, 0
	ds_load_b64 v[115:116], v115 offset:144
	s_waitcnt lgkmcnt(0)
	v_mul_f64 v[101:102], v[101:102], v[115:116]
	scratch_store_b64 off, v[101:102], off offset:144
.LBB49_308:
	s_or_b32 exec_lo, exec_lo, s3
	scratch_load_b64 v[101:102], off, off offset:136
	v_cmp_lt_u32_e64 s1, 17, v0
	s_waitcnt vmcnt(0)
	ds_store_b64 v104, v[101:102]
	s_waitcnt lgkmcnt(0)
	s_waitcnt_vscnt null, 0x0
	s_barrier
	buffer_gl0_inv
	s_and_saveexec_b32 s3, s1
	s_cbranch_execz .LBB49_318
; %bb.309:
	s_and_not1_b32 vcc_lo, exec_lo, s2
	s_cbranch_vccnz .LBB49_311
; %bb.310:
	scratch_load_b64 v[101:102], v105, off
	ds_load_b64 v[115:116], v104
	s_waitcnt vmcnt(0) lgkmcnt(0)
	v_mul_f64 v[101:102], v[101:102], v[115:116]
	s_cbranch_execz .LBB49_312
	s_branch .LBB49_313
.LBB49_311:
                                        ; implicit-def: $vgpr101_vgpr102
.LBB49_312:
	ds_load_b64 v[101:102], v104
.LBB49_313:
	s_and_saveexec_b32 s4, s0
	s_cbranch_execz .LBB49_317
; %bb.314:
	v_subrev_nc_u32_e32 v115, 18, v0
	s_movk_i32 s5, 0x220
	s_mov_b32 s0, 0
.LBB49_315:                             ; =>This Inner Loop Header: Depth=1
	scratch_load_b64 v[116:117], v114, off
	v_dual_mov_b32 v118, s5 :: v_dual_add_nc_u32 v115, -1, v115
	v_add_nc_u32_e32 v114, 8, v114
	s_add_i32 s5, s5, 8
	ds_load_b64 v[118:119], v118
	v_cmp_eq_u32_e32 vcc_lo, 0, v115
	s_or_b32 s0, vcc_lo, s0
	s_waitcnt vmcnt(0) lgkmcnt(0)
	v_fma_f64 v[101:102], v[116:117], v[118:119], v[101:102]
	s_and_not1_b32 exec_lo, exec_lo, s0
	s_cbranch_execnz .LBB49_315
; %bb.316:
	s_or_b32 exec_lo, exec_lo, s0
.LBB49_317:
	s_delay_alu instid0(SALU_CYCLE_1)
	s_or_b32 exec_lo, exec_lo, s4
	v_mov_b32_e32 v114, 0
	ds_load_b64 v[114:115], v114 offset:136
	s_waitcnt lgkmcnt(0)
	v_mul_f64 v[101:102], v[101:102], v[114:115]
	scratch_store_b64 off, v[101:102], off offset:136
.LBB49_318:
	s_or_b32 exec_lo, exec_lo, s3
	scratch_load_b64 v[101:102], off, off offset:128
	v_cmp_lt_u32_e64 s0, 16, v0
	s_waitcnt vmcnt(0)
	ds_store_b64 v104, v[101:102]
	s_waitcnt lgkmcnt(0)
	s_waitcnt_vscnt null, 0x0
	s_barrier
	buffer_gl0_inv
	s_and_saveexec_b32 s3, s0
	s_cbranch_execz .LBB49_328
; %bb.319:
	s_and_not1_b32 vcc_lo, exec_lo, s2
	s_cbranch_vccnz .LBB49_321
; %bb.320:
	scratch_load_b64 v[101:102], v105, off
	ds_load_b64 v[114:115], v104
	s_waitcnt vmcnt(0) lgkmcnt(0)
	v_mul_f64 v[101:102], v[101:102], v[114:115]
	s_cbranch_execz .LBB49_322
	s_branch .LBB49_323
.LBB49_321:
                                        ; implicit-def: $vgpr101_vgpr102
.LBB49_322:
	ds_load_b64 v[101:102], v104
.LBB49_323:
	s_and_saveexec_b32 s4, s1
	s_cbranch_execz .LBB49_327
; %bb.324:
	v_mov_b32_e32 v114, 0
	v_subrev_nc_u32_e32 v115, 17, v0
	s_movk_i32 s5, 0x218
	s_mov_b32 s1, 0
	s_delay_alu instid0(VALU_DEP_2)
	v_add_nc_u32_e32 v114, 0x88, v114
.LBB49_325:                             ; =>This Inner Loop Header: Depth=1
	scratch_load_b64 v[116:117], v114, off
	v_dual_mov_b32 v118, s5 :: v_dual_add_nc_u32 v115, -1, v115
	v_add_nc_u32_e32 v114, 8, v114
	s_add_i32 s5, s5, 8
	ds_load_b64 v[118:119], v118
	v_cmp_eq_u32_e32 vcc_lo, 0, v115
	s_or_b32 s1, vcc_lo, s1
	s_waitcnt vmcnt(0) lgkmcnt(0)
	v_fma_f64 v[101:102], v[116:117], v[118:119], v[101:102]
	s_and_not1_b32 exec_lo, exec_lo, s1
	s_cbranch_execnz .LBB49_325
; %bb.326:
	s_or_b32 exec_lo, exec_lo, s1
.LBB49_327:
	s_delay_alu instid0(SALU_CYCLE_1)
	s_or_b32 exec_lo, exec_lo, s4
	v_mov_b32_e32 v114, 0
	ds_load_b64 v[114:115], v114 offset:128
	s_waitcnt lgkmcnt(0)
	v_mul_f64 v[101:102], v[101:102], v[114:115]
	scratch_store_b64 off, v[101:102], off offset:128
.LBB49_328:
	s_or_b32 exec_lo, exec_lo, s3
	scratch_load_b64 v[101:102], off, off offset:120
	v_cmp_lt_u32_e64 s1, 15, v0
	s_waitcnt vmcnt(0)
	ds_store_b64 v104, v[101:102]
	s_waitcnt lgkmcnt(0)
	s_waitcnt_vscnt null, 0x0
	s_barrier
	buffer_gl0_inv
	s_and_saveexec_b32 s3, s1
	s_cbranch_execz .LBB49_338
; %bb.329:
	s_and_not1_b32 vcc_lo, exec_lo, s2
	s_cbranch_vccnz .LBB49_331
; %bb.330:
	scratch_load_b64 v[101:102], v105, off
	ds_load_b64 v[114:115], v104
	s_waitcnt vmcnt(0) lgkmcnt(0)
	v_mul_f64 v[101:102], v[101:102], v[114:115]
	s_cbranch_execz .LBB49_332
	s_branch .LBB49_333
.LBB49_331:
                                        ; implicit-def: $vgpr101_vgpr102
.LBB49_332:
	ds_load_b64 v[101:102], v104
.LBB49_333:
	s_and_saveexec_b32 s4, s0
	s_cbranch_execz .LBB49_337
; %bb.334:
	v_add_nc_u32_e32 v114, -16, v0
	s_movk_i32 s5, 0x210
	s_mov_b32 s0, 0
.LBB49_335:                             ; =>This Inner Loop Header: Depth=1
	scratch_load_b64 v[115:116], v113, off
	v_dual_mov_b32 v117, s5 :: v_dual_add_nc_u32 v114, -1, v114
	v_add_nc_u32_e32 v113, 8, v113
	s_add_i32 s5, s5, 8
	ds_load_b64 v[117:118], v117
	v_cmp_eq_u32_e32 vcc_lo, 0, v114
	s_or_b32 s0, vcc_lo, s0
	s_waitcnt vmcnt(0) lgkmcnt(0)
	v_fma_f64 v[101:102], v[115:116], v[117:118], v[101:102]
	s_and_not1_b32 exec_lo, exec_lo, s0
	s_cbranch_execnz .LBB49_335
; %bb.336:
	s_or_b32 exec_lo, exec_lo, s0
.LBB49_337:
	s_delay_alu instid0(SALU_CYCLE_1)
	s_or_b32 exec_lo, exec_lo, s4
	v_mov_b32_e32 v113, 0
	ds_load_b64 v[113:114], v113 offset:120
	s_waitcnt lgkmcnt(0)
	v_mul_f64 v[101:102], v[101:102], v[113:114]
	scratch_store_b64 off, v[101:102], off offset:120
.LBB49_338:
	s_or_b32 exec_lo, exec_lo, s3
	scratch_load_b64 v[101:102], off, off offset:112
	v_cmp_lt_u32_e64 s0, 14, v0
	s_waitcnt vmcnt(0)
	ds_store_b64 v104, v[101:102]
	s_waitcnt lgkmcnt(0)
	s_waitcnt_vscnt null, 0x0
	s_barrier
	buffer_gl0_inv
	s_and_saveexec_b32 s3, s0
	s_cbranch_execz .LBB49_348
; %bb.339:
	s_and_not1_b32 vcc_lo, exec_lo, s2
	s_cbranch_vccnz .LBB49_341
; %bb.340:
	scratch_load_b64 v[101:102], v105, off
	ds_load_b64 v[113:114], v104
	s_waitcnt vmcnt(0) lgkmcnt(0)
	v_mul_f64 v[101:102], v[101:102], v[113:114]
	s_cbranch_execz .LBB49_342
	s_branch .LBB49_343
.LBB49_341:
                                        ; implicit-def: $vgpr101_vgpr102
.LBB49_342:
	ds_load_b64 v[101:102], v104
.LBB49_343:
	s_and_saveexec_b32 s4, s1
	s_cbranch_execz .LBB49_347
; %bb.344:
	v_dual_mov_b32 v113, 0 :: v_dual_add_nc_u32 v114, -15, v0
	s_movk_i32 s5, 0x208
	s_mov_b32 s1, 0
	s_delay_alu instid0(VALU_DEP_1)
	v_add_nc_u32_e32 v113, 0x78, v113
.LBB49_345:                             ; =>This Inner Loop Header: Depth=1
	scratch_load_b64 v[115:116], v113, off
	v_dual_mov_b32 v117, s5 :: v_dual_add_nc_u32 v114, -1, v114
	v_add_nc_u32_e32 v113, 8, v113
	s_add_i32 s5, s5, 8
	ds_load_b64 v[117:118], v117
	v_cmp_eq_u32_e32 vcc_lo, 0, v114
	s_or_b32 s1, vcc_lo, s1
	s_waitcnt vmcnt(0) lgkmcnt(0)
	v_fma_f64 v[101:102], v[115:116], v[117:118], v[101:102]
	s_and_not1_b32 exec_lo, exec_lo, s1
	s_cbranch_execnz .LBB49_345
; %bb.346:
	s_or_b32 exec_lo, exec_lo, s1
.LBB49_347:
	s_delay_alu instid0(SALU_CYCLE_1)
	s_or_b32 exec_lo, exec_lo, s4
	v_mov_b32_e32 v113, 0
	ds_load_b64 v[113:114], v113 offset:112
	s_waitcnt lgkmcnt(0)
	v_mul_f64 v[101:102], v[101:102], v[113:114]
	scratch_store_b64 off, v[101:102], off offset:112
.LBB49_348:
	s_or_b32 exec_lo, exec_lo, s3
	scratch_load_b64 v[101:102], off, off offset:104
	v_cmp_lt_u32_e64 s1, 13, v0
	s_waitcnt vmcnt(0)
	ds_store_b64 v104, v[101:102]
	s_waitcnt lgkmcnt(0)
	s_waitcnt_vscnt null, 0x0
	s_barrier
	buffer_gl0_inv
	s_and_saveexec_b32 s3, s1
	s_cbranch_execz .LBB49_358
; %bb.349:
	s_and_not1_b32 vcc_lo, exec_lo, s2
	s_cbranch_vccnz .LBB49_351
; %bb.350:
	scratch_load_b64 v[101:102], v105, off
	ds_load_b64 v[113:114], v104
	s_waitcnt vmcnt(0) lgkmcnt(0)
	v_mul_f64 v[101:102], v[101:102], v[113:114]
	s_cbranch_execz .LBB49_352
	s_branch .LBB49_353
.LBB49_351:
                                        ; implicit-def: $vgpr101_vgpr102
.LBB49_352:
	ds_load_b64 v[101:102], v104
.LBB49_353:
	s_and_saveexec_b32 s4, s0
	s_cbranch_execz .LBB49_357
; %bb.354:
	v_add_nc_u32_e32 v113, -14, v0
	s_movk_i32 s5, 0x200
	s_mov_b32 s0, 0
.LBB49_355:                             ; =>This Inner Loop Header: Depth=1
	scratch_load_b64 v[114:115], v112, off
	v_dual_mov_b32 v116, s5 :: v_dual_add_nc_u32 v113, -1, v113
	v_add_nc_u32_e32 v112, 8, v112
	s_add_i32 s5, s5, 8
	ds_load_b64 v[116:117], v116
	v_cmp_eq_u32_e32 vcc_lo, 0, v113
	s_or_b32 s0, vcc_lo, s0
	s_waitcnt vmcnt(0) lgkmcnt(0)
	v_fma_f64 v[101:102], v[114:115], v[116:117], v[101:102]
	s_and_not1_b32 exec_lo, exec_lo, s0
	s_cbranch_execnz .LBB49_355
; %bb.356:
	s_or_b32 exec_lo, exec_lo, s0
.LBB49_357:
	s_delay_alu instid0(SALU_CYCLE_1)
	s_or_b32 exec_lo, exec_lo, s4
	v_mov_b32_e32 v112, 0
	ds_load_b64 v[112:113], v112 offset:104
	s_waitcnt lgkmcnt(0)
	v_mul_f64 v[101:102], v[101:102], v[112:113]
	scratch_store_b64 off, v[101:102], off offset:104
.LBB49_358:
	s_or_b32 exec_lo, exec_lo, s3
	scratch_load_b64 v[101:102], off, off offset:96
	v_cmp_lt_u32_e64 s0, 12, v0
	s_waitcnt vmcnt(0)
	ds_store_b64 v104, v[101:102]
	s_waitcnt lgkmcnt(0)
	s_waitcnt_vscnt null, 0x0
	s_barrier
	buffer_gl0_inv
	s_and_saveexec_b32 s3, s0
	s_cbranch_execz .LBB49_368
; %bb.359:
	s_and_not1_b32 vcc_lo, exec_lo, s2
	s_cbranch_vccnz .LBB49_361
; %bb.360:
	scratch_load_b64 v[101:102], v105, off
	ds_load_b64 v[112:113], v104
	s_waitcnt vmcnt(0) lgkmcnt(0)
	v_mul_f64 v[101:102], v[101:102], v[112:113]
	s_cbranch_execz .LBB49_362
	s_branch .LBB49_363
.LBB49_361:
                                        ; implicit-def: $vgpr101_vgpr102
.LBB49_362:
	ds_load_b64 v[101:102], v104
.LBB49_363:
	s_and_saveexec_b32 s4, s1
	s_cbranch_execz .LBB49_367
; %bb.364:
	v_dual_mov_b32 v112, 0 :: v_dual_add_nc_u32 v113, -13, v0
	s_movk_i32 s5, 0x1f8
	s_mov_b32 s1, 0
	s_delay_alu instid0(VALU_DEP_1)
	v_add_nc_u32_e32 v112, 0x68, v112
.LBB49_365:                             ; =>This Inner Loop Header: Depth=1
	scratch_load_b64 v[114:115], v112, off
	v_dual_mov_b32 v116, s5 :: v_dual_add_nc_u32 v113, -1, v113
	v_add_nc_u32_e32 v112, 8, v112
	s_add_i32 s5, s5, 8
	ds_load_b64 v[116:117], v116
	v_cmp_eq_u32_e32 vcc_lo, 0, v113
	s_or_b32 s1, vcc_lo, s1
	s_waitcnt vmcnt(0) lgkmcnt(0)
	v_fma_f64 v[101:102], v[114:115], v[116:117], v[101:102]
	s_and_not1_b32 exec_lo, exec_lo, s1
	s_cbranch_execnz .LBB49_365
; %bb.366:
	s_or_b32 exec_lo, exec_lo, s1
.LBB49_367:
	s_delay_alu instid0(SALU_CYCLE_1)
	s_or_b32 exec_lo, exec_lo, s4
	v_mov_b32_e32 v112, 0
	ds_load_b64 v[112:113], v112 offset:96
	s_waitcnt lgkmcnt(0)
	v_mul_f64 v[101:102], v[101:102], v[112:113]
	scratch_store_b64 off, v[101:102], off offset:96
.LBB49_368:
	s_or_b32 exec_lo, exec_lo, s3
	scratch_load_b64 v[101:102], off, off offset:88
	v_cmp_lt_u32_e64 s1, 11, v0
	s_waitcnt vmcnt(0)
	ds_store_b64 v104, v[101:102]
	s_waitcnt lgkmcnt(0)
	s_waitcnt_vscnt null, 0x0
	s_barrier
	buffer_gl0_inv
	s_and_saveexec_b32 s3, s1
	s_cbranch_execz .LBB49_378
; %bb.369:
	s_and_not1_b32 vcc_lo, exec_lo, s2
	s_cbranch_vccnz .LBB49_371
; %bb.370:
	scratch_load_b64 v[101:102], v105, off
	ds_load_b64 v[112:113], v104
	s_waitcnt vmcnt(0) lgkmcnt(0)
	v_mul_f64 v[101:102], v[101:102], v[112:113]
	s_cbranch_execz .LBB49_372
	s_branch .LBB49_373
.LBB49_371:
                                        ; implicit-def: $vgpr101_vgpr102
.LBB49_372:
	ds_load_b64 v[101:102], v104
.LBB49_373:
	s_and_saveexec_b32 s4, s0
	s_cbranch_execz .LBB49_377
; %bb.374:
	v_add_nc_u32_e32 v112, -12, v0
	s_movk_i32 s5, 0x1f0
	s_mov_b32 s0, 0
.LBB49_375:                             ; =>This Inner Loop Header: Depth=1
	scratch_load_b64 v[113:114], v111, off
	v_dual_mov_b32 v115, s5 :: v_dual_add_nc_u32 v112, -1, v112
	v_add_nc_u32_e32 v111, 8, v111
	s_add_i32 s5, s5, 8
	ds_load_b64 v[115:116], v115
	v_cmp_eq_u32_e32 vcc_lo, 0, v112
	s_or_b32 s0, vcc_lo, s0
	s_waitcnt vmcnt(0) lgkmcnt(0)
	v_fma_f64 v[101:102], v[113:114], v[115:116], v[101:102]
	s_and_not1_b32 exec_lo, exec_lo, s0
	s_cbranch_execnz .LBB49_375
; %bb.376:
	s_or_b32 exec_lo, exec_lo, s0
.LBB49_377:
	s_delay_alu instid0(SALU_CYCLE_1)
	s_or_b32 exec_lo, exec_lo, s4
	v_mov_b32_e32 v111, 0
	ds_load_b64 v[111:112], v111 offset:88
	s_waitcnt lgkmcnt(0)
	v_mul_f64 v[101:102], v[101:102], v[111:112]
	scratch_store_b64 off, v[101:102], off offset:88
.LBB49_378:
	s_or_b32 exec_lo, exec_lo, s3
	scratch_load_b64 v[101:102], off, off offset:80
	v_cmp_lt_u32_e64 s0, 10, v0
	s_waitcnt vmcnt(0)
	ds_store_b64 v104, v[101:102]
	s_waitcnt lgkmcnt(0)
	s_waitcnt_vscnt null, 0x0
	s_barrier
	buffer_gl0_inv
	s_and_saveexec_b32 s3, s0
	s_cbranch_execz .LBB49_388
; %bb.379:
	s_and_not1_b32 vcc_lo, exec_lo, s2
	s_cbranch_vccnz .LBB49_381
; %bb.380:
	scratch_load_b64 v[101:102], v105, off
	ds_load_b64 v[111:112], v104
	s_waitcnt vmcnt(0) lgkmcnt(0)
	v_mul_f64 v[101:102], v[101:102], v[111:112]
	s_cbranch_execz .LBB49_382
	s_branch .LBB49_383
.LBB49_381:
                                        ; implicit-def: $vgpr101_vgpr102
.LBB49_382:
	ds_load_b64 v[101:102], v104
.LBB49_383:
	s_and_saveexec_b32 s4, s1
	s_cbranch_execz .LBB49_387
; %bb.384:
	v_dual_mov_b32 v111, 0 :: v_dual_add_nc_u32 v112, -11, v0
	s_movk_i32 s5, 0x1e8
	s_mov_b32 s1, 0
	s_delay_alu instid0(VALU_DEP_1)
	v_add_nc_u32_e32 v111, 0x58, v111
.LBB49_385:                             ; =>This Inner Loop Header: Depth=1
	scratch_load_b64 v[113:114], v111, off
	v_dual_mov_b32 v115, s5 :: v_dual_add_nc_u32 v112, -1, v112
	v_add_nc_u32_e32 v111, 8, v111
	s_add_i32 s5, s5, 8
	ds_load_b64 v[115:116], v115
	v_cmp_eq_u32_e32 vcc_lo, 0, v112
	s_or_b32 s1, vcc_lo, s1
	s_waitcnt vmcnt(0) lgkmcnt(0)
	v_fma_f64 v[101:102], v[113:114], v[115:116], v[101:102]
	s_and_not1_b32 exec_lo, exec_lo, s1
	s_cbranch_execnz .LBB49_385
; %bb.386:
	s_or_b32 exec_lo, exec_lo, s1
.LBB49_387:
	s_delay_alu instid0(SALU_CYCLE_1)
	s_or_b32 exec_lo, exec_lo, s4
	v_mov_b32_e32 v111, 0
	ds_load_b64 v[111:112], v111 offset:80
	s_waitcnt lgkmcnt(0)
	v_mul_f64 v[101:102], v[101:102], v[111:112]
	scratch_store_b64 off, v[101:102], off offset:80
.LBB49_388:
	s_or_b32 exec_lo, exec_lo, s3
	scratch_load_b64 v[101:102], off, off offset:72
	v_cmp_lt_u32_e64 s1, 9, v0
	s_waitcnt vmcnt(0)
	ds_store_b64 v104, v[101:102]
	s_waitcnt lgkmcnt(0)
	s_waitcnt_vscnt null, 0x0
	s_barrier
	buffer_gl0_inv
	s_and_saveexec_b32 s3, s1
	s_cbranch_execz .LBB49_398
; %bb.389:
	s_and_not1_b32 vcc_lo, exec_lo, s2
	s_cbranch_vccnz .LBB49_391
; %bb.390:
	scratch_load_b64 v[101:102], v105, off
	ds_load_b64 v[111:112], v104
	s_waitcnt vmcnt(0) lgkmcnt(0)
	v_mul_f64 v[101:102], v[101:102], v[111:112]
	s_cbranch_execz .LBB49_392
	s_branch .LBB49_393
.LBB49_391:
                                        ; implicit-def: $vgpr101_vgpr102
.LBB49_392:
	ds_load_b64 v[101:102], v104
.LBB49_393:
	s_and_saveexec_b32 s4, s0
	s_cbranch_execz .LBB49_397
; %bb.394:
	v_add_nc_u32_e32 v111, -10, v0
	s_movk_i32 s5, 0x1e0
	s_mov_b32 s0, 0
.LBB49_395:                             ; =>This Inner Loop Header: Depth=1
	scratch_load_b64 v[112:113], v110, off
	v_dual_mov_b32 v114, s5 :: v_dual_add_nc_u32 v111, -1, v111
	v_add_nc_u32_e32 v110, 8, v110
	s_add_i32 s5, s5, 8
	ds_load_b64 v[114:115], v114
	v_cmp_eq_u32_e32 vcc_lo, 0, v111
	s_or_b32 s0, vcc_lo, s0
	s_waitcnt vmcnt(0) lgkmcnt(0)
	v_fma_f64 v[101:102], v[112:113], v[114:115], v[101:102]
	s_and_not1_b32 exec_lo, exec_lo, s0
	s_cbranch_execnz .LBB49_395
; %bb.396:
	s_or_b32 exec_lo, exec_lo, s0
.LBB49_397:
	s_delay_alu instid0(SALU_CYCLE_1)
	s_or_b32 exec_lo, exec_lo, s4
	v_mov_b32_e32 v110, 0
	ds_load_b64 v[110:111], v110 offset:72
	s_waitcnt lgkmcnt(0)
	v_mul_f64 v[101:102], v[101:102], v[110:111]
	scratch_store_b64 off, v[101:102], off offset:72
.LBB49_398:
	s_or_b32 exec_lo, exec_lo, s3
	scratch_load_b64 v[101:102], off, off offset:64
	v_cmp_lt_u32_e64 s0, 8, v0
	s_waitcnt vmcnt(0)
	ds_store_b64 v104, v[101:102]
	s_waitcnt lgkmcnt(0)
	s_waitcnt_vscnt null, 0x0
	s_barrier
	buffer_gl0_inv
	s_and_saveexec_b32 s3, s0
	s_cbranch_execz .LBB49_408
; %bb.399:
	s_and_not1_b32 vcc_lo, exec_lo, s2
	s_cbranch_vccnz .LBB49_401
; %bb.400:
	scratch_load_b64 v[101:102], v105, off
	ds_load_b64 v[110:111], v104
	s_waitcnt vmcnt(0) lgkmcnt(0)
	v_mul_f64 v[101:102], v[101:102], v[110:111]
	s_cbranch_execz .LBB49_402
	s_branch .LBB49_403
.LBB49_401:
                                        ; implicit-def: $vgpr101_vgpr102
.LBB49_402:
	ds_load_b64 v[101:102], v104
.LBB49_403:
	s_and_saveexec_b32 s4, s1
	s_cbranch_execz .LBB49_407
; %bb.404:
	v_dual_mov_b32 v110, 0 :: v_dual_add_nc_u32 v111, -9, v0
	s_movk_i32 s5, 0x1d8
	s_mov_b32 s1, 0
	s_delay_alu instid0(VALU_DEP_1)
	v_add_nc_u32_e32 v110, 0x48, v110
.LBB49_405:                             ; =>This Inner Loop Header: Depth=1
	scratch_load_b64 v[112:113], v110, off
	v_dual_mov_b32 v114, s5 :: v_dual_add_nc_u32 v111, -1, v111
	v_add_nc_u32_e32 v110, 8, v110
	s_add_i32 s5, s5, 8
	ds_load_b64 v[114:115], v114
	v_cmp_eq_u32_e32 vcc_lo, 0, v111
	s_or_b32 s1, vcc_lo, s1
	s_waitcnt vmcnt(0) lgkmcnt(0)
	v_fma_f64 v[101:102], v[112:113], v[114:115], v[101:102]
	s_and_not1_b32 exec_lo, exec_lo, s1
	s_cbranch_execnz .LBB49_405
; %bb.406:
	s_or_b32 exec_lo, exec_lo, s1
.LBB49_407:
	s_delay_alu instid0(SALU_CYCLE_1)
	s_or_b32 exec_lo, exec_lo, s4
	v_mov_b32_e32 v110, 0
	ds_load_b64 v[110:111], v110 offset:64
	s_waitcnt lgkmcnt(0)
	v_mul_f64 v[101:102], v[101:102], v[110:111]
	scratch_store_b64 off, v[101:102], off offset:64
.LBB49_408:
	s_or_b32 exec_lo, exec_lo, s3
	scratch_load_b64 v[101:102], off, off offset:56
	v_cmp_lt_u32_e64 s1, 7, v0
	s_waitcnt vmcnt(0)
	ds_store_b64 v104, v[101:102]
	s_waitcnt lgkmcnt(0)
	s_waitcnt_vscnt null, 0x0
	s_barrier
	buffer_gl0_inv
	s_and_saveexec_b32 s3, s1
	s_cbranch_execz .LBB49_418
; %bb.409:
	s_and_not1_b32 vcc_lo, exec_lo, s2
	s_cbranch_vccnz .LBB49_411
; %bb.410:
	scratch_load_b64 v[101:102], v105, off
	ds_load_b64 v[110:111], v104
	s_waitcnt vmcnt(0) lgkmcnt(0)
	v_mul_f64 v[101:102], v[101:102], v[110:111]
	s_cbranch_execz .LBB49_412
	s_branch .LBB49_413
.LBB49_411:
                                        ; implicit-def: $vgpr101_vgpr102
.LBB49_412:
	ds_load_b64 v[101:102], v104
.LBB49_413:
	s_and_saveexec_b32 s4, s0
	s_cbranch_execz .LBB49_417
; %bb.414:
	v_add_nc_u32_e32 v110, -8, v0
	s_movk_i32 s5, 0x1d0
	s_mov_b32 s0, 0
.LBB49_415:                             ; =>This Inner Loop Header: Depth=1
	scratch_load_b64 v[111:112], v109, off
	v_dual_mov_b32 v113, s5 :: v_dual_add_nc_u32 v110, -1, v110
	v_add_nc_u32_e32 v109, 8, v109
	s_add_i32 s5, s5, 8
	ds_load_b64 v[113:114], v113
	v_cmp_eq_u32_e32 vcc_lo, 0, v110
	s_or_b32 s0, vcc_lo, s0
	s_waitcnt vmcnt(0) lgkmcnt(0)
	v_fma_f64 v[101:102], v[111:112], v[113:114], v[101:102]
	s_and_not1_b32 exec_lo, exec_lo, s0
	s_cbranch_execnz .LBB49_415
; %bb.416:
	s_or_b32 exec_lo, exec_lo, s0
.LBB49_417:
	s_delay_alu instid0(SALU_CYCLE_1)
	s_or_b32 exec_lo, exec_lo, s4
	v_mov_b32_e32 v109, 0
	ds_load_b64 v[109:110], v109 offset:56
	s_waitcnt lgkmcnt(0)
	v_mul_f64 v[101:102], v[101:102], v[109:110]
	scratch_store_b64 off, v[101:102], off offset:56
.LBB49_418:
	s_or_b32 exec_lo, exec_lo, s3
	scratch_load_b64 v[101:102], off, off offset:48
	v_cmp_lt_u32_e64 s0, 6, v0
	s_waitcnt vmcnt(0)
	ds_store_b64 v104, v[101:102]
	s_waitcnt lgkmcnt(0)
	s_waitcnt_vscnt null, 0x0
	s_barrier
	buffer_gl0_inv
	s_and_saveexec_b32 s3, s0
	s_cbranch_execz .LBB49_428
; %bb.419:
	s_and_not1_b32 vcc_lo, exec_lo, s2
	s_cbranch_vccnz .LBB49_421
; %bb.420:
	scratch_load_b64 v[101:102], v105, off
	ds_load_b64 v[109:110], v104
	s_waitcnt vmcnt(0) lgkmcnt(0)
	v_mul_f64 v[101:102], v[101:102], v[109:110]
	s_cbranch_execz .LBB49_422
	s_branch .LBB49_423
.LBB49_421:
                                        ; implicit-def: $vgpr101_vgpr102
.LBB49_422:
	ds_load_b64 v[101:102], v104
.LBB49_423:
	s_and_saveexec_b32 s4, s1
	s_cbranch_execz .LBB49_427
; %bb.424:
	v_add_nc_u32_e64 v109, 0, 56
	v_add_nc_u32_e32 v110, -7, v0
	s_movk_i32 s5, 0x1c8
	s_mov_b32 s1, 0
.LBB49_425:                             ; =>This Inner Loop Header: Depth=1
	scratch_load_b64 v[111:112], v109, off
	v_dual_mov_b32 v113, s5 :: v_dual_add_nc_u32 v110, -1, v110
	v_add_nc_u32_e32 v109, 8, v109
	s_add_i32 s5, s5, 8
	ds_load_b64 v[113:114], v113
	v_cmp_eq_u32_e32 vcc_lo, 0, v110
	s_or_b32 s1, vcc_lo, s1
	s_waitcnt vmcnt(0) lgkmcnt(0)
	v_fma_f64 v[101:102], v[111:112], v[113:114], v[101:102]
	s_and_not1_b32 exec_lo, exec_lo, s1
	s_cbranch_execnz .LBB49_425
; %bb.426:
	s_or_b32 exec_lo, exec_lo, s1
.LBB49_427:
	s_delay_alu instid0(SALU_CYCLE_1)
	s_or_b32 exec_lo, exec_lo, s4
	v_mov_b32_e32 v109, 0
	ds_load_b64 v[109:110], v109 offset:48
	s_waitcnt lgkmcnt(0)
	v_mul_f64 v[101:102], v[101:102], v[109:110]
	scratch_store_b64 off, v[101:102], off offset:48
.LBB49_428:
	s_or_b32 exec_lo, exec_lo, s3
	scratch_load_b64 v[101:102], off, off offset:40
	v_cmp_lt_u32_e64 s1, 5, v0
	s_waitcnt vmcnt(0)
	ds_store_b64 v104, v[101:102]
	s_waitcnt lgkmcnt(0)
	s_waitcnt_vscnt null, 0x0
	s_barrier
	buffer_gl0_inv
	s_and_saveexec_b32 s3, s1
	s_cbranch_execz .LBB49_438
; %bb.429:
	s_and_not1_b32 vcc_lo, exec_lo, s2
	s_cbranch_vccnz .LBB49_431
; %bb.430:
	scratch_load_b64 v[101:102], v105, off
	ds_load_b64 v[109:110], v104
	s_waitcnt vmcnt(0) lgkmcnt(0)
	v_mul_f64 v[101:102], v[101:102], v[109:110]
	s_cbranch_execz .LBB49_432
	s_branch .LBB49_433
.LBB49_431:
                                        ; implicit-def: $vgpr101_vgpr102
.LBB49_432:
	ds_load_b64 v[101:102], v104
.LBB49_433:
	s_and_saveexec_b32 s4, s0
	s_cbranch_execz .LBB49_437
; %bb.434:
	v_add_nc_u32_e32 v109, -6, v0
	s_movk_i32 s5, 0x1c0
	s_mov_b32 s0, 0
.LBB49_435:                             ; =>This Inner Loop Header: Depth=1
	scratch_load_b64 v[110:111], v108, off
	v_dual_mov_b32 v112, s5 :: v_dual_add_nc_u32 v109, -1, v109
	v_add_nc_u32_e32 v108, 8, v108
	s_add_i32 s5, s5, 8
	ds_load_b64 v[112:113], v112
	v_cmp_eq_u32_e32 vcc_lo, 0, v109
	s_or_b32 s0, vcc_lo, s0
	s_waitcnt vmcnt(0) lgkmcnt(0)
	v_fma_f64 v[101:102], v[110:111], v[112:113], v[101:102]
	s_and_not1_b32 exec_lo, exec_lo, s0
	s_cbranch_execnz .LBB49_435
; %bb.436:
	s_or_b32 exec_lo, exec_lo, s0
.LBB49_437:
	s_delay_alu instid0(SALU_CYCLE_1)
	s_or_b32 exec_lo, exec_lo, s4
	v_mov_b32_e32 v108, 0
	ds_load_b64 v[108:109], v108 offset:40
	s_waitcnt lgkmcnt(0)
	v_mul_f64 v[101:102], v[101:102], v[108:109]
	scratch_store_b64 off, v[101:102], off offset:40
.LBB49_438:
	s_or_b32 exec_lo, exec_lo, s3
	scratch_load_b64 v[101:102], off, off offset:32
	v_cmp_lt_u32_e64 s0, 4, v0
	s_waitcnt vmcnt(0)
	ds_store_b64 v104, v[101:102]
	s_waitcnt lgkmcnt(0)
	s_waitcnt_vscnt null, 0x0
	s_barrier
	buffer_gl0_inv
	s_and_saveexec_b32 s3, s0
	s_cbranch_execz .LBB49_448
; %bb.439:
	s_and_not1_b32 vcc_lo, exec_lo, s2
	s_cbranch_vccnz .LBB49_441
; %bb.440:
	scratch_load_b64 v[101:102], v105, off
	ds_load_b64 v[108:109], v104
	s_waitcnt vmcnt(0) lgkmcnt(0)
	v_mul_f64 v[101:102], v[101:102], v[108:109]
	s_cbranch_execz .LBB49_442
	s_branch .LBB49_443
.LBB49_441:
                                        ; implicit-def: $vgpr101_vgpr102
.LBB49_442:
	ds_load_b64 v[101:102], v104
.LBB49_443:
	s_and_saveexec_b32 s4, s1
	s_cbranch_execz .LBB49_447
; %bb.444:
	v_add_nc_u32_e64 v108, 0, 40
	v_add_nc_u32_e32 v109, -5, v0
	s_movk_i32 s5, 0x1b8
	s_mov_b32 s1, 0
.LBB49_445:                             ; =>This Inner Loop Header: Depth=1
	scratch_load_b64 v[110:111], v108, off
	v_dual_mov_b32 v112, s5 :: v_dual_add_nc_u32 v109, -1, v109
	v_add_nc_u32_e32 v108, 8, v108
	s_add_i32 s5, s5, 8
	ds_load_b64 v[112:113], v112
	v_cmp_eq_u32_e32 vcc_lo, 0, v109
	s_or_b32 s1, vcc_lo, s1
	s_waitcnt vmcnt(0) lgkmcnt(0)
	v_fma_f64 v[101:102], v[110:111], v[112:113], v[101:102]
	s_and_not1_b32 exec_lo, exec_lo, s1
	s_cbranch_execnz .LBB49_445
; %bb.446:
	s_or_b32 exec_lo, exec_lo, s1
.LBB49_447:
	s_delay_alu instid0(SALU_CYCLE_1)
	s_or_b32 exec_lo, exec_lo, s4
	v_mov_b32_e32 v108, 0
	ds_load_b64 v[108:109], v108 offset:32
	s_waitcnt lgkmcnt(0)
	v_mul_f64 v[101:102], v[101:102], v[108:109]
	scratch_store_b64 off, v[101:102], off offset:32
.LBB49_448:
	s_or_b32 exec_lo, exec_lo, s3
	scratch_load_b64 v[101:102], off, off offset:24
	v_cmp_lt_u32_e64 s1, 3, v0
	s_waitcnt vmcnt(0)
	ds_store_b64 v104, v[101:102]
	s_waitcnt lgkmcnt(0)
	s_waitcnt_vscnt null, 0x0
	s_barrier
	buffer_gl0_inv
	s_and_saveexec_b32 s3, s1
	s_cbranch_execz .LBB49_458
; %bb.449:
	s_and_not1_b32 vcc_lo, exec_lo, s2
	s_cbranch_vccnz .LBB49_451
; %bb.450:
	scratch_load_b64 v[101:102], v105, off
	ds_load_b64 v[108:109], v104
	s_waitcnt vmcnt(0) lgkmcnt(0)
	v_mul_f64 v[101:102], v[101:102], v[108:109]
	s_cbranch_execz .LBB49_452
	s_branch .LBB49_453
.LBB49_451:
                                        ; implicit-def: $vgpr101_vgpr102
.LBB49_452:
	ds_load_b64 v[101:102], v104
.LBB49_453:
	s_and_saveexec_b32 s4, s0
	s_cbranch_execz .LBB49_457
; %bb.454:
	v_add_nc_u32_e32 v108, -4, v0
	s_movk_i32 s5, 0x1b0
	s_mov_b32 s0, 0
.LBB49_455:                             ; =>This Inner Loop Header: Depth=1
	scratch_load_b64 v[109:110], v107, off
	v_dual_mov_b32 v111, s5 :: v_dual_add_nc_u32 v108, -1, v108
	v_add_nc_u32_e32 v107, 8, v107
	s_add_i32 s5, s5, 8
	ds_load_b64 v[111:112], v111
	v_cmp_eq_u32_e32 vcc_lo, 0, v108
	s_or_b32 s0, vcc_lo, s0
	s_waitcnt vmcnt(0) lgkmcnt(0)
	v_fma_f64 v[101:102], v[109:110], v[111:112], v[101:102]
	s_and_not1_b32 exec_lo, exec_lo, s0
	s_cbranch_execnz .LBB49_455
; %bb.456:
	s_or_b32 exec_lo, exec_lo, s0
.LBB49_457:
	s_delay_alu instid0(SALU_CYCLE_1)
	s_or_b32 exec_lo, exec_lo, s4
	v_mov_b32_e32 v107, 0
	ds_load_b64 v[107:108], v107 offset:24
	s_waitcnt lgkmcnt(0)
	v_mul_f64 v[101:102], v[101:102], v[107:108]
	scratch_store_b64 off, v[101:102], off offset:24
.LBB49_458:
	s_or_b32 exec_lo, exec_lo, s3
	scratch_load_b64 v[101:102], off, off offset:16
	v_cmp_lt_u32_e64 s0, 2, v0
	s_waitcnt vmcnt(0)
	ds_store_b64 v104, v[101:102]
	s_waitcnt lgkmcnt(0)
	s_waitcnt_vscnt null, 0x0
	s_barrier
	buffer_gl0_inv
	s_and_saveexec_b32 s3, s0
	s_cbranch_execz .LBB49_468
; %bb.459:
	s_and_not1_b32 vcc_lo, exec_lo, s2
	s_cbranch_vccnz .LBB49_461
; %bb.460:
	scratch_load_b64 v[101:102], v105, off
	ds_load_b64 v[107:108], v104
	s_waitcnt vmcnt(0) lgkmcnt(0)
	v_mul_f64 v[101:102], v[101:102], v[107:108]
	s_cbranch_execz .LBB49_462
	s_branch .LBB49_463
.LBB49_461:
                                        ; implicit-def: $vgpr101_vgpr102
.LBB49_462:
	ds_load_b64 v[101:102], v104
.LBB49_463:
	s_and_saveexec_b32 s4, s1
	s_cbranch_execz .LBB49_467
; %bb.464:
	v_add_nc_u32_e64 v107, 0, 24
	v_add_nc_u32_e32 v108, -3, v0
	s_movk_i32 s5, 0x1a8
	s_mov_b32 s1, 0
.LBB49_465:                             ; =>This Inner Loop Header: Depth=1
	scratch_load_b64 v[109:110], v107, off
	v_dual_mov_b32 v111, s5 :: v_dual_add_nc_u32 v108, -1, v108
	v_add_nc_u32_e32 v107, 8, v107
	s_add_i32 s5, s5, 8
	ds_load_b64 v[111:112], v111
	v_cmp_eq_u32_e32 vcc_lo, 0, v108
	s_or_b32 s1, vcc_lo, s1
	s_waitcnt vmcnt(0) lgkmcnt(0)
	v_fma_f64 v[101:102], v[109:110], v[111:112], v[101:102]
	s_and_not1_b32 exec_lo, exec_lo, s1
	s_cbranch_execnz .LBB49_465
; %bb.466:
	s_or_b32 exec_lo, exec_lo, s1
.LBB49_467:
	s_delay_alu instid0(SALU_CYCLE_1)
	s_or_b32 exec_lo, exec_lo, s4
	v_mov_b32_e32 v107, 0
	ds_load_b64 v[107:108], v107 offset:16
	s_waitcnt lgkmcnt(0)
	v_mul_f64 v[101:102], v[101:102], v[107:108]
	scratch_store_b64 off, v[101:102], off offset:16
.LBB49_468:
	s_or_b32 exec_lo, exec_lo, s3
	scratch_load_b64 v[101:102], off, off offset:8
	v_cmp_lt_u32_e64 s1, 1, v0
	s_waitcnt vmcnt(0)
	ds_store_b64 v104, v[101:102]
	s_waitcnt lgkmcnt(0)
	s_waitcnt_vscnt null, 0x0
	s_barrier
	buffer_gl0_inv
	s_and_saveexec_b32 s3, s1
	s_cbranch_execz .LBB49_478
; %bb.469:
	s_and_not1_b32 vcc_lo, exec_lo, s2
	s_cbranch_vccnz .LBB49_471
; %bb.470:
	scratch_load_b64 v[101:102], v105, off
	ds_load_b64 v[107:108], v104
	s_waitcnt vmcnt(0) lgkmcnt(0)
	v_mul_f64 v[101:102], v[101:102], v[107:108]
	s_cbranch_execz .LBB49_472
	s_branch .LBB49_473
.LBB49_471:
                                        ; implicit-def: $vgpr101_vgpr102
.LBB49_472:
	ds_load_b64 v[101:102], v104
.LBB49_473:
	s_and_saveexec_b32 s4, s0
	s_cbranch_execz .LBB49_477
; %bb.474:
	v_add_nc_u32_e32 v107, -2, v0
	s_movk_i32 s5, 0x1a0
	s_mov_b32 s0, 0
.LBB49_475:                             ; =>This Inner Loop Header: Depth=1
	scratch_load_b64 v[108:109], v106, off
	v_dual_mov_b32 v110, s5 :: v_dual_add_nc_u32 v107, -1, v107
	v_add_nc_u32_e32 v106, 8, v106
	s_add_i32 s5, s5, 8
	ds_load_b64 v[110:111], v110
	v_cmp_eq_u32_e32 vcc_lo, 0, v107
	s_or_b32 s0, vcc_lo, s0
	s_waitcnt vmcnt(0) lgkmcnt(0)
	v_fma_f64 v[101:102], v[108:109], v[110:111], v[101:102]
	s_and_not1_b32 exec_lo, exec_lo, s0
	s_cbranch_execnz .LBB49_475
; %bb.476:
	s_or_b32 exec_lo, exec_lo, s0
.LBB49_477:
	s_delay_alu instid0(SALU_CYCLE_1)
	s_or_b32 exec_lo, exec_lo, s4
	v_mov_b32_e32 v106, 0
	ds_load_b64 v[106:107], v106 offset:8
	s_waitcnt lgkmcnt(0)
	v_mul_f64 v[101:102], v[101:102], v[106:107]
	scratch_store_b64 off, v[101:102], off offset:8
.LBB49_478:
	s_or_b32 exec_lo, exec_lo, s3
	scratch_load_b64 v[101:102], off, off
	s_mov_b32 s0, 0
	s_mov_b32 s3, exec_lo
	s_waitcnt vmcnt(0)
	ds_store_b64 v104, v[101:102]
	s_waitcnt lgkmcnt(0)
	s_waitcnt_vscnt null, 0x0
	s_barrier
	buffer_gl0_inv
	v_cmpx_ne_u32_e32 0, v0
	s_cbranch_execz .LBB49_488
; %bb.479:
	s_and_not1_b32 vcc_lo, exec_lo, s2
	s_cbranch_vccnz .LBB49_481
; %bb.480:
	scratch_load_b64 v[101:102], v105, off
	ds_load_b64 v[106:107], v104
	s_waitcnt vmcnt(0) lgkmcnt(0)
	v_mul_f64 v[101:102], v[101:102], v[106:107]
	s_cbranch_execz .LBB49_482
	s_branch .LBB49_483
.LBB49_481:
                                        ; implicit-def: $vgpr101_vgpr102
.LBB49_482:
	ds_load_b64 v[101:102], v104
.LBB49_483:
	s_and_saveexec_b32 s4, s1
	s_cbranch_execz .LBB49_487
; %bb.484:
	v_or_b32_e64 v106, 0, 8
	v_add_nc_u32_e32 v107, -1, v0
	s_movk_i32 s5, 0x198
	s_mov_b32 s1, 0
.LBB49_485:                             ; =>This Inner Loop Header: Depth=1
	scratch_load_b64 v[108:109], v106, off
	v_dual_mov_b32 v110, s5 :: v_dual_add_nc_u32 v107, -1, v107
	v_add_nc_u32_e32 v106, 8, v106
	s_add_i32 s5, s5, 8
	ds_load_b64 v[110:111], v110
	v_cmp_eq_u32_e32 vcc_lo, 0, v107
	s_or_b32 s1, vcc_lo, s1
	s_waitcnt vmcnt(0) lgkmcnt(0)
	v_fma_f64 v[101:102], v[108:109], v[110:111], v[101:102]
	s_and_not1_b32 exec_lo, exec_lo, s1
	s_cbranch_execnz .LBB49_485
; %bb.486:
	s_or_b32 exec_lo, exec_lo, s1
.LBB49_487:
	s_delay_alu instid0(SALU_CYCLE_1)
	s_or_b32 exec_lo, exec_lo, s4
	v_mov_b32_e32 v106, 0
	ds_load_b64 v[106:107], v106
	s_waitcnt lgkmcnt(0)
	v_mul_f64 v[101:102], v[101:102], v[106:107]
	scratch_store_b64 off, v[101:102], off
.LBB49_488:
	s_or_b32 exec_lo, exec_lo, s3
.LBB49_489:
	s_delay_alu instid0(SALU_CYCLE_1)
	s_and_b32 vcc_lo, exec_lo, s0
	s_cbranch_vccz .LBB49_975
; %bb.490:
	scratch_load_b64 v[101:102], off, off offset:8
	v_cmp_eq_u32_e64 s0, 0, v0
	s_waitcnt vmcnt(0)
	ds_store_b64 v104, v[101:102]
	s_waitcnt lgkmcnt(0)
	s_waitcnt_vscnt null, 0x0
	s_barrier
	buffer_gl0_inv
	s_and_saveexec_b32 s1, s0
	s_cbranch_execz .LBB49_496
; %bb.491:
	s_and_b32 vcc_lo, exec_lo, s2
	s_cbranch_vccz .LBB49_493
; %bb.492:
	scratch_load_b64 v[101:102], v105, off
	ds_load_b64 v[106:107], v104
	s_waitcnt vmcnt(0) lgkmcnt(0)
	v_mul_f64 v[101:102], v[101:102], v[106:107]
	s_cbranch_execz .LBB49_494
	s_branch .LBB49_495
.LBB49_493:
                                        ; implicit-def: $vgpr101_vgpr102
.LBB49_494:
	ds_load_b64 v[101:102], v104
.LBB49_495:
	v_mov_b32_e32 v106, 0
	ds_load_b64 v[106:107], v106 offset:8
	s_waitcnt lgkmcnt(0)
	v_mul_f64 v[101:102], v[101:102], v[106:107]
	scratch_store_b64 off, v[101:102], off offset:8
.LBB49_496:
	s_or_b32 exec_lo, exec_lo, s1
	scratch_load_b64 v[101:102], off, off offset:16
	v_cndmask_b32_e64 v106, 0, 1, s2
	s_mov_b32 s1, exec_lo
	s_waitcnt vmcnt(0)
	ds_store_b64 v104, v[101:102]
	s_waitcnt lgkmcnt(0)
	s_waitcnt_vscnt null, 0x0
	s_barrier
	buffer_gl0_inv
	v_cmpx_gt_u32_e32 2, v0
	s_cbranch_execz .LBB49_504
; %bb.497:
	s_and_not1_b32 vcc_lo, exec_lo, s2
	s_cbranch_vccnz .LBB49_499
; %bb.498:
	scratch_load_b64 v[101:102], v105, off
	ds_load_b64 v[107:108], v104
	s_waitcnt vmcnt(0) lgkmcnt(0)
	v_mul_f64 v[101:102], v[101:102], v[107:108]
	s_cbranch_execz .LBB49_500
	s_branch .LBB49_501
.LBB49_499:
                                        ; implicit-def: $vgpr101_vgpr102
.LBB49_500:
	ds_load_b64 v[101:102], v104
.LBB49_501:
	s_and_saveexec_b32 s2, s0
	s_cbranch_execz .LBB49_503
; %bb.502:
	scratch_load_b64 v[107:108], v105, off offset:8
	ds_load_b64 v[109:110], v104 offset:8
	s_waitcnt vmcnt(0) lgkmcnt(0)
	v_fma_f64 v[101:102], v[107:108], v[109:110], v[101:102]
.LBB49_503:
	s_or_b32 exec_lo, exec_lo, s2
	v_mov_b32_e32 v107, 0
	ds_load_b64 v[107:108], v107 offset:16
	s_waitcnt lgkmcnt(0)
	v_mul_f64 v[101:102], v[101:102], v[107:108]
	scratch_store_b64 off, v[101:102], off offset:16
.LBB49_504:
	s_or_b32 exec_lo, exec_lo, s1
	scratch_load_b64 v[101:102], off, off offset:24
	s_mov_b32 s1, exec_lo
	s_waitcnt vmcnt(0)
	ds_store_b64 v104, v[101:102]
	s_waitcnt lgkmcnt(0)
	s_waitcnt_vscnt null, 0x0
	s_barrier
	buffer_gl0_inv
	v_cmpx_gt_u32_e32 3, v0
	s_cbranch_execz .LBB49_514
; %bb.505:
	v_cmp_ne_u32_e32 vcc_lo, 1, v106
	s_cbranch_vccnz .LBB49_507
; %bb.506:
	scratch_load_b64 v[101:102], v105, off
	ds_load_b64 v[107:108], v104
	s_waitcnt vmcnt(0) lgkmcnt(0)
	v_mul_f64 v[101:102], v[101:102], v[107:108]
	s_cbranch_execz .LBB49_508
	s_branch .LBB49_509
.LBB49_507:
                                        ; implicit-def: $vgpr101_vgpr102
.LBB49_508:
	ds_load_b64 v[101:102], v104
.LBB49_509:
	s_mov_b32 s2, exec_lo
	v_cmpx_ne_u32_e32 2, v0
	s_cbranch_execz .LBB49_513
; %bb.510:
	scratch_load_b64 v[107:108], v105, off offset:8
	ds_load_b64 v[109:110], v104 offset:8
	s_waitcnt vmcnt(0) lgkmcnt(0)
	v_fma_f64 v[101:102], v[107:108], v[109:110], v[101:102]
	s_and_saveexec_b32 s3, s0
	s_cbranch_execz .LBB49_512
; %bb.511:
	scratch_load_b64 v[107:108], off, off offset:16
	v_mov_b32_e32 v109, 0
	ds_load_b64 v[109:110], v109 offset:416
	s_waitcnt vmcnt(0) lgkmcnt(0)
	v_fma_f64 v[101:102], v[107:108], v[109:110], v[101:102]
.LBB49_512:
	s_or_b32 exec_lo, exec_lo, s3
.LBB49_513:
	s_delay_alu instid0(SALU_CYCLE_1)
	s_or_b32 exec_lo, exec_lo, s2
	v_mov_b32_e32 v107, 0
	ds_load_b64 v[107:108], v107 offset:24
	s_waitcnt lgkmcnt(0)
	v_mul_f64 v[101:102], v[101:102], v[107:108]
	scratch_store_b64 off, v[101:102], off offset:24
.LBB49_514:
	s_or_b32 exec_lo, exec_lo, s1
	scratch_load_b64 v[101:102], off, off offset:32
	s_mov_b32 s0, exec_lo
	s_waitcnt vmcnt(0)
	ds_store_b64 v104, v[101:102]
	s_waitcnt lgkmcnt(0)
	s_waitcnt_vscnt null, 0x0
	s_barrier
	buffer_gl0_inv
	v_cmpx_gt_u32_e32 4, v0
	s_cbranch_execz .LBB49_524
; %bb.515:
	v_cmp_ne_u32_e32 vcc_lo, 1, v106
	s_cbranch_vccnz .LBB49_517
; %bb.516:
	scratch_load_b64 v[101:102], v105, off
	ds_load_b64 v[107:108], v104
	s_waitcnt vmcnt(0) lgkmcnt(0)
	v_mul_f64 v[101:102], v[101:102], v[107:108]
	s_cbranch_execz .LBB49_518
	s_branch .LBB49_519
.LBB49_517:
                                        ; implicit-def: $vgpr101_vgpr102
.LBB49_518:
	ds_load_b64 v[101:102], v104
.LBB49_519:
	s_mov_b32 s1, exec_lo
	v_cmpx_ne_u32_e32 3, v0
	s_cbranch_execz .LBB49_523
; %bb.520:
	v_add_nc_u32_e32 v107, 0x198, v103
	v_add3_u32 v108, 0, v103, 8
	v_mov_b32_e32 v109, v0
	s_mov_b32 s2, 0
.LBB49_521:                             ; =>This Inner Loop Header: Depth=1
	scratch_load_b64 v[110:111], v108, off
	ds_load_b64 v[112:113], v107
	v_add_nc_u32_e32 v109, 1, v109
	v_add_nc_u32_e32 v107, 8, v107
	v_add_nc_u32_e32 v108, 8, v108
	s_delay_alu instid0(VALU_DEP_3)
	v_cmp_lt_u32_e32 vcc_lo, 2, v109
	s_or_b32 s2, vcc_lo, s2
	s_waitcnt vmcnt(0) lgkmcnt(0)
	v_fma_f64 v[101:102], v[110:111], v[112:113], v[101:102]
	s_and_not1_b32 exec_lo, exec_lo, s2
	s_cbranch_execnz .LBB49_521
; %bb.522:
	s_or_b32 exec_lo, exec_lo, s2
.LBB49_523:
	s_delay_alu instid0(SALU_CYCLE_1)
	s_or_b32 exec_lo, exec_lo, s1
	v_mov_b32_e32 v107, 0
	ds_load_b64 v[107:108], v107 offset:32
	s_waitcnt lgkmcnt(0)
	v_mul_f64 v[101:102], v[101:102], v[107:108]
	scratch_store_b64 off, v[101:102], off offset:32
.LBB49_524:
	s_or_b32 exec_lo, exec_lo, s0
	scratch_load_b64 v[101:102], off, off offset:40
	s_mov_b32 s0, exec_lo
	s_waitcnt vmcnt(0)
	ds_store_b64 v104, v[101:102]
	s_waitcnt lgkmcnt(0)
	s_waitcnt_vscnt null, 0x0
	s_barrier
	buffer_gl0_inv
	v_cmpx_gt_u32_e32 5, v0
	s_cbranch_execz .LBB49_534
; %bb.525:
	v_cmp_ne_u32_e32 vcc_lo, 1, v106
	s_cbranch_vccnz .LBB49_527
; %bb.526:
	scratch_load_b64 v[101:102], v105, off
	ds_load_b64 v[107:108], v104
	s_waitcnt vmcnt(0) lgkmcnt(0)
	v_mul_f64 v[101:102], v[101:102], v[107:108]
	s_cbranch_execz .LBB49_528
	s_branch .LBB49_529
.LBB49_527:
                                        ; implicit-def: $vgpr101_vgpr102
.LBB49_528:
	ds_load_b64 v[101:102], v104
.LBB49_529:
	s_mov_b32 s1, exec_lo
	v_cmpx_ne_u32_e32 4, v0
	s_cbranch_execz .LBB49_533
; %bb.530:
	v_add_nc_u32_e32 v107, 0x198, v103
	v_add3_u32 v108, 0, v103, 8
	v_mov_b32_e32 v109, v0
	s_mov_b32 s2, 0
.LBB49_531:                             ; =>This Inner Loop Header: Depth=1
	scratch_load_b64 v[110:111], v108, off
	ds_load_b64 v[112:113], v107
	v_add_nc_u32_e32 v109, 1, v109
	v_add_nc_u32_e32 v107, 8, v107
	v_add_nc_u32_e32 v108, 8, v108
	s_delay_alu instid0(VALU_DEP_3)
	v_cmp_lt_u32_e32 vcc_lo, 3, v109
	s_or_b32 s2, vcc_lo, s2
	s_waitcnt vmcnt(0) lgkmcnt(0)
	v_fma_f64 v[101:102], v[110:111], v[112:113], v[101:102]
	s_and_not1_b32 exec_lo, exec_lo, s2
	s_cbranch_execnz .LBB49_531
; %bb.532:
	s_or_b32 exec_lo, exec_lo, s2
.LBB49_533:
	s_delay_alu instid0(SALU_CYCLE_1)
	s_or_b32 exec_lo, exec_lo, s1
	v_mov_b32_e32 v107, 0
	ds_load_b64 v[107:108], v107 offset:40
	s_waitcnt lgkmcnt(0)
	v_mul_f64 v[101:102], v[101:102], v[107:108]
	scratch_store_b64 off, v[101:102], off offset:40
.LBB49_534:
	s_or_b32 exec_lo, exec_lo, s0
	scratch_load_b64 v[101:102], off, off offset:48
	s_mov_b32 s0, exec_lo
	s_waitcnt vmcnt(0)
	ds_store_b64 v104, v[101:102]
	s_waitcnt lgkmcnt(0)
	s_waitcnt_vscnt null, 0x0
	s_barrier
	buffer_gl0_inv
	v_cmpx_gt_u32_e32 6, v0
	s_cbranch_execz .LBB49_544
; %bb.535:
	v_cmp_ne_u32_e32 vcc_lo, 1, v106
	s_cbranch_vccnz .LBB49_537
; %bb.536:
	scratch_load_b64 v[101:102], v105, off
	ds_load_b64 v[107:108], v104
	s_waitcnt vmcnt(0) lgkmcnt(0)
	v_mul_f64 v[101:102], v[101:102], v[107:108]
	s_cbranch_execz .LBB49_538
	s_branch .LBB49_539
.LBB49_537:
                                        ; implicit-def: $vgpr101_vgpr102
.LBB49_538:
	ds_load_b64 v[101:102], v104
.LBB49_539:
	s_mov_b32 s1, exec_lo
	v_cmpx_ne_u32_e32 5, v0
	s_cbranch_execz .LBB49_543
; %bb.540:
	v_add_nc_u32_e32 v107, 0x198, v103
	v_add3_u32 v108, 0, v103, 8
	v_mov_b32_e32 v109, v0
	s_mov_b32 s2, 0
.LBB49_541:                             ; =>This Inner Loop Header: Depth=1
	scratch_load_b64 v[110:111], v108, off
	ds_load_b64 v[112:113], v107
	v_add_nc_u32_e32 v109, 1, v109
	v_add_nc_u32_e32 v107, 8, v107
	v_add_nc_u32_e32 v108, 8, v108
	s_delay_alu instid0(VALU_DEP_3)
	v_cmp_lt_u32_e32 vcc_lo, 4, v109
	s_or_b32 s2, vcc_lo, s2
	s_waitcnt vmcnt(0) lgkmcnt(0)
	v_fma_f64 v[101:102], v[110:111], v[112:113], v[101:102]
	s_and_not1_b32 exec_lo, exec_lo, s2
	s_cbranch_execnz .LBB49_541
; %bb.542:
	s_or_b32 exec_lo, exec_lo, s2
.LBB49_543:
	s_delay_alu instid0(SALU_CYCLE_1)
	s_or_b32 exec_lo, exec_lo, s1
	v_mov_b32_e32 v107, 0
	ds_load_b64 v[107:108], v107 offset:48
	s_waitcnt lgkmcnt(0)
	v_mul_f64 v[101:102], v[101:102], v[107:108]
	scratch_store_b64 off, v[101:102], off offset:48
.LBB49_544:
	s_or_b32 exec_lo, exec_lo, s0
	scratch_load_b64 v[101:102], off, off offset:56
	s_mov_b32 s0, exec_lo
	s_waitcnt vmcnt(0)
	ds_store_b64 v104, v[101:102]
	s_waitcnt lgkmcnt(0)
	s_waitcnt_vscnt null, 0x0
	s_barrier
	buffer_gl0_inv
	v_cmpx_gt_u32_e32 7, v0
	s_cbranch_execz .LBB49_554
; %bb.545:
	v_cmp_ne_u32_e32 vcc_lo, 1, v106
	s_cbranch_vccnz .LBB49_547
; %bb.546:
	scratch_load_b64 v[101:102], v105, off
	ds_load_b64 v[107:108], v104
	s_waitcnt vmcnt(0) lgkmcnt(0)
	v_mul_f64 v[101:102], v[101:102], v[107:108]
	s_cbranch_execz .LBB49_548
	s_branch .LBB49_549
.LBB49_547:
                                        ; implicit-def: $vgpr101_vgpr102
.LBB49_548:
	ds_load_b64 v[101:102], v104
.LBB49_549:
	s_mov_b32 s1, exec_lo
	v_cmpx_ne_u32_e32 6, v0
	s_cbranch_execz .LBB49_553
; %bb.550:
	v_add_nc_u32_e32 v107, 0x198, v103
	v_add3_u32 v108, 0, v103, 8
	v_mov_b32_e32 v109, v0
	s_mov_b32 s2, 0
.LBB49_551:                             ; =>This Inner Loop Header: Depth=1
	scratch_load_b64 v[110:111], v108, off
	ds_load_b64 v[112:113], v107
	v_add_nc_u32_e32 v109, 1, v109
	v_add_nc_u32_e32 v107, 8, v107
	v_add_nc_u32_e32 v108, 8, v108
	s_delay_alu instid0(VALU_DEP_3)
	v_cmp_lt_u32_e32 vcc_lo, 5, v109
	s_or_b32 s2, vcc_lo, s2
	s_waitcnt vmcnt(0) lgkmcnt(0)
	v_fma_f64 v[101:102], v[110:111], v[112:113], v[101:102]
	s_and_not1_b32 exec_lo, exec_lo, s2
	s_cbranch_execnz .LBB49_551
; %bb.552:
	s_or_b32 exec_lo, exec_lo, s2
.LBB49_553:
	s_delay_alu instid0(SALU_CYCLE_1)
	s_or_b32 exec_lo, exec_lo, s1
	v_mov_b32_e32 v107, 0
	ds_load_b64 v[107:108], v107 offset:56
	s_waitcnt lgkmcnt(0)
	v_mul_f64 v[101:102], v[101:102], v[107:108]
	scratch_store_b64 off, v[101:102], off offset:56
.LBB49_554:
	s_or_b32 exec_lo, exec_lo, s0
	scratch_load_b64 v[101:102], off, off offset:64
	s_mov_b32 s0, exec_lo
	s_waitcnt vmcnt(0)
	ds_store_b64 v104, v[101:102]
	s_waitcnt lgkmcnt(0)
	s_waitcnt_vscnt null, 0x0
	s_barrier
	buffer_gl0_inv
	v_cmpx_gt_u32_e32 8, v0
	s_cbranch_execz .LBB49_564
; %bb.555:
	v_cmp_ne_u32_e32 vcc_lo, 1, v106
	s_cbranch_vccnz .LBB49_557
; %bb.556:
	scratch_load_b64 v[101:102], v105, off
	ds_load_b64 v[107:108], v104
	s_waitcnt vmcnt(0) lgkmcnt(0)
	v_mul_f64 v[101:102], v[101:102], v[107:108]
	s_cbranch_execz .LBB49_558
	s_branch .LBB49_559
.LBB49_557:
                                        ; implicit-def: $vgpr101_vgpr102
.LBB49_558:
	ds_load_b64 v[101:102], v104
.LBB49_559:
	s_mov_b32 s1, exec_lo
	v_cmpx_ne_u32_e32 7, v0
	s_cbranch_execz .LBB49_563
; %bb.560:
	v_add_nc_u32_e32 v107, 0x198, v103
	v_add3_u32 v108, 0, v103, 8
	v_mov_b32_e32 v109, v0
	s_mov_b32 s2, 0
.LBB49_561:                             ; =>This Inner Loop Header: Depth=1
	scratch_load_b64 v[110:111], v108, off
	ds_load_b64 v[112:113], v107
	v_add_nc_u32_e32 v109, 1, v109
	v_add_nc_u32_e32 v107, 8, v107
	v_add_nc_u32_e32 v108, 8, v108
	s_delay_alu instid0(VALU_DEP_3)
	v_cmp_lt_u32_e32 vcc_lo, 6, v109
	s_or_b32 s2, vcc_lo, s2
	s_waitcnt vmcnt(0) lgkmcnt(0)
	v_fma_f64 v[101:102], v[110:111], v[112:113], v[101:102]
	s_and_not1_b32 exec_lo, exec_lo, s2
	s_cbranch_execnz .LBB49_561
; %bb.562:
	s_or_b32 exec_lo, exec_lo, s2
.LBB49_563:
	s_delay_alu instid0(SALU_CYCLE_1)
	s_or_b32 exec_lo, exec_lo, s1
	v_mov_b32_e32 v107, 0
	ds_load_b64 v[107:108], v107 offset:64
	s_waitcnt lgkmcnt(0)
	v_mul_f64 v[101:102], v[101:102], v[107:108]
	scratch_store_b64 off, v[101:102], off offset:64
.LBB49_564:
	s_or_b32 exec_lo, exec_lo, s0
	scratch_load_b64 v[101:102], off, off offset:72
	s_mov_b32 s0, exec_lo
	s_waitcnt vmcnt(0)
	ds_store_b64 v104, v[101:102]
	s_waitcnt lgkmcnt(0)
	s_waitcnt_vscnt null, 0x0
	s_barrier
	buffer_gl0_inv
	v_cmpx_gt_u32_e32 9, v0
	s_cbranch_execz .LBB49_574
; %bb.565:
	v_cmp_ne_u32_e32 vcc_lo, 1, v106
	s_cbranch_vccnz .LBB49_567
; %bb.566:
	scratch_load_b64 v[101:102], v105, off
	ds_load_b64 v[107:108], v104
	s_waitcnt vmcnt(0) lgkmcnt(0)
	v_mul_f64 v[101:102], v[101:102], v[107:108]
	s_cbranch_execz .LBB49_568
	s_branch .LBB49_569
.LBB49_567:
                                        ; implicit-def: $vgpr101_vgpr102
.LBB49_568:
	ds_load_b64 v[101:102], v104
.LBB49_569:
	s_mov_b32 s1, exec_lo
	v_cmpx_ne_u32_e32 8, v0
	s_cbranch_execz .LBB49_573
; %bb.570:
	v_add_nc_u32_e32 v107, 0x198, v103
	v_add3_u32 v108, 0, v103, 8
	v_mov_b32_e32 v109, v0
	s_mov_b32 s2, 0
.LBB49_571:                             ; =>This Inner Loop Header: Depth=1
	scratch_load_b64 v[110:111], v108, off
	ds_load_b64 v[112:113], v107
	v_add_nc_u32_e32 v109, 1, v109
	v_add_nc_u32_e32 v107, 8, v107
	v_add_nc_u32_e32 v108, 8, v108
	s_delay_alu instid0(VALU_DEP_3)
	v_cmp_lt_u32_e32 vcc_lo, 7, v109
	s_or_b32 s2, vcc_lo, s2
	s_waitcnt vmcnt(0) lgkmcnt(0)
	v_fma_f64 v[101:102], v[110:111], v[112:113], v[101:102]
	s_and_not1_b32 exec_lo, exec_lo, s2
	s_cbranch_execnz .LBB49_571
; %bb.572:
	s_or_b32 exec_lo, exec_lo, s2
.LBB49_573:
	s_delay_alu instid0(SALU_CYCLE_1)
	s_or_b32 exec_lo, exec_lo, s1
	v_mov_b32_e32 v107, 0
	ds_load_b64 v[107:108], v107 offset:72
	s_waitcnt lgkmcnt(0)
	v_mul_f64 v[101:102], v[101:102], v[107:108]
	scratch_store_b64 off, v[101:102], off offset:72
.LBB49_574:
	s_or_b32 exec_lo, exec_lo, s0
	scratch_load_b64 v[101:102], off, off offset:80
	s_mov_b32 s0, exec_lo
	s_waitcnt vmcnt(0)
	ds_store_b64 v104, v[101:102]
	s_waitcnt lgkmcnt(0)
	s_waitcnt_vscnt null, 0x0
	s_barrier
	buffer_gl0_inv
	v_cmpx_gt_u32_e32 10, v0
	s_cbranch_execz .LBB49_584
; %bb.575:
	v_cmp_ne_u32_e32 vcc_lo, 1, v106
	s_cbranch_vccnz .LBB49_577
; %bb.576:
	scratch_load_b64 v[101:102], v105, off
	ds_load_b64 v[107:108], v104
	s_waitcnt vmcnt(0) lgkmcnt(0)
	v_mul_f64 v[101:102], v[101:102], v[107:108]
	s_cbranch_execz .LBB49_578
	s_branch .LBB49_579
.LBB49_577:
                                        ; implicit-def: $vgpr101_vgpr102
.LBB49_578:
	ds_load_b64 v[101:102], v104
.LBB49_579:
	s_mov_b32 s1, exec_lo
	v_cmpx_ne_u32_e32 9, v0
	s_cbranch_execz .LBB49_583
; %bb.580:
	v_add_nc_u32_e32 v107, 0x198, v103
	v_add3_u32 v108, 0, v103, 8
	v_mov_b32_e32 v109, v0
	s_mov_b32 s2, 0
.LBB49_581:                             ; =>This Inner Loop Header: Depth=1
	scratch_load_b64 v[110:111], v108, off
	ds_load_b64 v[112:113], v107
	v_add_nc_u32_e32 v109, 1, v109
	v_add_nc_u32_e32 v107, 8, v107
	v_add_nc_u32_e32 v108, 8, v108
	s_delay_alu instid0(VALU_DEP_3)
	v_cmp_lt_u32_e32 vcc_lo, 8, v109
	s_or_b32 s2, vcc_lo, s2
	s_waitcnt vmcnt(0) lgkmcnt(0)
	v_fma_f64 v[101:102], v[110:111], v[112:113], v[101:102]
	s_and_not1_b32 exec_lo, exec_lo, s2
	s_cbranch_execnz .LBB49_581
; %bb.582:
	s_or_b32 exec_lo, exec_lo, s2
.LBB49_583:
	s_delay_alu instid0(SALU_CYCLE_1)
	s_or_b32 exec_lo, exec_lo, s1
	v_mov_b32_e32 v107, 0
	ds_load_b64 v[107:108], v107 offset:80
	s_waitcnt lgkmcnt(0)
	v_mul_f64 v[101:102], v[101:102], v[107:108]
	scratch_store_b64 off, v[101:102], off offset:80
.LBB49_584:
	s_or_b32 exec_lo, exec_lo, s0
	scratch_load_b64 v[101:102], off, off offset:88
	s_mov_b32 s0, exec_lo
	s_waitcnt vmcnt(0)
	ds_store_b64 v104, v[101:102]
	s_waitcnt lgkmcnt(0)
	s_waitcnt_vscnt null, 0x0
	s_barrier
	buffer_gl0_inv
	v_cmpx_gt_u32_e32 11, v0
	s_cbranch_execz .LBB49_594
; %bb.585:
	v_cmp_ne_u32_e32 vcc_lo, 1, v106
	s_cbranch_vccnz .LBB49_587
; %bb.586:
	scratch_load_b64 v[101:102], v105, off
	ds_load_b64 v[107:108], v104
	s_waitcnt vmcnt(0) lgkmcnt(0)
	v_mul_f64 v[101:102], v[101:102], v[107:108]
	s_cbranch_execz .LBB49_588
	s_branch .LBB49_589
.LBB49_587:
                                        ; implicit-def: $vgpr101_vgpr102
.LBB49_588:
	ds_load_b64 v[101:102], v104
.LBB49_589:
	s_mov_b32 s1, exec_lo
	v_cmpx_ne_u32_e32 10, v0
	s_cbranch_execz .LBB49_593
; %bb.590:
	v_add_nc_u32_e32 v107, 0x198, v103
	v_add3_u32 v108, 0, v103, 8
	v_mov_b32_e32 v109, v0
	s_mov_b32 s2, 0
.LBB49_591:                             ; =>This Inner Loop Header: Depth=1
	scratch_load_b64 v[110:111], v108, off
	ds_load_b64 v[112:113], v107
	v_add_nc_u32_e32 v109, 1, v109
	v_add_nc_u32_e32 v107, 8, v107
	v_add_nc_u32_e32 v108, 8, v108
	s_delay_alu instid0(VALU_DEP_3)
	v_cmp_lt_u32_e32 vcc_lo, 9, v109
	s_or_b32 s2, vcc_lo, s2
	s_waitcnt vmcnt(0) lgkmcnt(0)
	v_fma_f64 v[101:102], v[110:111], v[112:113], v[101:102]
	s_and_not1_b32 exec_lo, exec_lo, s2
	s_cbranch_execnz .LBB49_591
; %bb.592:
	s_or_b32 exec_lo, exec_lo, s2
.LBB49_593:
	s_delay_alu instid0(SALU_CYCLE_1)
	s_or_b32 exec_lo, exec_lo, s1
	v_mov_b32_e32 v107, 0
	ds_load_b64 v[107:108], v107 offset:88
	s_waitcnt lgkmcnt(0)
	v_mul_f64 v[101:102], v[101:102], v[107:108]
	scratch_store_b64 off, v[101:102], off offset:88
.LBB49_594:
	s_or_b32 exec_lo, exec_lo, s0
	scratch_load_b64 v[101:102], off, off offset:96
	s_mov_b32 s0, exec_lo
	s_waitcnt vmcnt(0)
	ds_store_b64 v104, v[101:102]
	s_waitcnt lgkmcnt(0)
	s_waitcnt_vscnt null, 0x0
	s_barrier
	buffer_gl0_inv
	v_cmpx_gt_u32_e32 12, v0
	s_cbranch_execz .LBB49_604
; %bb.595:
	v_cmp_ne_u32_e32 vcc_lo, 1, v106
	s_cbranch_vccnz .LBB49_597
; %bb.596:
	scratch_load_b64 v[101:102], v105, off
	ds_load_b64 v[107:108], v104
	s_waitcnt vmcnt(0) lgkmcnt(0)
	v_mul_f64 v[101:102], v[101:102], v[107:108]
	s_cbranch_execz .LBB49_598
	s_branch .LBB49_599
.LBB49_597:
                                        ; implicit-def: $vgpr101_vgpr102
.LBB49_598:
	ds_load_b64 v[101:102], v104
.LBB49_599:
	s_mov_b32 s1, exec_lo
	v_cmpx_ne_u32_e32 11, v0
	s_cbranch_execz .LBB49_603
; %bb.600:
	v_add_nc_u32_e32 v107, 0x198, v103
	v_add3_u32 v108, 0, v103, 8
	v_mov_b32_e32 v109, v0
	s_mov_b32 s2, 0
.LBB49_601:                             ; =>This Inner Loop Header: Depth=1
	scratch_load_b64 v[110:111], v108, off
	ds_load_b64 v[112:113], v107
	v_add_nc_u32_e32 v109, 1, v109
	v_add_nc_u32_e32 v107, 8, v107
	v_add_nc_u32_e32 v108, 8, v108
	s_delay_alu instid0(VALU_DEP_3)
	v_cmp_lt_u32_e32 vcc_lo, 10, v109
	s_or_b32 s2, vcc_lo, s2
	s_waitcnt vmcnt(0) lgkmcnt(0)
	v_fma_f64 v[101:102], v[110:111], v[112:113], v[101:102]
	s_and_not1_b32 exec_lo, exec_lo, s2
	s_cbranch_execnz .LBB49_601
; %bb.602:
	s_or_b32 exec_lo, exec_lo, s2
.LBB49_603:
	s_delay_alu instid0(SALU_CYCLE_1)
	s_or_b32 exec_lo, exec_lo, s1
	v_mov_b32_e32 v107, 0
	ds_load_b64 v[107:108], v107 offset:96
	s_waitcnt lgkmcnt(0)
	v_mul_f64 v[101:102], v[101:102], v[107:108]
	scratch_store_b64 off, v[101:102], off offset:96
.LBB49_604:
	s_or_b32 exec_lo, exec_lo, s0
	scratch_load_b64 v[101:102], off, off offset:104
	s_mov_b32 s0, exec_lo
	s_waitcnt vmcnt(0)
	ds_store_b64 v104, v[101:102]
	s_waitcnt lgkmcnt(0)
	s_waitcnt_vscnt null, 0x0
	s_barrier
	buffer_gl0_inv
	v_cmpx_gt_u32_e32 13, v0
	s_cbranch_execz .LBB49_614
; %bb.605:
	v_cmp_ne_u32_e32 vcc_lo, 1, v106
	s_cbranch_vccnz .LBB49_607
; %bb.606:
	scratch_load_b64 v[101:102], v105, off
	ds_load_b64 v[107:108], v104
	s_waitcnt vmcnt(0) lgkmcnt(0)
	v_mul_f64 v[101:102], v[101:102], v[107:108]
	s_cbranch_execz .LBB49_608
	s_branch .LBB49_609
.LBB49_607:
                                        ; implicit-def: $vgpr101_vgpr102
.LBB49_608:
	ds_load_b64 v[101:102], v104
.LBB49_609:
	s_mov_b32 s1, exec_lo
	v_cmpx_ne_u32_e32 12, v0
	s_cbranch_execz .LBB49_613
; %bb.610:
	v_add_nc_u32_e32 v107, 0x198, v103
	v_add3_u32 v108, 0, v103, 8
	v_mov_b32_e32 v109, v0
	s_mov_b32 s2, 0
.LBB49_611:                             ; =>This Inner Loop Header: Depth=1
	scratch_load_b64 v[110:111], v108, off
	ds_load_b64 v[112:113], v107
	v_add_nc_u32_e32 v109, 1, v109
	v_add_nc_u32_e32 v107, 8, v107
	v_add_nc_u32_e32 v108, 8, v108
	s_delay_alu instid0(VALU_DEP_3)
	v_cmp_lt_u32_e32 vcc_lo, 11, v109
	s_or_b32 s2, vcc_lo, s2
	s_waitcnt vmcnt(0) lgkmcnt(0)
	v_fma_f64 v[101:102], v[110:111], v[112:113], v[101:102]
	s_and_not1_b32 exec_lo, exec_lo, s2
	s_cbranch_execnz .LBB49_611
; %bb.612:
	s_or_b32 exec_lo, exec_lo, s2
.LBB49_613:
	s_delay_alu instid0(SALU_CYCLE_1)
	s_or_b32 exec_lo, exec_lo, s1
	v_mov_b32_e32 v107, 0
	ds_load_b64 v[107:108], v107 offset:104
	s_waitcnt lgkmcnt(0)
	v_mul_f64 v[101:102], v[101:102], v[107:108]
	scratch_store_b64 off, v[101:102], off offset:104
.LBB49_614:
	s_or_b32 exec_lo, exec_lo, s0
	scratch_load_b64 v[101:102], off, off offset:112
	s_mov_b32 s0, exec_lo
	s_waitcnt vmcnt(0)
	ds_store_b64 v104, v[101:102]
	s_waitcnt lgkmcnt(0)
	s_waitcnt_vscnt null, 0x0
	s_barrier
	buffer_gl0_inv
	v_cmpx_gt_u32_e32 14, v0
	s_cbranch_execz .LBB49_624
; %bb.615:
	v_cmp_ne_u32_e32 vcc_lo, 1, v106
	s_cbranch_vccnz .LBB49_617
; %bb.616:
	scratch_load_b64 v[101:102], v105, off
	ds_load_b64 v[107:108], v104
	s_waitcnt vmcnt(0) lgkmcnt(0)
	v_mul_f64 v[101:102], v[101:102], v[107:108]
	s_cbranch_execz .LBB49_618
	s_branch .LBB49_619
.LBB49_617:
                                        ; implicit-def: $vgpr101_vgpr102
.LBB49_618:
	ds_load_b64 v[101:102], v104
.LBB49_619:
	s_mov_b32 s1, exec_lo
	v_cmpx_ne_u32_e32 13, v0
	s_cbranch_execz .LBB49_623
; %bb.620:
	v_add_nc_u32_e32 v107, 0x198, v103
	v_add3_u32 v108, 0, v103, 8
	v_mov_b32_e32 v109, v0
	s_mov_b32 s2, 0
.LBB49_621:                             ; =>This Inner Loop Header: Depth=1
	scratch_load_b64 v[110:111], v108, off
	ds_load_b64 v[112:113], v107
	v_add_nc_u32_e32 v109, 1, v109
	v_add_nc_u32_e32 v107, 8, v107
	v_add_nc_u32_e32 v108, 8, v108
	s_delay_alu instid0(VALU_DEP_3)
	v_cmp_lt_u32_e32 vcc_lo, 12, v109
	s_or_b32 s2, vcc_lo, s2
	s_waitcnt vmcnt(0) lgkmcnt(0)
	v_fma_f64 v[101:102], v[110:111], v[112:113], v[101:102]
	s_and_not1_b32 exec_lo, exec_lo, s2
	s_cbranch_execnz .LBB49_621
; %bb.622:
	s_or_b32 exec_lo, exec_lo, s2
.LBB49_623:
	s_delay_alu instid0(SALU_CYCLE_1)
	s_or_b32 exec_lo, exec_lo, s1
	v_mov_b32_e32 v107, 0
	ds_load_b64 v[107:108], v107 offset:112
	s_waitcnt lgkmcnt(0)
	v_mul_f64 v[101:102], v[101:102], v[107:108]
	scratch_store_b64 off, v[101:102], off offset:112
.LBB49_624:
	s_or_b32 exec_lo, exec_lo, s0
	scratch_load_b64 v[101:102], off, off offset:120
	s_mov_b32 s0, exec_lo
	s_waitcnt vmcnt(0)
	ds_store_b64 v104, v[101:102]
	s_waitcnt lgkmcnt(0)
	s_waitcnt_vscnt null, 0x0
	s_barrier
	buffer_gl0_inv
	v_cmpx_gt_u32_e32 15, v0
	s_cbranch_execz .LBB49_634
; %bb.625:
	v_cmp_ne_u32_e32 vcc_lo, 1, v106
	s_cbranch_vccnz .LBB49_627
; %bb.626:
	scratch_load_b64 v[101:102], v105, off
	ds_load_b64 v[107:108], v104
	s_waitcnt vmcnt(0) lgkmcnt(0)
	v_mul_f64 v[101:102], v[101:102], v[107:108]
	s_cbranch_execz .LBB49_628
	s_branch .LBB49_629
.LBB49_627:
                                        ; implicit-def: $vgpr101_vgpr102
.LBB49_628:
	ds_load_b64 v[101:102], v104
.LBB49_629:
	s_mov_b32 s1, exec_lo
	v_cmpx_ne_u32_e32 14, v0
	s_cbranch_execz .LBB49_633
; %bb.630:
	v_add_nc_u32_e32 v107, 0x198, v103
	v_add3_u32 v108, 0, v103, 8
	v_mov_b32_e32 v109, v0
	s_mov_b32 s2, 0
.LBB49_631:                             ; =>This Inner Loop Header: Depth=1
	scratch_load_b64 v[110:111], v108, off
	ds_load_b64 v[112:113], v107
	v_add_nc_u32_e32 v109, 1, v109
	v_add_nc_u32_e32 v107, 8, v107
	v_add_nc_u32_e32 v108, 8, v108
	s_delay_alu instid0(VALU_DEP_3)
	v_cmp_lt_u32_e32 vcc_lo, 13, v109
	s_or_b32 s2, vcc_lo, s2
	s_waitcnt vmcnt(0) lgkmcnt(0)
	v_fma_f64 v[101:102], v[110:111], v[112:113], v[101:102]
	s_and_not1_b32 exec_lo, exec_lo, s2
	s_cbranch_execnz .LBB49_631
; %bb.632:
	s_or_b32 exec_lo, exec_lo, s2
.LBB49_633:
	s_delay_alu instid0(SALU_CYCLE_1)
	s_or_b32 exec_lo, exec_lo, s1
	v_mov_b32_e32 v107, 0
	ds_load_b64 v[107:108], v107 offset:120
	s_waitcnt lgkmcnt(0)
	v_mul_f64 v[101:102], v[101:102], v[107:108]
	scratch_store_b64 off, v[101:102], off offset:120
.LBB49_634:
	s_or_b32 exec_lo, exec_lo, s0
	scratch_load_b64 v[101:102], off, off offset:128
	s_mov_b32 s0, exec_lo
	s_waitcnt vmcnt(0)
	ds_store_b64 v104, v[101:102]
	s_waitcnt lgkmcnt(0)
	s_waitcnt_vscnt null, 0x0
	s_barrier
	buffer_gl0_inv
	v_cmpx_gt_u32_e32 16, v0
	s_cbranch_execz .LBB49_644
; %bb.635:
	v_cmp_ne_u32_e32 vcc_lo, 1, v106
	s_cbranch_vccnz .LBB49_637
; %bb.636:
	scratch_load_b64 v[101:102], v105, off
	ds_load_b64 v[107:108], v104
	s_waitcnt vmcnt(0) lgkmcnt(0)
	v_mul_f64 v[101:102], v[101:102], v[107:108]
	s_cbranch_execz .LBB49_638
	s_branch .LBB49_639
.LBB49_637:
                                        ; implicit-def: $vgpr101_vgpr102
.LBB49_638:
	ds_load_b64 v[101:102], v104
.LBB49_639:
	s_mov_b32 s1, exec_lo
	v_cmpx_ne_u32_e32 15, v0
	s_cbranch_execz .LBB49_643
; %bb.640:
	v_add_nc_u32_e32 v107, 0x198, v103
	v_add3_u32 v108, 0, v103, 8
	v_mov_b32_e32 v109, v0
	s_mov_b32 s2, 0
.LBB49_641:                             ; =>This Inner Loop Header: Depth=1
	scratch_load_b64 v[110:111], v108, off
	ds_load_b64 v[112:113], v107
	v_add_nc_u32_e32 v109, 1, v109
	v_add_nc_u32_e32 v107, 8, v107
	v_add_nc_u32_e32 v108, 8, v108
	s_delay_alu instid0(VALU_DEP_3)
	v_cmp_lt_u32_e32 vcc_lo, 14, v109
	s_or_b32 s2, vcc_lo, s2
	s_waitcnt vmcnt(0) lgkmcnt(0)
	v_fma_f64 v[101:102], v[110:111], v[112:113], v[101:102]
	s_and_not1_b32 exec_lo, exec_lo, s2
	s_cbranch_execnz .LBB49_641
; %bb.642:
	s_or_b32 exec_lo, exec_lo, s2
.LBB49_643:
	s_delay_alu instid0(SALU_CYCLE_1)
	s_or_b32 exec_lo, exec_lo, s1
	v_mov_b32_e32 v107, 0
	ds_load_b64 v[107:108], v107 offset:128
	s_waitcnt lgkmcnt(0)
	v_mul_f64 v[101:102], v[101:102], v[107:108]
	scratch_store_b64 off, v[101:102], off offset:128
.LBB49_644:
	s_or_b32 exec_lo, exec_lo, s0
	scratch_load_b64 v[101:102], off, off offset:136
	s_mov_b32 s0, exec_lo
	s_waitcnt vmcnt(0)
	ds_store_b64 v104, v[101:102]
	s_waitcnt lgkmcnt(0)
	s_waitcnt_vscnt null, 0x0
	s_barrier
	buffer_gl0_inv
	v_cmpx_gt_u32_e32 17, v0
	s_cbranch_execz .LBB49_654
; %bb.645:
	v_cmp_ne_u32_e32 vcc_lo, 1, v106
	s_cbranch_vccnz .LBB49_647
; %bb.646:
	scratch_load_b64 v[101:102], v105, off
	ds_load_b64 v[107:108], v104
	s_waitcnt vmcnt(0) lgkmcnt(0)
	v_mul_f64 v[101:102], v[101:102], v[107:108]
	s_cbranch_execz .LBB49_648
	s_branch .LBB49_649
.LBB49_647:
                                        ; implicit-def: $vgpr101_vgpr102
.LBB49_648:
	ds_load_b64 v[101:102], v104
.LBB49_649:
	s_mov_b32 s1, exec_lo
	v_cmpx_ne_u32_e32 16, v0
	s_cbranch_execz .LBB49_653
; %bb.650:
	v_add_nc_u32_e32 v107, 0x198, v103
	v_add3_u32 v108, 0, v103, 8
	v_mov_b32_e32 v109, v0
	s_mov_b32 s2, 0
.LBB49_651:                             ; =>This Inner Loop Header: Depth=1
	scratch_load_b64 v[110:111], v108, off
	ds_load_b64 v[112:113], v107
	v_add_nc_u32_e32 v109, 1, v109
	v_add_nc_u32_e32 v107, 8, v107
	v_add_nc_u32_e32 v108, 8, v108
	s_delay_alu instid0(VALU_DEP_3)
	v_cmp_lt_u32_e32 vcc_lo, 15, v109
	s_or_b32 s2, vcc_lo, s2
	s_waitcnt vmcnt(0) lgkmcnt(0)
	v_fma_f64 v[101:102], v[110:111], v[112:113], v[101:102]
	s_and_not1_b32 exec_lo, exec_lo, s2
	s_cbranch_execnz .LBB49_651
; %bb.652:
	s_or_b32 exec_lo, exec_lo, s2
.LBB49_653:
	s_delay_alu instid0(SALU_CYCLE_1)
	s_or_b32 exec_lo, exec_lo, s1
	v_mov_b32_e32 v107, 0
	ds_load_b64 v[107:108], v107 offset:136
	s_waitcnt lgkmcnt(0)
	v_mul_f64 v[101:102], v[101:102], v[107:108]
	scratch_store_b64 off, v[101:102], off offset:136
.LBB49_654:
	s_or_b32 exec_lo, exec_lo, s0
	scratch_load_b64 v[101:102], off, off offset:144
	s_mov_b32 s0, exec_lo
	s_waitcnt vmcnt(0)
	ds_store_b64 v104, v[101:102]
	s_waitcnt lgkmcnt(0)
	s_waitcnt_vscnt null, 0x0
	s_barrier
	buffer_gl0_inv
	v_cmpx_gt_u32_e32 18, v0
	s_cbranch_execz .LBB49_664
; %bb.655:
	v_cmp_ne_u32_e32 vcc_lo, 1, v106
	s_cbranch_vccnz .LBB49_657
; %bb.656:
	scratch_load_b64 v[101:102], v105, off
	ds_load_b64 v[107:108], v104
	s_waitcnt vmcnt(0) lgkmcnt(0)
	v_mul_f64 v[101:102], v[101:102], v[107:108]
	s_cbranch_execz .LBB49_658
	s_branch .LBB49_659
.LBB49_657:
                                        ; implicit-def: $vgpr101_vgpr102
.LBB49_658:
	ds_load_b64 v[101:102], v104
.LBB49_659:
	s_mov_b32 s1, exec_lo
	v_cmpx_ne_u32_e32 17, v0
	s_cbranch_execz .LBB49_663
; %bb.660:
	v_add_nc_u32_e32 v107, 0x198, v103
	v_add3_u32 v108, 0, v103, 8
	v_mov_b32_e32 v109, v0
	s_mov_b32 s2, 0
.LBB49_661:                             ; =>This Inner Loop Header: Depth=1
	scratch_load_b64 v[110:111], v108, off
	ds_load_b64 v[112:113], v107
	v_add_nc_u32_e32 v109, 1, v109
	v_add_nc_u32_e32 v107, 8, v107
	v_add_nc_u32_e32 v108, 8, v108
	s_delay_alu instid0(VALU_DEP_3)
	v_cmp_lt_u32_e32 vcc_lo, 16, v109
	s_or_b32 s2, vcc_lo, s2
	s_waitcnt vmcnt(0) lgkmcnt(0)
	v_fma_f64 v[101:102], v[110:111], v[112:113], v[101:102]
	s_and_not1_b32 exec_lo, exec_lo, s2
	s_cbranch_execnz .LBB49_661
; %bb.662:
	s_or_b32 exec_lo, exec_lo, s2
.LBB49_663:
	s_delay_alu instid0(SALU_CYCLE_1)
	s_or_b32 exec_lo, exec_lo, s1
	v_mov_b32_e32 v107, 0
	ds_load_b64 v[107:108], v107 offset:144
	s_waitcnt lgkmcnt(0)
	v_mul_f64 v[101:102], v[101:102], v[107:108]
	scratch_store_b64 off, v[101:102], off offset:144
.LBB49_664:
	s_or_b32 exec_lo, exec_lo, s0
	scratch_load_b64 v[101:102], off, off offset:152
	s_mov_b32 s0, exec_lo
	s_waitcnt vmcnt(0)
	ds_store_b64 v104, v[101:102]
	s_waitcnt lgkmcnt(0)
	s_waitcnt_vscnt null, 0x0
	s_barrier
	buffer_gl0_inv
	v_cmpx_gt_u32_e32 19, v0
	s_cbranch_execz .LBB49_674
; %bb.665:
	v_cmp_ne_u32_e32 vcc_lo, 1, v106
	s_cbranch_vccnz .LBB49_667
; %bb.666:
	scratch_load_b64 v[101:102], v105, off
	ds_load_b64 v[107:108], v104
	s_waitcnt vmcnt(0) lgkmcnt(0)
	v_mul_f64 v[101:102], v[101:102], v[107:108]
	s_cbranch_execz .LBB49_668
	s_branch .LBB49_669
.LBB49_667:
                                        ; implicit-def: $vgpr101_vgpr102
.LBB49_668:
	ds_load_b64 v[101:102], v104
.LBB49_669:
	s_mov_b32 s1, exec_lo
	v_cmpx_ne_u32_e32 18, v0
	s_cbranch_execz .LBB49_673
; %bb.670:
	v_add_nc_u32_e32 v107, 0x198, v103
	v_add3_u32 v108, 0, v103, 8
	v_mov_b32_e32 v109, v0
	s_mov_b32 s2, 0
.LBB49_671:                             ; =>This Inner Loop Header: Depth=1
	scratch_load_b64 v[110:111], v108, off
	ds_load_b64 v[112:113], v107
	v_add_nc_u32_e32 v109, 1, v109
	v_add_nc_u32_e32 v107, 8, v107
	v_add_nc_u32_e32 v108, 8, v108
	s_delay_alu instid0(VALU_DEP_3)
	v_cmp_lt_u32_e32 vcc_lo, 17, v109
	s_or_b32 s2, vcc_lo, s2
	s_waitcnt vmcnt(0) lgkmcnt(0)
	v_fma_f64 v[101:102], v[110:111], v[112:113], v[101:102]
	s_and_not1_b32 exec_lo, exec_lo, s2
	s_cbranch_execnz .LBB49_671
; %bb.672:
	s_or_b32 exec_lo, exec_lo, s2
.LBB49_673:
	s_delay_alu instid0(SALU_CYCLE_1)
	s_or_b32 exec_lo, exec_lo, s1
	v_mov_b32_e32 v107, 0
	ds_load_b64 v[107:108], v107 offset:152
	s_waitcnt lgkmcnt(0)
	v_mul_f64 v[101:102], v[101:102], v[107:108]
	scratch_store_b64 off, v[101:102], off offset:152
.LBB49_674:
	s_or_b32 exec_lo, exec_lo, s0
	scratch_load_b64 v[101:102], off, off offset:160
	s_mov_b32 s0, exec_lo
	s_waitcnt vmcnt(0)
	ds_store_b64 v104, v[101:102]
	s_waitcnt lgkmcnt(0)
	s_waitcnt_vscnt null, 0x0
	s_barrier
	buffer_gl0_inv
	v_cmpx_gt_u32_e32 20, v0
	s_cbranch_execz .LBB49_684
; %bb.675:
	v_cmp_ne_u32_e32 vcc_lo, 1, v106
	s_cbranch_vccnz .LBB49_677
; %bb.676:
	scratch_load_b64 v[101:102], v105, off
	ds_load_b64 v[107:108], v104
	s_waitcnt vmcnt(0) lgkmcnt(0)
	v_mul_f64 v[101:102], v[101:102], v[107:108]
	s_cbranch_execz .LBB49_678
	s_branch .LBB49_679
.LBB49_677:
                                        ; implicit-def: $vgpr101_vgpr102
.LBB49_678:
	ds_load_b64 v[101:102], v104
.LBB49_679:
	s_mov_b32 s1, exec_lo
	v_cmpx_ne_u32_e32 19, v0
	s_cbranch_execz .LBB49_683
; %bb.680:
	v_add_nc_u32_e32 v107, 0x198, v103
	v_add3_u32 v108, 0, v103, 8
	v_mov_b32_e32 v109, v0
	s_mov_b32 s2, 0
.LBB49_681:                             ; =>This Inner Loop Header: Depth=1
	scratch_load_b64 v[110:111], v108, off
	ds_load_b64 v[112:113], v107
	v_add_nc_u32_e32 v109, 1, v109
	v_add_nc_u32_e32 v107, 8, v107
	v_add_nc_u32_e32 v108, 8, v108
	s_delay_alu instid0(VALU_DEP_3)
	v_cmp_lt_u32_e32 vcc_lo, 18, v109
	s_or_b32 s2, vcc_lo, s2
	s_waitcnt vmcnt(0) lgkmcnt(0)
	v_fma_f64 v[101:102], v[110:111], v[112:113], v[101:102]
	s_and_not1_b32 exec_lo, exec_lo, s2
	s_cbranch_execnz .LBB49_681
; %bb.682:
	s_or_b32 exec_lo, exec_lo, s2
.LBB49_683:
	s_delay_alu instid0(SALU_CYCLE_1)
	s_or_b32 exec_lo, exec_lo, s1
	v_mov_b32_e32 v107, 0
	ds_load_b64 v[107:108], v107 offset:160
	s_waitcnt lgkmcnt(0)
	v_mul_f64 v[101:102], v[101:102], v[107:108]
	scratch_store_b64 off, v[101:102], off offset:160
.LBB49_684:
	s_or_b32 exec_lo, exec_lo, s0
	scratch_load_b64 v[101:102], off, off offset:168
	s_mov_b32 s0, exec_lo
	s_waitcnt vmcnt(0)
	ds_store_b64 v104, v[101:102]
	s_waitcnt lgkmcnt(0)
	s_waitcnt_vscnt null, 0x0
	s_barrier
	buffer_gl0_inv
	v_cmpx_gt_u32_e32 21, v0
	s_cbranch_execz .LBB49_694
; %bb.685:
	v_cmp_ne_u32_e32 vcc_lo, 1, v106
	s_cbranch_vccnz .LBB49_687
; %bb.686:
	scratch_load_b64 v[101:102], v105, off
	ds_load_b64 v[107:108], v104
	s_waitcnt vmcnt(0) lgkmcnt(0)
	v_mul_f64 v[101:102], v[101:102], v[107:108]
	s_cbranch_execz .LBB49_688
	s_branch .LBB49_689
.LBB49_687:
                                        ; implicit-def: $vgpr101_vgpr102
.LBB49_688:
	ds_load_b64 v[101:102], v104
.LBB49_689:
	s_mov_b32 s1, exec_lo
	v_cmpx_ne_u32_e32 20, v0
	s_cbranch_execz .LBB49_693
; %bb.690:
	v_add_nc_u32_e32 v107, 0x198, v103
	v_add3_u32 v108, 0, v103, 8
	v_mov_b32_e32 v109, v0
	s_mov_b32 s2, 0
.LBB49_691:                             ; =>This Inner Loop Header: Depth=1
	scratch_load_b64 v[110:111], v108, off
	ds_load_b64 v[112:113], v107
	v_add_nc_u32_e32 v109, 1, v109
	v_add_nc_u32_e32 v107, 8, v107
	v_add_nc_u32_e32 v108, 8, v108
	s_delay_alu instid0(VALU_DEP_3)
	v_cmp_lt_u32_e32 vcc_lo, 19, v109
	s_or_b32 s2, vcc_lo, s2
	s_waitcnt vmcnt(0) lgkmcnt(0)
	v_fma_f64 v[101:102], v[110:111], v[112:113], v[101:102]
	s_and_not1_b32 exec_lo, exec_lo, s2
	s_cbranch_execnz .LBB49_691
; %bb.692:
	s_or_b32 exec_lo, exec_lo, s2
.LBB49_693:
	s_delay_alu instid0(SALU_CYCLE_1)
	s_or_b32 exec_lo, exec_lo, s1
	v_mov_b32_e32 v107, 0
	ds_load_b64 v[107:108], v107 offset:168
	s_waitcnt lgkmcnt(0)
	v_mul_f64 v[101:102], v[101:102], v[107:108]
	scratch_store_b64 off, v[101:102], off offset:168
.LBB49_694:
	s_or_b32 exec_lo, exec_lo, s0
	scratch_load_b64 v[101:102], off, off offset:176
	s_mov_b32 s0, exec_lo
	s_waitcnt vmcnt(0)
	ds_store_b64 v104, v[101:102]
	s_waitcnt lgkmcnt(0)
	s_waitcnt_vscnt null, 0x0
	s_barrier
	buffer_gl0_inv
	v_cmpx_gt_u32_e32 22, v0
	s_cbranch_execz .LBB49_704
; %bb.695:
	v_cmp_ne_u32_e32 vcc_lo, 1, v106
	s_cbranch_vccnz .LBB49_697
; %bb.696:
	scratch_load_b64 v[101:102], v105, off
	ds_load_b64 v[107:108], v104
	s_waitcnt vmcnt(0) lgkmcnt(0)
	v_mul_f64 v[101:102], v[101:102], v[107:108]
	s_cbranch_execz .LBB49_698
	s_branch .LBB49_699
.LBB49_697:
                                        ; implicit-def: $vgpr101_vgpr102
.LBB49_698:
	ds_load_b64 v[101:102], v104
.LBB49_699:
	s_mov_b32 s1, exec_lo
	v_cmpx_ne_u32_e32 21, v0
	s_cbranch_execz .LBB49_703
; %bb.700:
	v_add_nc_u32_e32 v107, 0x198, v103
	v_add3_u32 v108, 0, v103, 8
	v_mov_b32_e32 v109, v0
	s_mov_b32 s2, 0
.LBB49_701:                             ; =>This Inner Loop Header: Depth=1
	scratch_load_b64 v[110:111], v108, off
	ds_load_b64 v[112:113], v107
	v_add_nc_u32_e32 v109, 1, v109
	v_add_nc_u32_e32 v107, 8, v107
	v_add_nc_u32_e32 v108, 8, v108
	s_delay_alu instid0(VALU_DEP_3)
	v_cmp_lt_u32_e32 vcc_lo, 20, v109
	s_or_b32 s2, vcc_lo, s2
	s_waitcnt vmcnt(0) lgkmcnt(0)
	v_fma_f64 v[101:102], v[110:111], v[112:113], v[101:102]
	s_and_not1_b32 exec_lo, exec_lo, s2
	s_cbranch_execnz .LBB49_701
; %bb.702:
	s_or_b32 exec_lo, exec_lo, s2
.LBB49_703:
	s_delay_alu instid0(SALU_CYCLE_1)
	s_or_b32 exec_lo, exec_lo, s1
	v_mov_b32_e32 v107, 0
	ds_load_b64 v[107:108], v107 offset:176
	s_waitcnt lgkmcnt(0)
	v_mul_f64 v[101:102], v[101:102], v[107:108]
	scratch_store_b64 off, v[101:102], off offset:176
.LBB49_704:
	s_or_b32 exec_lo, exec_lo, s0
	scratch_load_b64 v[101:102], off, off offset:184
	s_mov_b32 s0, exec_lo
	s_waitcnt vmcnt(0)
	ds_store_b64 v104, v[101:102]
	s_waitcnt lgkmcnt(0)
	s_waitcnt_vscnt null, 0x0
	s_barrier
	buffer_gl0_inv
	v_cmpx_gt_u32_e32 23, v0
	s_cbranch_execz .LBB49_714
; %bb.705:
	v_cmp_ne_u32_e32 vcc_lo, 1, v106
	s_cbranch_vccnz .LBB49_707
; %bb.706:
	scratch_load_b64 v[101:102], v105, off
	ds_load_b64 v[107:108], v104
	s_waitcnt vmcnt(0) lgkmcnt(0)
	v_mul_f64 v[101:102], v[101:102], v[107:108]
	s_cbranch_execz .LBB49_708
	s_branch .LBB49_709
.LBB49_707:
                                        ; implicit-def: $vgpr101_vgpr102
.LBB49_708:
	ds_load_b64 v[101:102], v104
.LBB49_709:
	s_mov_b32 s1, exec_lo
	v_cmpx_ne_u32_e32 22, v0
	s_cbranch_execz .LBB49_713
; %bb.710:
	v_add_nc_u32_e32 v107, 0x198, v103
	v_add3_u32 v108, 0, v103, 8
	v_mov_b32_e32 v109, v0
	s_mov_b32 s2, 0
.LBB49_711:                             ; =>This Inner Loop Header: Depth=1
	scratch_load_b64 v[110:111], v108, off
	ds_load_b64 v[112:113], v107
	v_add_nc_u32_e32 v109, 1, v109
	v_add_nc_u32_e32 v107, 8, v107
	v_add_nc_u32_e32 v108, 8, v108
	s_delay_alu instid0(VALU_DEP_3)
	v_cmp_lt_u32_e32 vcc_lo, 21, v109
	s_or_b32 s2, vcc_lo, s2
	s_waitcnt vmcnt(0) lgkmcnt(0)
	v_fma_f64 v[101:102], v[110:111], v[112:113], v[101:102]
	s_and_not1_b32 exec_lo, exec_lo, s2
	s_cbranch_execnz .LBB49_711
; %bb.712:
	s_or_b32 exec_lo, exec_lo, s2
.LBB49_713:
	s_delay_alu instid0(SALU_CYCLE_1)
	s_or_b32 exec_lo, exec_lo, s1
	v_mov_b32_e32 v107, 0
	ds_load_b64 v[107:108], v107 offset:184
	s_waitcnt lgkmcnt(0)
	v_mul_f64 v[101:102], v[101:102], v[107:108]
	scratch_store_b64 off, v[101:102], off offset:184
.LBB49_714:
	s_or_b32 exec_lo, exec_lo, s0
	scratch_load_b64 v[101:102], off, off offset:192
	s_mov_b32 s0, exec_lo
	s_waitcnt vmcnt(0)
	ds_store_b64 v104, v[101:102]
	s_waitcnt lgkmcnt(0)
	s_waitcnt_vscnt null, 0x0
	s_barrier
	buffer_gl0_inv
	v_cmpx_gt_u32_e32 24, v0
	s_cbranch_execz .LBB49_724
; %bb.715:
	v_cmp_ne_u32_e32 vcc_lo, 1, v106
	s_cbranch_vccnz .LBB49_717
; %bb.716:
	scratch_load_b64 v[101:102], v105, off
	ds_load_b64 v[107:108], v104
	s_waitcnt vmcnt(0) lgkmcnt(0)
	v_mul_f64 v[101:102], v[101:102], v[107:108]
	s_cbranch_execz .LBB49_718
	s_branch .LBB49_719
.LBB49_717:
                                        ; implicit-def: $vgpr101_vgpr102
.LBB49_718:
	ds_load_b64 v[101:102], v104
.LBB49_719:
	s_mov_b32 s1, exec_lo
	v_cmpx_ne_u32_e32 23, v0
	s_cbranch_execz .LBB49_723
; %bb.720:
	v_add_nc_u32_e32 v107, 0x198, v103
	v_add3_u32 v108, 0, v103, 8
	v_mov_b32_e32 v109, v0
	s_mov_b32 s2, 0
.LBB49_721:                             ; =>This Inner Loop Header: Depth=1
	scratch_load_b64 v[110:111], v108, off
	ds_load_b64 v[112:113], v107
	v_add_nc_u32_e32 v109, 1, v109
	v_add_nc_u32_e32 v107, 8, v107
	v_add_nc_u32_e32 v108, 8, v108
	s_delay_alu instid0(VALU_DEP_3)
	v_cmp_lt_u32_e32 vcc_lo, 22, v109
	s_or_b32 s2, vcc_lo, s2
	s_waitcnt vmcnt(0) lgkmcnt(0)
	v_fma_f64 v[101:102], v[110:111], v[112:113], v[101:102]
	s_and_not1_b32 exec_lo, exec_lo, s2
	s_cbranch_execnz .LBB49_721
; %bb.722:
	s_or_b32 exec_lo, exec_lo, s2
.LBB49_723:
	s_delay_alu instid0(SALU_CYCLE_1)
	s_or_b32 exec_lo, exec_lo, s1
	v_mov_b32_e32 v107, 0
	ds_load_b64 v[107:108], v107 offset:192
	s_waitcnt lgkmcnt(0)
	v_mul_f64 v[101:102], v[101:102], v[107:108]
	scratch_store_b64 off, v[101:102], off offset:192
.LBB49_724:
	s_or_b32 exec_lo, exec_lo, s0
	scratch_load_b64 v[101:102], off, off offset:200
	s_mov_b32 s0, exec_lo
	s_waitcnt vmcnt(0)
	ds_store_b64 v104, v[101:102]
	s_waitcnt lgkmcnt(0)
	s_waitcnt_vscnt null, 0x0
	s_barrier
	buffer_gl0_inv
	v_cmpx_gt_u32_e32 25, v0
	s_cbranch_execz .LBB49_734
; %bb.725:
	v_cmp_ne_u32_e32 vcc_lo, 1, v106
	s_cbranch_vccnz .LBB49_727
; %bb.726:
	scratch_load_b64 v[101:102], v105, off
	ds_load_b64 v[107:108], v104
	s_waitcnt vmcnt(0) lgkmcnt(0)
	v_mul_f64 v[101:102], v[101:102], v[107:108]
	s_cbranch_execz .LBB49_728
	s_branch .LBB49_729
.LBB49_727:
                                        ; implicit-def: $vgpr101_vgpr102
.LBB49_728:
	ds_load_b64 v[101:102], v104
.LBB49_729:
	s_mov_b32 s1, exec_lo
	v_cmpx_ne_u32_e32 24, v0
	s_cbranch_execz .LBB49_733
; %bb.730:
	v_add_nc_u32_e32 v107, 0x198, v103
	v_add3_u32 v108, 0, v103, 8
	v_mov_b32_e32 v109, v0
	s_mov_b32 s2, 0
.LBB49_731:                             ; =>This Inner Loop Header: Depth=1
	scratch_load_b64 v[110:111], v108, off
	ds_load_b64 v[112:113], v107
	v_add_nc_u32_e32 v109, 1, v109
	v_add_nc_u32_e32 v107, 8, v107
	v_add_nc_u32_e32 v108, 8, v108
	s_delay_alu instid0(VALU_DEP_3)
	v_cmp_lt_u32_e32 vcc_lo, 23, v109
	s_or_b32 s2, vcc_lo, s2
	s_waitcnt vmcnt(0) lgkmcnt(0)
	v_fma_f64 v[101:102], v[110:111], v[112:113], v[101:102]
	s_and_not1_b32 exec_lo, exec_lo, s2
	s_cbranch_execnz .LBB49_731
; %bb.732:
	s_or_b32 exec_lo, exec_lo, s2
.LBB49_733:
	s_delay_alu instid0(SALU_CYCLE_1)
	s_or_b32 exec_lo, exec_lo, s1
	v_mov_b32_e32 v107, 0
	ds_load_b64 v[107:108], v107 offset:200
	s_waitcnt lgkmcnt(0)
	v_mul_f64 v[101:102], v[101:102], v[107:108]
	scratch_store_b64 off, v[101:102], off offset:200
.LBB49_734:
	s_or_b32 exec_lo, exec_lo, s0
	scratch_load_b64 v[101:102], off, off offset:208
	s_mov_b32 s0, exec_lo
	s_waitcnt vmcnt(0)
	ds_store_b64 v104, v[101:102]
	s_waitcnt lgkmcnt(0)
	s_waitcnt_vscnt null, 0x0
	s_barrier
	buffer_gl0_inv
	v_cmpx_gt_u32_e32 26, v0
	s_cbranch_execz .LBB49_744
; %bb.735:
	v_cmp_ne_u32_e32 vcc_lo, 1, v106
	s_cbranch_vccnz .LBB49_737
; %bb.736:
	scratch_load_b64 v[101:102], v105, off
	ds_load_b64 v[107:108], v104
	s_waitcnt vmcnt(0) lgkmcnt(0)
	v_mul_f64 v[101:102], v[101:102], v[107:108]
	s_cbranch_execz .LBB49_738
	s_branch .LBB49_739
.LBB49_737:
                                        ; implicit-def: $vgpr101_vgpr102
.LBB49_738:
	ds_load_b64 v[101:102], v104
.LBB49_739:
	s_mov_b32 s1, exec_lo
	v_cmpx_ne_u32_e32 25, v0
	s_cbranch_execz .LBB49_743
; %bb.740:
	v_add_nc_u32_e32 v107, 0x198, v103
	v_add3_u32 v108, 0, v103, 8
	v_mov_b32_e32 v109, v0
	s_mov_b32 s2, 0
.LBB49_741:                             ; =>This Inner Loop Header: Depth=1
	scratch_load_b64 v[110:111], v108, off
	ds_load_b64 v[112:113], v107
	v_add_nc_u32_e32 v109, 1, v109
	v_add_nc_u32_e32 v107, 8, v107
	v_add_nc_u32_e32 v108, 8, v108
	s_delay_alu instid0(VALU_DEP_3)
	v_cmp_lt_u32_e32 vcc_lo, 24, v109
	s_or_b32 s2, vcc_lo, s2
	s_waitcnt vmcnt(0) lgkmcnt(0)
	v_fma_f64 v[101:102], v[110:111], v[112:113], v[101:102]
	s_and_not1_b32 exec_lo, exec_lo, s2
	s_cbranch_execnz .LBB49_741
; %bb.742:
	s_or_b32 exec_lo, exec_lo, s2
.LBB49_743:
	s_delay_alu instid0(SALU_CYCLE_1)
	s_or_b32 exec_lo, exec_lo, s1
	v_mov_b32_e32 v107, 0
	ds_load_b64 v[107:108], v107 offset:208
	s_waitcnt lgkmcnt(0)
	v_mul_f64 v[101:102], v[101:102], v[107:108]
	scratch_store_b64 off, v[101:102], off offset:208
.LBB49_744:
	s_or_b32 exec_lo, exec_lo, s0
	scratch_load_b64 v[101:102], off, off offset:216
	s_mov_b32 s0, exec_lo
	s_waitcnt vmcnt(0)
	ds_store_b64 v104, v[101:102]
	s_waitcnt lgkmcnt(0)
	s_waitcnt_vscnt null, 0x0
	s_barrier
	buffer_gl0_inv
	v_cmpx_gt_u32_e32 27, v0
	s_cbranch_execz .LBB49_754
; %bb.745:
	v_cmp_ne_u32_e32 vcc_lo, 1, v106
	s_cbranch_vccnz .LBB49_747
; %bb.746:
	scratch_load_b64 v[101:102], v105, off
	ds_load_b64 v[107:108], v104
	s_waitcnt vmcnt(0) lgkmcnt(0)
	v_mul_f64 v[101:102], v[101:102], v[107:108]
	s_cbranch_execz .LBB49_748
	s_branch .LBB49_749
.LBB49_747:
                                        ; implicit-def: $vgpr101_vgpr102
.LBB49_748:
	ds_load_b64 v[101:102], v104
.LBB49_749:
	s_mov_b32 s1, exec_lo
	v_cmpx_ne_u32_e32 26, v0
	s_cbranch_execz .LBB49_753
; %bb.750:
	v_add_nc_u32_e32 v107, 0x198, v103
	v_add3_u32 v108, 0, v103, 8
	v_mov_b32_e32 v109, v0
	s_mov_b32 s2, 0
.LBB49_751:                             ; =>This Inner Loop Header: Depth=1
	scratch_load_b64 v[110:111], v108, off
	ds_load_b64 v[112:113], v107
	v_add_nc_u32_e32 v109, 1, v109
	v_add_nc_u32_e32 v107, 8, v107
	v_add_nc_u32_e32 v108, 8, v108
	s_delay_alu instid0(VALU_DEP_3)
	v_cmp_lt_u32_e32 vcc_lo, 25, v109
	s_or_b32 s2, vcc_lo, s2
	s_waitcnt vmcnt(0) lgkmcnt(0)
	v_fma_f64 v[101:102], v[110:111], v[112:113], v[101:102]
	s_and_not1_b32 exec_lo, exec_lo, s2
	s_cbranch_execnz .LBB49_751
; %bb.752:
	s_or_b32 exec_lo, exec_lo, s2
.LBB49_753:
	s_delay_alu instid0(SALU_CYCLE_1)
	s_or_b32 exec_lo, exec_lo, s1
	v_mov_b32_e32 v107, 0
	ds_load_b64 v[107:108], v107 offset:216
	s_waitcnt lgkmcnt(0)
	v_mul_f64 v[101:102], v[101:102], v[107:108]
	scratch_store_b64 off, v[101:102], off offset:216
.LBB49_754:
	s_or_b32 exec_lo, exec_lo, s0
	scratch_load_b64 v[101:102], off, off offset:224
	s_mov_b32 s0, exec_lo
	s_waitcnt vmcnt(0)
	ds_store_b64 v104, v[101:102]
	s_waitcnt lgkmcnt(0)
	s_waitcnt_vscnt null, 0x0
	s_barrier
	buffer_gl0_inv
	v_cmpx_gt_u32_e32 28, v0
	s_cbranch_execz .LBB49_764
; %bb.755:
	v_cmp_ne_u32_e32 vcc_lo, 1, v106
	s_cbranch_vccnz .LBB49_757
; %bb.756:
	scratch_load_b64 v[101:102], v105, off
	ds_load_b64 v[107:108], v104
	s_waitcnt vmcnt(0) lgkmcnt(0)
	v_mul_f64 v[101:102], v[101:102], v[107:108]
	s_cbranch_execz .LBB49_758
	s_branch .LBB49_759
.LBB49_757:
                                        ; implicit-def: $vgpr101_vgpr102
.LBB49_758:
	ds_load_b64 v[101:102], v104
.LBB49_759:
	s_mov_b32 s1, exec_lo
	v_cmpx_ne_u32_e32 27, v0
	s_cbranch_execz .LBB49_763
; %bb.760:
	v_add_nc_u32_e32 v107, 0x198, v103
	v_add3_u32 v108, 0, v103, 8
	v_mov_b32_e32 v109, v0
	s_mov_b32 s2, 0
.LBB49_761:                             ; =>This Inner Loop Header: Depth=1
	scratch_load_b64 v[110:111], v108, off
	ds_load_b64 v[112:113], v107
	v_add_nc_u32_e32 v109, 1, v109
	v_add_nc_u32_e32 v107, 8, v107
	v_add_nc_u32_e32 v108, 8, v108
	s_delay_alu instid0(VALU_DEP_3)
	v_cmp_lt_u32_e32 vcc_lo, 26, v109
	s_or_b32 s2, vcc_lo, s2
	s_waitcnt vmcnt(0) lgkmcnt(0)
	v_fma_f64 v[101:102], v[110:111], v[112:113], v[101:102]
	s_and_not1_b32 exec_lo, exec_lo, s2
	s_cbranch_execnz .LBB49_761
; %bb.762:
	s_or_b32 exec_lo, exec_lo, s2
.LBB49_763:
	s_delay_alu instid0(SALU_CYCLE_1)
	s_or_b32 exec_lo, exec_lo, s1
	v_mov_b32_e32 v107, 0
	ds_load_b64 v[107:108], v107 offset:224
	s_waitcnt lgkmcnt(0)
	v_mul_f64 v[101:102], v[101:102], v[107:108]
	scratch_store_b64 off, v[101:102], off offset:224
.LBB49_764:
	s_or_b32 exec_lo, exec_lo, s0
	scratch_load_b64 v[101:102], off, off offset:232
	s_mov_b32 s0, exec_lo
	s_waitcnt vmcnt(0)
	ds_store_b64 v104, v[101:102]
	s_waitcnt lgkmcnt(0)
	s_waitcnt_vscnt null, 0x0
	s_barrier
	buffer_gl0_inv
	v_cmpx_gt_u32_e32 29, v0
	s_cbranch_execz .LBB49_774
; %bb.765:
	v_cmp_ne_u32_e32 vcc_lo, 1, v106
	s_cbranch_vccnz .LBB49_767
; %bb.766:
	scratch_load_b64 v[101:102], v105, off
	ds_load_b64 v[107:108], v104
	s_waitcnt vmcnt(0) lgkmcnt(0)
	v_mul_f64 v[101:102], v[101:102], v[107:108]
	s_cbranch_execz .LBB49_768
	s_branch .LBB49_769
.LBB49_767:
                                        ; implicit-def: $vgpr101_vgpr102
.LBB49_768:
	ds_load_b64 v[101:102], v104
.LBB49_769:
	s_mov_b32 s1, exec_lo
	v_cmpx_ne_u32_e32 28, v0
	s_cbranch_execz .LBB49_773
; %bb.770:
	v_add_nc_u32_e32 v107, 0x198, v103
	v_add3_u32 v108, 0, v103, 8
	v_mov_b32_e32 v109, v0
	s_mov_b32 s2, 0
.LBB49_771:                             ; =>This Inner Loop Header: Depth=1
	scratch_load_b64 v[110:111], v108, off
	ds_load_b64 v[112:113], v107
	v_add_nc_u32_e32 v109, 1, v109
	v_add_nc_u32_e32 v107, 8, v107
	v_add_nc_u32_e32 v108, 8, v108
	s_delay_alu instid0(VALU_DEP_3)
	v_cmp_lt_u32_e32 vcc_lo, 27, v109
	s_or_b32 s2, vcc_lo, s2
	s_waitcnt vmcnt(0) lgkmcnt(0)
	v_fma_f64 v[101:102], v[110:111], v[112:113], v[101:102]
	s_and_not1_b32 exec_lo, exec_lo, s2
	s_cbranch_execnz .LBB49_771
; %bb.772:
	s_or_b32 exec_lo, exec_lo, s2
.LBB49_773:
	s_delay_alu instid0(SALU_CYCLE_1)
	s_or_b32 exec_lo, exec_lo, s1
	v_mov_b32_e32 v107, 0
	ds_load_b64 v[107:108], v107 offset:232
	s_waitcnt lgkmcnt(0)
	v_mul_f64 v[101:102], v[101:102], v[107:108]
	scratch_store_b64 off, v[101:102], off offset:232
.LBB49_774:
	s_or_b32 exec_lo, exec_lo, s0
	scratch_load_b64 v[101:102], off, off offset:240
	s_mov_b32 s0, exec_lo
	s_waitcnt vmcnt(0)
	ds_store_b64 v104, v[101:102]
	s_waitcnt lgkmcnt(0)
	s_waitcnt_vscnt null, 0x0
	s_barrier
	buffer_gl0_inv
	v_cmpx_gt_u32_e32 30, v0
	s_cbranch_execz .LBB49_784
; %bb.775:
	v_cmp_ne_u32_e32 vcc_lo, 1, v106
	s_cbranch_vccnz .LBB49_777
; %bb.776:
	scratch_load_b64 v[101:102], v105, off
	ds_load_b64 v[107:108], v104
	s_waitcnt vmcnt(0) lgkmcnt(0)
	v_mul_f64 v[101:102], v[101:102], v[107:108]
	s_cbranch_execz .LBB49_778
	s_branch .LBB49_779
.LBB49_777:
                                        ; implicit-def: $vgpr101_vgpr102
.LBB49_778:
	ds_load_b64 v[101:102], v104
.LBB49_779:
	s_mov_b32 s1, exec_lo
	v_cmpx_ne_u32_e32 29, v0
	s_cbranch_execz .LBB49_783
; %bb.780:
	v_add_nc_u32_e32 v107, 0x198, v103
	v_add3_u32 v108, 0, v103, 8
	v_mov_b32_e32 v109, v0
	s_mov_b32 s2, 0
.LBB49_781:                             ; =>This Inner Loop Header: Depth=1
	scratch_load_b64 v[110:111], v108, off
	ds_load_b64 v[112:113], v107
	v_add_nc_u32_e32 v109, 1, v109
	v_add_nc_u32_e32 v107, 8, v107
	v_add_nc_u32_e32 v108, 8, v108
	s_delay_alu instid0(VALU_DEP_3)
	v_cmp_lt_u32_e32 vcc_lo, 28, v109
	s_or_b32 s2, vcc_lo, s2
	s_waitcnt vmcnt(0) lgkmcnt(0)
	v_fma_f64 v[101:102], v[110:111], v[112:113], v[101:102]
	s_and_not1_b32 exec_lo, exec_lo, s2
	s_cbranch_execnz .LBB49_781
; %bb.782:
	s_or_b32 exec_lo, exec_lo, s2
.LBB49_783:
	s_delay_alu instid0(SALU_CYCLE_1)
	s_or_b32 exec_lo, exec_lo, s1
	v_mov_b32_e32 v107, 0
	ds_load_b64 v[107:108], v107 offset:240
	s_waitcnt lgkmcnt(0)
	v_mul_f64 v[101:102], v[101:102], v[107:108]
	scratch_store_b64 off, v[101:102], off offset:240
.LBB49_784:
	s_or_b32 exec_lo, exec_lo, s0
	scratch_load_b64 v[101:102], off, off offset:248
	s_mov_b32 s0, exec_lo
	s_waitcnt vmcnt(0)
	ds_store_b64 v104, v[101:102]
	s_waitcnt lgkmcnt(0)
	s_waitcnt_vscnt null, 0x0
	s_barrier
	buffer_gl0_inv
	v_cmpx_gt_u32_e32 31, v0
	s_cbranch_execz .LBB49_794
; %bb.785:
	v_cmp_ne_u32_e32 vcc_lo, 1, v106
	s_cbranch_vccnz .LBB49_787
; %bb.786:
	scratch_load_b64 v[101:102], v105, off
	ds_load_b64 v[107:108], v104
	s_waitcnt vmcnt(0) lgkmcnt(0)
	v_mul_f64 v[101:102], v[101:102], v[107:108]
	s_cbranch_execz .LBB49_788
	s_branch .LBB49_789
.LBB49_787:
                                        ; implicit-def: $vgpr101_vgpr102
.LBB49_788:
	ds_load_b64 v[101:102], v104
.LBB49_789:
	s_mov_b32 s1, exec_lo
	v_cmpx_ne_u32_e32 30, v0
	s_cbranch_execz .LBB49_793
; %bb.790:
	v_add_nc_u32_e32 v107, 0x198, v103
	v_add3_u32 v108, 0, v103, 8
	v_mov_b32_e32 v109, v0
	s_mov_b32 s2, 0
.LBB49_791:                             ; =>This Inner Loop Header: Depth=1
	scratch_load_b64 v[110:111], v108, off
	ds_load_b64 v[112:113], v107
	v_add_nc_u32_e32 v109, 1, v109
	v_add_nc_u32_e32 v107, 8, v107
	v_add_nc_u32_e32 v108, 8, v108
	s_delay_alu instid0(VALU_DEP_3)
	v_cmp_lt_u32_e32 vcc_lo, 29, v109
	s_or_b32 s2, vcc_lo, s2
	s_waitcnt vmcnt(0) lgkmcnt(0)
	v_fma_f64 v[101:102], v[110:111], v[112:113], v[101:102]
	s_and_not1_b32 exec_lo, exec_lo, s2
	s_cbranch_execnz .LBB49_791
; %bb.792:
	s_or_b32 exec_lo, exec_lo, s2
.LBB49_793:
	s_delay_alu instid0(SALU_CYCLE_1)
	s_or_b32 exec_lo, exec_lo, s1
	v_mov_b32_e32 v107, 0
	ds_load_b64 v[107:108], v107 offset:248
	s_waitcnt lgkmcnt(0)
	v_mul_f64 v[101:102], v[101:102], v[107:108]
	scratch_store_b64 off, v[101:102], off offset:248
.LBB49_794:
	s_or_b32 exec_lo, exec_lo, s0
	scratch_load_b64 v[101:102], off, off offset:256
	s_mov_b32 s0, exec_lo
	s_waitcnt vmcnt(0)
	ds_store_b64 v104, v[101:102]
	s_waitcnt lgkmcnt(0)
	s_waitcnt_vscnt null, 0x0
	s_barrier
	buffer_gl0_inv
	v_cmpx_gt_u32_e32 32, v0
	s_cbranch_execz .LBB49_804
; %bb.795:
	v_cmp_ne_u32_e32 vcc_lo, 1, v106
	s_cbranch_vccnz .LBB49_797
; %bb.796:
	scratch_load_b64 v[101:102], v105, off
	ds_load_b64 v[107:108], v104
	s_waitcnt vmcnt(0) lgkmcnt(0)
	v_mul_f64 v[101:102], v[101:102], v[107:108]
	s_cbranch_execz .LBB49_798
	s_branch .LBB49_799
.LBB49_797:
                                        ; implicit-def: $vgpr101_vgpr102
.LBB49_798:
	ds_load_b64 v[101:102], v104
.LBB49_799:
	s_mov_b32 s1, exec_lo
	v_cmpx_ne_u32_e32 31, v0
	s_cbranch_execz .LBB49_803
; %bb.800:
	v_add_nc_u32_e32 v107, 0x198, v103
	v_add3_u32 v108, 0, v103, 8
	v_mov_b32_e32 v109, v0
	s_mov_b32 s2, 0
.LBB49_801:                             ; =>This Inner Loop Header: Depth=1
	scratch_load_b64 v[110:111], v108, off
	ds_load_b64 v[112:113], v107
	v_add_nc_u32_e32 v109, 1, v109
	v_add_nc_u32_e32 v107, 8, v107
	v_add_nc_u32_e32 v108, 8, v108
	s_delay_alu instid0(VALU_DEP_3)
	v_cmp_lt_u32_e32 vcc_lo, 30, v109
	s_or_b32 s2, vcc_lo, s2
	s_waitcnt vmcnt(0) lgkmcnt(0)
	v_fma_f64 v[101:102], v[110:111], v[112:113], v[101:102]
	s_and_not1_b32 exec_lo, exec_lo, s2
	s_cbranch_execnz .LBB49_801
; %bb.802:
	s_or_b32 exec_lo, exec_lo, s2
.LBB49_803:
	s_delay_alu instid0(SALU_CYCLE_1)
	s_or_b32 exec_lo, exec_lo, s1
	v_mov_b32_e32 v107, 0
	ds_load_b64 v[107:108], v107 offset:256
	s_waitcnt lgkmcnt(0)
	v_mul_f64 v[101:102], v[101:102], v[107:108]
	scratch_store_b64 off, v[101:102], off offset:256
.LBB49_804:
	s_or_b32 exec_lo, exec_lo, s0
	scratch_load_b64 v[101:102], off, off offset:264
	s_mov_b32 s0, exec_lo
	s_waitcnt vmcnt(0)
	ds_store_b64 v104, v[101:102]
	s_waitcnt lgkmcnt(0)
	s_waitcnt_vscnt null, 0x0
	s_barrier
	buffer_gl0_inv
	v_cmpx_gt_u32_e32 33, v0
	s_cbranch_execz .LBB49_814
; %bb.805:
	v_cmp_ne_u32_e32 vcc_lo, 1, v106
	s_cbranch_vccnz .LBB49_807
; %bb.806:
	scratch_load_b64 v[101:102], v105, off
	ds_load_b64 v[107:108], v104
	s_waitcnt vmcnt(0) lgkmcnt(0)
	v_mul_f64 v[101:102], v[101:102], v[107:108]
	s_cbranch_execz .LBB49_808
	s_branch .LBB49_809
.LBB49_807:
                                        ; implicit-def: $vgpr101_vgpr102
.LBB49_808:
	ds_load_b64 v[101:102], v104
.LBB49_809:
	s_mov_b32 s1, exec_lo
	v_cmpx_ne_u32_e32 32, v0
	s_cbranch_execz .LBB49_813
; %bb.810:
	v_add_nc_u32_e32 v107, 0x198, v103
	v_add3_u32 v108, 0, v103, 8
	v_mov_b32_e32 v109, v0
	s_mov_b32 s2, 0
.LBB49_811:                             ; =>This Inner Loop Header: Depth=1
	scratch_load_b64 v[110:111], v108, off
	ds_load_b64 v[112:113], v107
	v_add_nc_u32_e32 v109, 1, v109
	v_add_nc_u32_e32 v107, 8, v107
	v_add_nc_u32_e32 v108, 8, v108
	s_delay_alu instid0(VALU_DEP_3)
	v_cmp_lt_u32_e32 vcc_lo, 31, v109
	s_or_b32 s2, vcc_lo, s2
	s_waitcnt vmcnt(0) lgkmcnt(0)
	v_fma_f64 v[101:102], v[110:111], v[112:113], v[101:102]
	s_and_not1_b32 exec_lo, exec_lo, s2
	s_cbranch_execnz .LBB49_811
; %bb.812:
	s_or_b32 exec_lo, exec_lo, s2
.LBB49_813:
	s_delay_alu instid0(SALU_CYCLE_1)
	s_or_b32 exec_lo, exec_lo, s1
	v_mov_b32_e32 v107, 0
	ds_load_b64 v[107:108], v107 offset:264
	s_waitcnt lgkmcnt(0)
	v_mul_f64 v[101:102], v[101:102], v[107:108]
	scratch_store_b64 off, v[101:102], off offset:264
.LBB49_814:
	s_or_b32 exec_lo, exec_lo, s0
	scratch_load_b64 v[101:102], off, off offset:272
	s_mov_b32 s0, exec_lo
	s_waitcnt vmcnt(0)
	ds_store_b64 v104, v[101:102]
	s_waitcnt lgkmcnt(0)
	s_waitcnt_vscnt null, 0x0
	s_barrier
	buffer_gl0_inv
	v_cmpx_gt_u32_e32 34, v0
	s_cbranch_execz .LBB49_824
; %bb.815:
	v_cmp_ne_u32_e32 vcc_lo, 1, v106
	s_cbranch_vccnz .LBB49_817
; %bb.816:
	scratch_load_b64 v[101:102], v105, off
	ds_load_b64 v[107:108], v104
	s_waitcnt vmcnt(0) lgkmcnt(0)
	v_mul_f64 v[101:102], v[101:102], v[107:108]
	s_cbranch_execz .LBB49_818
	s_branch .LBB49_819
.LBB49_817:
                                        ; implicit-def: $vgpr101_vgpr102
.LBB49_818:
	ds_load_b64 v[101:102], v104
.LBB49_819:
	s_mov_b32 s1, exec_lo
	v_cmpx_ne_u32_e32 33, v0
	s_cbranch_execz .LBB49_823
; %bb.820:
	v_add_nc_u32_e32 v107, 0x198, v103
	v_add3_u32 v108, 0, v103, 8
	v_mov_b32_e32 v109, v0
	s_mov_b32 s2, 0
.LBB49_821:                             ; =>This Inner Loop Header: Depth=1
	scratch_load_b64 v[110:111], v108, off
	ds_load_b64 v[112:113], v107
	v_add_nc_u32_e32 v109, 1, v109
	v_add_nc_u32_e32 v107, 8, v107
	v_add_nc_u32_e32 v108, 8, v108
	s_delay_alu instid0(VALU_DEP_3)
	v_cmp_lt_u32_e32 vcc_lo, 32, v109
	s_or_b32 s2, vcc_lo, s2
	s_waitcnt vmcnt(0) lgkmcnt(0)
	v_fma_f64 v[101:102], v[110:111], v[112:113], v[101:102]
	s_and_not1_b32 exec_lo, exec_lo, s2
	s_cbranch_execnz .LBB49_821
; %bb.822:
	s_or_b32 exec_lo, exec_lo, s2
.LBB49_823:
	s_delay_alu instid0(SALU_CYCLE_1)
	s_or_b32 exec_lo, exec_lo, s1
	v_mov_b32_e32 v107, 0
	ds_load_b64 v[107:108], v107 offset:272
	s_waitcnt lgkmcnt(0)
	v_mul_f64 v[101:102], v[101:102], v[107:108]
	scratch_store_b64 off, v[101:102], off offset:272
.LBB49_824:
	s_or_b32 exec_lo, exec_lo, s0
	scratch_load_b64 v[101:102], off, off offset:280
	s_mov_b32 s0, exec_lo
	s_waitcnt vmcnt(0)
	ds_store_b64 v104, v[101:102]
	s_waitcnt lgkmcnt(0)
	s_waitcnt_vscnt null, 0x0
	s_barrier
	buffer_gl0_inv
	v_cmpx_gt_u32_e32 35, v0
	s_cbranch_execz .LBB49_834
; %bb.825:
	v_cmp_ne_u32_e32 vcc_lo, 1, v106
	s_cbranch_vccnz .LBB49_827
; %bb.826:
	scratch_load_b64 v[101:102], v105, off
	ds_load_b64 v[107:108], v104
	s_waitcnt vmcnt(0) lgkmcnt(0)
	v_mul_f64 v[101:102], v[101:102], v[107:108]
	s_cbranch_execz .LBB49_828
	s_branch .LBB49_829
.LBB49_827:
                                        ; implicit-def: $vgpr101_vgpr102
.LBB49_828:
	ds_load_b64 v[101:102], v104
.LBB49_829:
	s_mov_b32 s1, exec_lo
	v_cmpx_ne_u32_e32 34, v0
	s_cbranch_execz .LBB49_833
; %bb.830:
	v_add_nc_u32_e32 v107, 0x198, v103
	v_add3_u32 v108, 0, v103, 8
	v_mov_b32_e32 v109, v0
	s_mov_b32 s2, 0
.LBB49_831:                             ; =>This Inner Loop Header: Depth=1
	scratch_load_b64 v[110:111], v108, off
	ds_load_b64 v[112:113], v107
	v_add_nc_u32_e32 v109, 1, v109
	v_add_nc_u32_e32 v107, 8, v107
	v_add_nc_u32_e32 v108, 8, v108
	s_delay_alu instid0(VALU_DEP_3)
	v_cmp_lt_u32_e32 vcc_lo, 33, v109
	s_or_b32 s2, vcc_lo, s2
	s_waitcnt vmcnt(0) lgkmcnt(0)
	v_fma_f64 v[101:102], v[110:111], v[112:113], v[101:102]
	s_and_not1_b32 exec_lo, exec_lo, s2
	s_cbranch_execnz .LBB49_831
; %bb.832:
	s_or_b32 exec_lo, exec_lo, s2
.LBB49_833:
	s_delay_alu instid0(SALU_CYCLE_1)
	s_or_b32 exec_lo, exec_lo, s1
	v_mov_b32_e32 v107, 0
	ds_load_b64 v[107:108], v107 offset:280
	s_waitcnt lgkmcnt(0)
	v_mul_f64 v[101:102], v[101:102], v[107:108]
	scratch_store_b64 off, v[101:102], off offset:280
.LBB49_834:
	s_or_b32 exec_lo, exec_lo, s0
	scratch_load_b64 v[101:102], off, off offset:288
	s_mov_b32 s0, exec_lo
	s_waitcnt vmcnt(0)
	ds_store_b64 v104, v[101:102]
	s_waitcnt lgkmcnt(0)
	s_waitcnt_vscnt null, 0x0
	s_barrier
	buffer_gl0_inv
	v_cmpx_gt_u32_e32 36, v0
	s_cbranch_execz .LBB49_844
; %bb.835:
	v_cmp_ne_u32_e32 vcc_lo, 1, v106
	s_cbranch_vccnz .LBB49_837
; %bb.836:
	scratch_load_b64 v[101:102], v105, off
	ds_load_b64 v[107:108], v104
	s_waitcnt vmcnt(0) lgkmcnt(0)
	v_mul_f64 v[101:102], v[101:102], v[107:108]
	s_cbranch_execz .LBB49_838
	s_branch .LBB49_839
.LBB49_837:
                                        ; implicit-def: $vgpr101_vgpr102
.LBB49_838:
	ds_load_b64 v[101:102], v104
.LBB49_839:
	s_mov_b32 s1, exec_lo
	v_cmpx_ne_u32_e32 35, v0
	s_cbranch_execz .LBB49_843
; %bb.840:
	v_add_nc_u32_e32 v107, 0x198, v103
	v_add3_u32 v108, 0, v103, 8
	v_mov_b32_e32 v109, v0
	s_mov_b32 s2, 0
.LBB49_841:                             ; =>This Inner Loop Header: Depth=1
	scratch_load_b64 v[110:111], v108, off
	ds_load_b64 v[112:113], v107
	v_add_nc_u32_e32 v109, 1, v109
	v_add_nc_u32_e32 v107, 8, v107
	v_add_nc_u32_e32 v108, 8, v108
	s_delay_alu instid0(VALU_DEP_3)
	v_cmp_lt_u32_e32 vcc_lo, 34, v109
	s_or_b32 s2, vcc_lo, s2
	s_waitcnt vmcnt(0) lgkmcnt(0)
	v_fma_f64 v[101:102], v[110:111], v[112:113], v[101:102]
	s_and_not1_b32 exec_lo, exec_lo, s2
	s_cbranch_execnz .LBB49_841
; %bb.842:
	s_or_b32 exec_lo, exec_lo, s2
.LBB49_843:
	s_delay_alu instid0(SALU_CYCLE_1)
	s_or_b32 exec_lo, exec_lo, s1
	v_mov_b32_e32 v107, 0
	ds_load_b64 v[107:108], v107 offset:288
	s_waitcnt lgkmcnt(0)
	v_mul_f64 v[101:102], v[101:102], v[107:108]
	scratch_store_b64 off, v[101:102], off offset:288
.LBB49_844:
	s_or_b32 exec_lo, exec_lo, s0
	scratch_load_b64 v[101:102], off, off offset:296
	s_mov_b32 s0, exec_lo
	s_waitcnt vmcnt(0)
	ds_store_b64 v104, v[101:102]
	s_waitcnt lgkmcnt(0)
	s_waitcnt_vscnt null, 0x0
	s_barrier
	buffer_gl0_inv
	v_cmpx_gt_u32_e32 37, v0
	s_cbranch_execz .LBB49_854
; %bb.845:
	v_cmp_ne_u32_e32 vcc_lo, 1, v106
	s_cbranch_vccnz .LBB49_847
; %bb.846:
	scratch_load_b64 v[101:102], v105, off
	ds_load_b64 v[107:108], v104
	s_waitcnt vmcnt(0) lgkmcnt(0)
	v_mul_f64 v[101:102], v[101:102], v[107:108]
	s_cbranch_execz .LBB49_848
	s_branch .LBB49_849
.LBB49_847:
                                        ; implicit-def: $vgpr101_vgpr102
.LBB49_848:
	ds_load_b64 v[101:102], v104
.LBB49_849:
	s_mov_b32 s1, exec_lo
	v_cmpx_ne_u32_e32 36, v0
	s_cbranch_execz .LBB49_853
; %bb.850:
	v_add_nc_u32_e32 v107, 0x198, v103
	v_add3_u32 v108, 0, v103, 8
	v_mov_b32_e32 v109, v0
	s_mov_b32 s2, 0
.LBB49_851:                             ; =>This Inner Loop Header: Depth=1
	scratch_load_b64 v[110:111], v108, off
	ds_load_b64 v[112:113], v107
	v_add_nc_u32_e32 v109, 1, v109
	v_add_nc_u32_e32 v107, 8, v107
	v_add_nc_u32_e32 v108, 8, v108
	s_delay_alu instid0(VALU_DEP_3)
	v_cmp_lt_u32_e32 vcc_lo, 35, v109
	s_or_b32 s2, vcc_lo, s2
	s_waitcnt vmcnt(0) lgkmcnt(0)
	v_fma_f64 v[101:102], v[110:111], v[112:113], v[101:102]
	s_and_not1_b32 exec_lo, exec_lo, s2
	s_cbranch_execnz .LBB49_851
; %bb.852:
	s_or_b32 exec_lo, exec_lo, s2
.LBB49_853:
	s_delay_alu instid0(SALU_CYCLE_1)
	s_or_b32 exec_lo, exec_lo, s1
	v_mov_b32_e32 v107, 0
	ds_load_b64 v[107:108], v107 offset:296
	s_waitcnt lgkmcnt(0)
	v_mul_f64 v[101:102], v[101:102], v[107:108]
	scratch_store_b64 off, v[101:102], off offset:296
.LBB49_854:
	s_or_b32 exec_lo, exec_lo, s0
	scratch_load_b64 v[101:102], off, off offset:304
	s_mov_b32 s0, exec_lo
	s_waitcnt vmcnt(0)
	ds_store_b64 v104, v[101:102]
	s_waitcnt lgkmcnt(0)
	s_waitcnt_vscnt null, 0x0
	s_barrier
	buffer_gl0_inv
	v_cmpx_gt_u32_e32 38, v0
	s_cbranch_execz .LBB49_864
; %bb.855:
	v_cmp_ne_u32_e32 vcc_lo, 1, v106
	s_cbranch_vccnz .LBB49_857
; %bb.856:
	scratch_load_b64 v[101:102], v105, off
	ds_load_b64 v[107:108], v104
	s_waitcnt vmcnt(0) lgkmcnt(0)
	v_mul_f64 v[101:102], v[101:102], v[107:108]
	s_cbranch_execz .LBB49_858
	s_branch .LBB49_859
.LBB49_857:
                                        ; implicit-def: $vgpr101_vgpr102
.LBB49_858:
	ds_load_b64 v[101:102], v104
.LBB49_859:
	s_mov_b32 s1, exec_lo
	v_cmpx_ne_u32_e32 37, v0
	s_cbranch_execz .LBB49_863
; %bb.860:
	v_add_nc_u32_e32 v107, 0x198, v103
	v_add3_u32 v108, 0, v103, 8
	v_mov_b32_e32 v109, v0
	s_mov_b32 s2, 0
.LBB49_861:                             ; =>This Inner Loop Header: Depth=1
	scratch_load_b64 v[110:111], v108, off
	ds_load_b64 v[112:113], v107
	v_add_nc_u32_e32 v109, 1, v109
	v_add_nc_u32_e32 v107, 8, v107
	v_add_nc_u32_e32 v108, 8, v108
	s_delay_alu instid0(VALU_DEP_3)
	v_cmp_lt_u32_e32 vcc_lo, 36, v109
	s_or_b32 s2, vcc_lo, s2
	s_waitcnt vmcnt(0) lgkmcnt(0)
	v_fma_f64 v[101:102], v[110:111], v[112:113], v[101:102]
	s_and_not1_b32 exec_lo, exec_lo, s2
	s_cbranch_execnz .LBB49_861
; %bb.862:
	s_or_b32 exec_lo, exec_lo, s2
.LBB49_863:
	s_delay_alu instid0(SALU_CYCLE_1)
	s_or_b32 exec_lo, exec_lo, s1
	v_mov_b32_e32 v107, 0
	ds_load_b64 v[107:108], v107 offset:304
	s_waitcnt lgkmcnt(0)
	v_mul_f64 v[101:102], v[101:102], v[107:108]
	scratch_store_b64 off, v[101:102], off offset:304
.LBB49_864:
	s_or_b32 exec_lo, exec_lo, s0
	scratch_load_b64 v[101:102], off, off offset:312
	s_mov_b32 s0, exec_lo
	s_waitcnt vmcnt(0)
	ds_store_b64 v104, v[101:102]
	s_waitcnt lgkmcnt(0)
	s_waitcnt_vscnt null, 0x0
	s_barrier
	buffer_gl0_inv
	v_cmpx_gt_u32_e32 39, v0
	s_cbranch_execz .LBB49_874
; %bb.865:
	v_cmp_ne_u32_e32 vcc_lo, 1, v106
	s_cbranch_vccnz .LBB49_867
; %bb.866:
	scratch_load_b64 v[101:102], v105, off
	ds_load_b64 v[107:108], v104
	s_waitcnt vmcnt(0) lgkmcnt(0)
	v_mul_f64 v[101:102], v[101:102], v[107:108]
	s_cbranch_execz .LBB49_868
	s_branch .LBB49_869
.LBB49_867:
                                        ; implicit-def: $vgpr101_vgpr102
.LBB49_868:
	ds_load_b64 v[101:102], v104
.LBB49_869:
	s_mov_b32 s1, exec_lo
	v_cmpx_ne_u32_e32 38, v0
	s_cbranch_execz .LBB49_873
; %bb.870:
	v_add_nc_u32_e32 v107, 0x198, v103
	v_add3_u32 v108, 0, v103, 8
	v_mov_b32_e32 v109, v0
	s_mov_b32 s2, 0
.LBB49_871:                             ; =>This Inner Loop Header: Depth=1
	scratch_load_b64 v[110:111], v108, off
	ds_load_b64 v[112:113], v107
	v_add_nc_u32_e32 v109, 1, v109
	v_add_nc_u32_e32 v107, 8, v107
	v_add_nc_u32_e32 v108, 8, v108
	s_delay_alu instid0(VALU_DEP_3)
	v_cmp_lt_u32_e32 vcc_lo, 37, v109
	s_or_b32 s2, vcc_lo, s2
	s_waitcnt vmcnt(0) lgkmcnt(0)
	v_fma_f64 v[101:102], v[110:111], v[112:113], v[101:102]
	s_and_not1_b32 exec_lo, exec_lo, s2
	s_cbranch_execnz .LBB49_871
; %bb.872:
	s_or_b32 exec_lo, exec_lo, s2
.LBB49_873:
	s_delay_alu instid0(SALU_CYCLE_1)
	s_or_b32 exec_lo, exec_lo, s1
	v_mov_b32_e32 v107, 0
	ds_load_b64 v[107:108], v107 offset:312
	s_waitcnt lgkmcnt(0)
	v_mul_f64 v[101:102], v[101:102], v[107:108]
	scratch_store_b64 off, v[101:102], off offset:312
.LBB49_874:
	s_or_b32 exec_lo, exec_lo, s0
	scratch_load_b64 v[101:102], off, off offset:320
	s_mov_b32 s0, exec_lo
	s_waitcnt vmcnt(0)
	ds_store_b64 v104, v[101:102]
	s_waitcnt lgkmcnt(0)
	s_waitcnt_vscnt null, 0x0
	s_barrier
	buffer_gl0_inv
	v_cmpx_gt_u32_e32 40, v0
	s_cbranch_execz .LBB49_884
; %bb.875:
	v_cmp_ne_u32_e32 vcc_lo, 1, v106
	s_cbranch_vccnz .LBB49_877
; %bb.876:
	scratch_load_b64 v[101:102], v105, off
	ds_load_b64 v[107:108], v104
	s_waitcnt vmcnt(0) lgkmcnt(0)
	v_mul_f64 v[101:102], v[101:102], v[107:108]
	s_cbranch_execz .LBB49_878
	s_branch .LBB49_879
.LBB49_877:
                                        ; implicit-def: $vgpr101_vgpr102
.LBB49_878:
	ds_load_b64 v[101:102], v104
.LBB49_879:
	s_mov_b32 s1, exec_lo
	v_cmpx_ne_u32_e32 39, v0
	s_cbranch_execz .LBB49_883
; %bb.880:
	v_add_nc_u32_e32 v107, 0x198, v103
	v_add3_u32 v108, 0, v103, 8
	v_mov_b32_e32 v109, v0
	s_mov_b32 s2, 0
.LBB49_881:                             ; =>This Inner Loop Header: Depth=1
	scratch_load_b64 v[110:111], v108, off
	ds_load_b64 v[112:113], v107
	v_add_nc_u32_e32 v109, 1, v109
	v_add_nc_u32_e32 v107, 8, v107
	v_add_nc_u32_e32 v108, 8, v108
	s_delay_alu instid0(VALU_DEP_3)
	v_cmp_lt_u32_e32 vcc_lo, 38, v109
	s_or_b32 s2, vcc_lo, s2
	s_waitcnt vmcnt(0) lgkmcnt(0)
	v_fma_f64 v[101:102], v[110:111], v[112:113], v[101:102]
	s_and_not1_b32 exec_lo, exec_lo, s2
	s_cbranch_execnz .LBB49_881
; %bb.882:
	s_or_b32 exec_lo, exec_lo, s2
.LBB49_883:
	s_delay_alu instid0(SALU_CYCLE_1)
	s_or_b32 exec_lo, exec_lo, s1
	v_mov_b32_e32 v107, 0
	ds_load_b64 v[107:108], v107 offset:320
	s_waitcnt lgkmcnt(0)
	v_mul_f64 v[101:102], v[101:102], v[107:108]
	scratch_store_b64 off, v[101:102], off offset:320
.LBB49_884:
	s_or_b32 exec_lo, exec_lo, s0
	scratch_load_b64 v[101:102], off, off offset:328
	s_mov_b32 s0, exec_lo
	s_waitcnt vmcnt(0)
	ds_store_b64 v104, v[101:102]
	s_waitcnt lgkmcnt(0)
	s_waitcnt_vscnt null, 0x0
	s_barrier
	buffer_gl0_inv
	v_cmpx_gt_u32_e32 41, v0
	s_cbranch_execz .LBB49_894
; %bb.885:
	v_cmp_ne_u32_e32 vcc_lo, 1, v106
	s_cbranch_vccnz .LBB49_887
; %bb.886:
	scratch_load_b64 v[101:102], v105, off
	ds_load_b64 v[107:108], v104
	s_waitcnt vmcnt(0) lgkmcnt(0)
	v_mul_f64 v[101:102], v[101:102], v[107:108]
	s_cbranch_execz .LBB49_888
	s_branch .LBB49_889
.LBB49_887:
                                        ; implicit-def: $vgpr101_vgpr102
.LBB49_888:
	ds_load_b64 v[101:102], v104
.LBB49_889:
	s_mov_b32 s1, exec_lo
	v_cmpx_ne_u32_e32 40, v0
	s_cbranch_execz .LBB49_893
; %bb.890:
	v_add_nc_u32_e32 v107, 0x198, v103
	v_add3_u32 v108, 0, v103, 8
	v_mov_b32_e32 v109, v0
	s_mov_b32 s2, 0
.LBB49_891:                             ; =>This Inner Loop Header: Depth=1
	scratch_load_b64 v[110:111], v108, off
	ds_load_b64 v[112:113], v107
	v_add_nc_u32_e32 v109, 1, v109
	v_add_nc_u32_e32 v107, 8, v107
	v_add_nc_u32_e32 v108, 8, v108
	s_delay_alu instid0(VALU_DEP_3)
	v_cmp_lt_u32_e32 vcc_lo, 39, v109
	s_or_b32 s2, vcc_lo, s2
	s_waitcnt vmcnt(0) lgkmcnt(0)
	v_fma_f64 v[101:102], v[110:111], v[112:113], v[101:102]
	s_and_not1_b32 exec_lo, exec_lo, s2
	s_cbranch_execnz .LBB49_891
; %bb.892:
	s_or_b32 exec_lo, exec_lo, s2
.LBB49_893:
	s_delay_alu instid0(SALU_CYCLE_1)
	s_or_b32 exec_lo, exec_lo, s1
	v_mov_b32_e32 v107, 0
	ds_load_b64 v[107:108], v107 offset:328
	s_waitcnt lgkmcnt(0)
	v_mul_f64 v[101:102], v[101:102], v[107:108]
	scratch_store_b64 off, v[101:102], off offset:328
.LBB49_894:
	s_or_b32 exec_lo, exec_lo, s0
	scratch_load_b64 v[101:102], off, off offset:336
	s_mov_b32 s0, exec_lo
	s_waitcnt vmcnt(0)
	ds_store_b64 v104, v[101:102]
	s_waitcnt lgkmcnt(0)
	s_waitcnt_vscnt null, 0x0
	s_barrier
	buffer_gl0_inv
	v_cmpx_gt_u32_e32 42, v0
	s_cbranch_execz .LBB49_904
; %bb.895:
	v_cmp_ne_u32_e32 vcc_lo, 1, v106
	s_cbranch_vccnz .LBB49_897
; %bb.896:
	scratch_load_b64 v[101:102], v105, off
	ds_load_b64 v[107:108], v104
	s_waitcnt vmcnt(0) lgkmcnt(0)
	v_mul_f64 v[101:102], v[101:102], v[107:108]
	s_cbranch_execz .LBB49_898
	s_branch .LBB49_899
.LBB49_897:
                                        ; implicit-def: $vgpr101_vgpr102
.LBB49_898:
	ds_load_b64 v[101:102], v104
.LBB49_899:
	s_mov_b32 s1, exec_lo
	v_cmpx_ne_u32_e32 41, v0
	s_cbranch_execz .LBB49_903
; %bb.900:
	v_add_nc_u32_e32 v107, 0x198, v103
	v_add3_u32 v108, 0, v103, 8
	v_mov_b32_e32 v109, v0
	s_mov_b32 s2, 0
.LBB49_901:                             ; =>This Inner Loop Header: Depth=1
	scratch_load_b64 v[110:111], v108, off
	ds_load_b64 v[112:113], v107
	v_add_nc_u32_e32 v109, 1, v109
	v_add_nc_u32_e32 v107, 8, v107
	v_add_nc_u32_e32 v108, 8, v108
	s_delay_alu instid0(VALU_DEP_3)
	v_cmp_lt_u32_e32 vcc_lo, 40, v109
	s_or_b32 s2, vcc_lo, s2
	s_waitcnt vmcnt(0) lgkmcnt(0)
	v_fma_f64 v[101:102], v[110:111], v[112:113], v[101:102]
	s_and_not1_b32 exec_lo, exec_lo, s2
	s_cbranch_execnz .LBB49_901
; %bb.902:
	s_or_b32 exec_lo, exec_lo, s2
.LBB49_903:
	s_delay_alu instid0(SALU_CYCLE_1)
	s_or_b32 exec_lo, exec_lo, s1
	v_mov_b32_e32 v107, 0
	ds_load_b64 v[107:108], v107 offset:336
	s_waitcnt lgkmcnt(0)
	v_mul_f64 v[101:102], v[101:102], v[107:108]
	scratch_store_b64 off, v[101:102], off offset:336
.LBB49_904:
	s_or_b32 exec_lo, exec_lo, s0
	scratch_load_b64 v[101:102], off, off offset:344
	s_mov_b32 s0, exec_lo
	s_waitcnt vmcnt(0)
	ds_store_b64 v104, v[101:102]
	s_waitcnt lgkmcnt(0)
	s_waitcnt_vscnt null, 0x0
	s_barrier
	buffer_gl0_inv
	v_cmpx_gt_u32_e32 43, v0
	s_cbranch_execz .LBB49_914
; %bb.905:
	v_cmp_ne_u32_e32 vcc_lo, 1, v106
	s_cbranch_vccnz .LBB49_907
; %bb.906:
	scratch_load_b64 v[101:102], v105, off
	ds_load_b64 v[107:108], v104
	s_waitcnt vmcnt(0) lgkmcnt(0)
	v_mul_f64 v[101:102], v[101:102], v[107:108]
	s_cbranch_execz .LBB49_908
	s_branch .LBB49_909
.LBB49_907:
                                        ; implicit-def: $vgpr101_vgpr102
.LBB49_908:
	ds_load_b64 v[101:102], v104
.LBB49_909:
	s_mov_b32 s1, exec_lo
	v_cmpx_ne_u32_e32 42, v0
	s_cbranch_execz .LBB49_913
; %bb.910:
	v_add_nc_u32_e32 v107, 0x198, v103
	v_add3_u32 v108, 0, v103, 8
	v_mov_b32_e32 v109, v0
	s_mov_b32 s2, 0
.LBB49_911:                             ; =>This Inner Loop Header: Depth=1
	scratch_load_b64 v[110:111], v108, off
	ds_load_b64 v[112:113], v107
	v_add_nc_u32_e32 v109, 1, v109
	v_add_nc_u32_e32 v107, 8, v107
	v_add_nc_u32_e32 v108, 8, v108
	s_delay_alu instid0(VALU_DEP_3)
	v_cmp_lt_u32_e32 vcc_lo, 41, v109
	s_or_b32 s2, vcc_lo, s2
	s_waitcnt vmcnt(0) lgkmcnt(0)
	v_fma_f64 v[101:102], v[110:111], v[112:113], v[101:102]
	s_and_not1_b32 exec_lo, exec_lo, s2
	s_cbranch_execnz .LBB49_911
; %bb.912:
	s_or_b32 exec_lo, exec_lo, s2
.LBB49_913:
	s_delay_alu instid0(SALU_CYCLE_1)
	s_or_b32 exec_lo, exec_lo, s1
	v_mov_b32_e32 v107, 0
	ds_load_b64 v[107:108], v107 offset:344
	s_waitcnt lgkmcnt(0)
	v_mul_f64 v[101:102], v[101:102], v[107:108]
	scratch_store_b64 off, v[101:102], off offset:344
.LBB49_914:
	s_or_b32 exec_lo, exec_lo, s0
	scratch_load_b64 v[101:102], off, off offset:352
	s_mov_b32 s0, exec_lo
	s_waitcnt vmcnt(0)
	ds_store_b64 v104, v[101:102]
	s_waitcnt lgkmcnt(0)
	s_waitcnt_vscnt null, 0x0
	s_barrier
	buffer_gl0_inv
	v_cmpx_gt_u32_e32 44, v0
	s_cbranch_execz .LBB49_924
; %bb.915:
	v_cmp_ne_u32_e32 vcc_lo, 1, v106
	s_cbranch_vccnz .LBB49_917
; %bb.916:
	scratch_load_b64 v[101:102], v105, off
	ds_load_b64 v[107:108], v104
	s_waitcnt vmcnt(0) lgkmcnt(0)
	v_mul_f64 v[101:102], v[101:102], v[107:108]
	s_cbranch_execz .LBB49_918
	s_branch .LBB49_919
.LBB49_917:
                                        ; implicit-def: $vgpr101_vgpr102
.LBB49_918:
	ds_load_b64 v[101:102], v104
.LBB49_919:
	s_mov_b32 s1, exec_lo
	v_cmpx_ne_u32_e32 43, v0
	s_cbranch_execz .LBB49_923
; %bb.920:
	v_add_nc_u32_e32 v107, 0x198, v103
	v_add3_u32 v108, 0, v103, 8
	v_mov_b32_e32 v109, v0
	s_mov_b32 s2, 0
.LBB49_921:                             ; =>This Inner Loop Header: Depth=1
	scratch_load_b64 v[110:111], v108, off
	ds_load_b64 v[112:113], v107
	v_add_nc_u32_e32 v109, 1, v109
	v_add_nc_u32_e32 v107, 8, v107
	v_add_nc_u32_e32 v108, 8, v108
	s_delay_alu instid0(VALU_DEP_3)
	v_cmp_lt_u32_e32 vcc_lo, 42, v109
	s_or_b32 s2, vcc_lo, s2
	s_waitcnt vmcnt(0) lgkmcnt(0)
	v_fma_f64 v[101:102], v[110:111], v[112:113], v[101:102]
	s_and_not1_b32 exec_lo, exec_lo, s2
	s_cbranch_execnz .LBB49_921
; %bb.922:
	s_or_b32 exec_lo, exec_lo, s2
.LBB49_923:
	s_delay_alu instid0(SALU_CYCLE_1)
	s_or_b32 exec_lo, exec_lo, s1
	v_mov_b32_e32 v107, 0
	ds_load_b64 v[107:108], v107 offset:352
	s_waitcnt lgkmcnt(0)
	v_mul_f64 v[101:102], v[101:102], v[107:108]
	scratch_store_b64 off, v[101:102], off offset:352
.LBB49_924:
	s_or_b32 exec_lo, exec_lo, s0
	scratch_load_b64 v[101:102], off, off offset:360
	s_mov_b32 s0, exec_lo
	s_waitcnt vmcnt(0)
	ds_store_b64 v104, v[101:102]
	s_waitcnt lgkmcnt(0)
	s_waitcnt_vscnt null, 0x0
	s_barrier
	buffer_gl0_inv
	v_cmpx_gt_u32_e32 45, v0
	s_cbranch_execz .LBB49_934
; %bb.925:
	v_cmp_ne_u32_e32 vcc_lo, 1, v106
	s_cbranch_vccnz .LBB49_927
; %bb.926:
	scratch_load_b64 v[101:102], v105, off
	ds_load_b64 v[107:108], v104
	s_waitcnt vmcnt(0) lgkmcnt(0)
	v_mul_f64 v[101:102], v[101:102], v[107:108]
	s_cbranch_execz .LBB49_928
	s_branch .LBB49_929
.LBB49_927:
                                        ; implicit-def: $vgpr101_vgpr102
.LBB49_928:
	ds_load_b64 v[101:102], v104
.LBB49_929:
	s_mov_b32 s1, exec_lo
	v_cmpx_ne_u32_e32 44, v0
	s_cbranch_execz .LBB49_933
; %bb.930:
	v_add_nc_u32_e32 v107, 0x198, v103
	v_add3_u32 v108, 0, v103, 8
	v_mov_b32_e32 v109, v0
	s_mov_b32 s2, 0
.LBB49_931:                             ; =>This Inner Loop Header: Depth=1
	scratch_load_b64 v[110:111], v108, off
	ds_load_b64 v[112:113], v107
	v_add_nc_u32_e32 v109, 1, v109
	v_add_nc_u32_e32 v107, 8, v107
	v_add_nc_u32_e32 v108, 8, v108
	s_delay_alu instid0(VALU_DEP_3)
	v_cmp_lt_u32_e32 vcc_lo, 43, v109
	s_or_b32 s2, vcc_lo, s2
	s_waitcnt vmcnt(0) lgkmcnt(0)
	v_fma_f64 v[101:102], v[110:111], v[112:113], v[101:102]
	s_and_not1_b32 exec_lo, exec_lo, s2
	s_cbranch_execnz .LBB49_931
; %bb.932:
	s_or_b32 exec_lo, exec_lo, s2
.LBB49_933:
	s_delay_alu instid0(SALU_CYCLE_1)
	s_or_b32 exec_lo, exec_lo, s1
	v_mov_b32_e32 v107, 0
	ds_load_b64 v[107:108], v107 offset:360
	s_waitcnt lgkmcnt(0)
	v_mul_f64 v[101:102], v[101:102], v[107:108]
	scratch_store_b64 off, v[101:102], off offset:360
.LBB49_934:
	s_or_b32 exec_lo, exec_lo, s0
	scratch_load_b64 v[101:102], off, off offset:368
	s_mov_b32 s0, exec_lo
	s_waitcnt vmcnt(0)
	ds_store_b64 v104, v[101:102]
	s_waitcnt lgkmcnt(0)
	s_waitcnt_vscnt null, 0x0
	s_barrier
	buffer_gl0_inv
	v_cmpx_gt_u32_e32 46, v0
	s_cbranch_execz .LBB49_944
; %bb.935:
	v_cmp_ne_u32_e32 vcc_lo, 1, v106
	s_cbranch_vccnz .LBB49_937
; %bb.936:
	scratch_load_b64 v[101:102], v105, off
	ds_load_b64 v[107:108], v104
	s_waitcnt vmcnt(0) lgkmcnt(0)
	v_mul_f64 v[101:102], v[101:102], v[107:108]
	s_cbranch_execz .LBB49_938
	s_branch .LBB49_939
.LBB49_937:
                                        ; implicit-def: $vgpr101_vgpr102
.LBB49_938:
	ds_load_b64 v[101:102], v104
.LBB49_939:
	s_mov_b32 s1, exec_lo
	v_cmpx_ne_u32_e32 45, v0
	s_cbranch_execz .LBB49_943
; %bb.940:
	v_add_nc_u32_e32 v107, 0x198, v103
	v_add3_u32 v108, 0, v103, 8
	v_mov_b32_e32 v109, v0
	s_mov_b32 s2, 0
.LBB49_941:                             ; =>This Inner Loop Header: Depth=1
	scratch_load_b64 v[110:111], v108, off
	ds_load_b64 v[112:113], v107
	v_add_nc_u32_e32 v109, 1, v109
	v_add_nc_u32_e32 v107, 8, v107
	v_add_nc_u32_e32 v108, 8, v108
	s_delay_alu instid0(VALU_DEP_3)
	v_cmp_lt_u32_e32 vcc_lo, 44, v109
	s_or_b32 s2, vcc_lo, s2
	s_waitcnt vmcnt(0) lgkmcnt(0)
	v_fma_f64 v[101:102], v[110:111], v[112:113], v[101:102]
	s_and_not1_b32 exec_lo, exec_lo, s2
	s_cbranch_execnz .LBB49_941
; %bb.942:
	s_or_b32 exec_lo, exec_lo, s2
.LBB49_943:
	s_delay_alu instid0(SALU_CYCLE_1)
	s_or_b32 exec_lo, exec_lo, s1
	v_mov_b32_e32 v107, 0
	ds_load_b64 v[107:108], v107 offset:368
	s_waitcnt lgkmcnt(0)
	v_mul_f64 v[101:102], v[101:102], v[107:108]
	scratch_store_b64 off, v[101:102], off offset:368
.LBB49_944:
	s_or_b32 exec_lo, exec_lo, s0
	scratch_load_b64 v[101:102], off, off offset:376
	s_mov_b32 s0, exec_lo
	s_waitcnt vmcnt(0)
	ds_store_b64 v104, v[101:102]
	s_waitcnt lgkmcnt(0)
	s_waitcnt_vscnt null, 0x0
	s_barrier
	buffer_gl0_inv
	v_cmpx_gt_u32_e32 47, v0
	s_cbranch_execz .LBB49_954
; %bb.945:
	v_cmp_ne_u32_e32 vcc_lo, 1, v106
	s_cbranch_vccnz .LBB49_947
; %bb.946:
	scratch_load_b64 v[101:102], v105, off
	ds_load_b64 v[107:108], v104
	s_waitcnt vmcnt(0) lgkmcnt(0)
	v_mul_f64 v[101:102], v[101:102], v[107:108]
	s_cbranch_execz .LBB49_948
	s_branch .LBB49_949
.LBB49_947:
                                        ; implicit-def: $vgpr101_vgpr102
.LBB49_948:
	ds_load_b64 v[101:102], v104
.LBB49_949:
	s_mov_b32 s1, exec_lo
	v_cmpx_ne_u32_e32 46, v0
	s_cbranch_execz .LBB49_953
; %bb.950:
	v_add_nc_u32_e32 v107, 0x198, v103
	v_add3_u32 v108, 0, v103, 8
	v_mov_b32_e32 v109, v0
	s_mov_b32 s2, 0
.LBB49_951:                             ; =>This Inner Loop Header: Depth=1
	scratch_load_b64 v[110:111], v108, off
	ds_load_b64 v[112:113], v107
	v_add_nc_u32_e32 v109, 1, v109
	v_add_nc_u32_e32 v107, 8, v107
	v_add_nc_u32_e32 v108, 8, v108
	s_delay_alu instid0(VALU_DEP_3)
	v_cmp_lt_u32_e32 vcc_lo, 45, v109
	s_or_b32 s2, vcc_lo, s2
	s_waitcnt vmcnt(0) lgkmcnt(0)
	v_fma_f64 v[101:102], v[110:111], v[112:113], v[101:102]
	s_and_not1_b32 exec_lo, exec_lo, s2
	s_cbranch_execnz .LBB49_951
; %bb.952:
	s_or_b32 exec_lo, exec_lo, s2
.LBB49_953:
	s_delay_alu instid0(SALU_CYCLE_1)
	s_or_b32 exec_lo, exec_lo, s1
	v_mov_b32_e32 v107, 0
	ds_load_b64 v[107:108], v107 offset:376
	s_waitcnt lgkmcnt(0)
	v_mul_f64 v[101:102], v[101:102], v[107:108]
	scratch_store_b64 off, v[101:102], off offset:376
.LBB49_954:
	s_or_b32 exec_lo, exec_lo, s0
	scratch_load_b64 v[101:102], off, off offset:384
	v_cmp_gt_u32_e64 s0, 48, v0
	s_waitcnt vmcnt(0)
	ds_store_b64 v104, v[101:102]
	s_waitcnt lgkmcnt(0)
	s_waitcnt_vscnt null, 0x0
	s_barrier
	buffer_gl0_inv
	s_and_saveexec_b32 s1, s0
	s_cbranch_execz .LBB49_964
; %bb.955:
	v_cmp_ne_u32_e32 vcc_lo, 1, v106
	s_cbranch_vccnz .LBB49_957
; %bb.956:
	scratch_load_b64 v[101:102], v105, off
	ds_load_b64 v[107:108], v104
	s_waitcnt vmcnt(0) lgkmcnt(0)
	v_mul_f64 v[101:102], v[101:102], v[107:108]
	s_cbranch_execz .LBB49_958
	s_branch .LBB49_959
.LBB49_957:
                                        ; implicit-def: $vgpr101_vgpr102
.LBB49_958:
	ds_load_b64 v[101:102], v104
.LBB49_959:
	s_mov_b32 s2, exec_lo
	v_cmpx_ne_u32_e32 47, v0
	s_cbranch_execz .LBB49_963
; %bb.960:
	v_add_nc_u32_e32 v107, 0x198, v103
	v_add3_u32 v108, 0, v103, 8
	v_mov_b32_e32 v109, v0
	s_mov_b32 s3, 0
.LBB49_961:                             ; =>This Inner Loop Header: Depth=1
	scratch_load_b64 v[110:111], v108, off
	ds_load_b64 v[112:113], v107
	v_add_nc_u32_e32 v109, 1, v109
	v_add_nc_u32_e32 v107, 8, v107
	;; [unrolled: 1-line block ×3, first 2 shown]
	s_delay_alu instid0(VALU_DEP_3)
	v_cmp_lt_u32_e32 vcc_lo, 46, v109
	s_or_b32 s3, vcc_lo, s3
	s_waitcnt vmcnt(0) lgkmcnt(0)
	v_fma_f64 v[101:102], v[110:111], v[112:113], v[101:102]
	s_and_not1_b32 exec_lo, exec_lo, s3
	s_cbranch_execnz .LBB49_961
; %bb.962:
	s_or_b32 exec_lo, exec_lo, s3
.LBB49_963:
	s_delay_alu instid0(SALU_CYCLE_1)
	s_or_b32 exec_lo, exec_lo, s2
	v_mov_b32_e32 v107, 0
	ds_load_b64 v[107:108], v107 offset:384
	s_waitcnt lgkmcnt(0)
	v_mul_f64 v[101:102], v[101:102], v[107:108]
	scratch_store_b64 off, v[101:102], off offset:384
.LBB49_964:
	s_or_b32 exec_lo, exec_lo, s1
	scratch_load_b64 v[101:102], off, off offset:392
	s_mov_b32 s1, exec_lo
	s_waitcnt vmcnt(0)
	ds_store_b64 v104, v[101:102]
	s_waitcnt lgkmcnt(0)
	s_waitcnt_vscnt null, 0x0
	s_barrier
	buffer_gl0_inv
	v_cmpx_ne_u32_e32 49, v0
	s_cbranch_execz .LBB49_974
; %bb.965:
	v_cmp_ne_u32_e32 vcc_lo, 1, v106
	s_cbranch_vccnz .LBB49_967
; %bb.966:
	scratch_load_b64 v[101:102], v105, off
	ds_load_b64 v[105:106], v104
	s_waitcnt vmcnt(0) lgkmcnt(0)
	v_mul_f64 v[101:102], v[101:102], v[105:106]
	s_cbranch_execz .LBB49_968
	s_branch .LBB49_969
.LBB49_967:
                                        ; implicit-def: $vgpr101_vgpr102
.LBB49_968:
	ds_load_b64 v[101:102], v104
.LBB49_969:
	s_and_saveexec_b32 s2, s0
	s_cbranch_execz .LBB49_973
; %bb.970:
	v_add_nc_u32_e32 v104, 0x198, v103
	v_add3_u32 v103, 0, v103, 8
	s_mov_b32 s0, 0
.LBB49_971:                             ; =>This Inner Loop Header: Depth=1
	scratch_load_b64 v[105:106], v103, off
	ds_load_b64 v[107:108], v104
	v_add_nc_u32_e32 v0, 1, v0
	v_add_nc_u32_e32 v104, 8, v104
	;; [unrolled: 1-line block ×3, first 2 shown]
	s_delay_alu instid0(VALU_DEP_3)
	v_cmp_lt_u32_e32 vcc_lo, 47, v0
	s_or_b32 s0, vcc_lo, s0
	s_waitcnt vmcnt(0) lgkmcnt(0)
	v_fma_f64 v[101:102], v[105:106], v[107:108], v[101:102]
	s_and_not1_b32 exec_lo, exec_lo, s0
	s_cbranch_execnz .LBB49_971
; %bb.972:
	s_or_b32 exec_lo, exec_lo, s0
.LBB49_973:
	s_delay_alu instid0(SALU_CYCLE_1)
	s_or_b32 exec_lo, exec_lo, s2
	v_mov_b32_e32 v0, 0
	ds_load_b64 v[103:104], v0 offset:392
	s_waitcnt lgkmcnt(0)
	v_mul_f64 v[101:102], v[101:102], v[103:104]
	scratch_store_b64 off, v[101:102], off offset:392
.LBB49_974:
	s_or_b32 exec_lo, exec_lo, s1
.LBB49_975:
	s_clause 0x9
	scratch_load_b128 v[101:104], off, off
	scratch_load_b128 v[105:108], off, off offset:16
	scratch_load_b128 v[109:112], off, off offset:32
	;; [unrolled: 1-line block ×9, first 2 shown]
	s_waitcnt vmcnt(9)
	s_clause 0x1
	global_store_b64 v[31:32], v[101:102], off
	global_store_b64 v[33:34], v[103:104], off
	s_clause 0x1
	scratch_load_b128 v[31:34], off, off offset:160
	scratch_load_b128 v[101:104], off, off offset:176
	s_waitcnt vmcnt(10)
	s_clause 0x1
	global_store_b64 v[23:24], v[105:106], off
	global_store_b64 v[29:30], v[107:108], off
	s_clause 0x1
	scratch_load_b128 v[105:108], off, off offset:192
	scratch_load_b128 v[141:144], off, off offset:208
	;; [unrolled: 7-line block ×7, first 2 shown]
	s_waitcnt vmcnt(16)
	s_clause 0x1
	global_store_b64 v[5:6], v[129:130], off
	global_store_b64 v[7:8], v[131:132], off
	scratch_load_b128 v[4:7], off, off offset:384
	s_waitcnt vmcnt(16)
	s_clause 0x1
	global_store_b64 v[35:36], v[133:134], off
	global_store_b64 v[37:38], v[135:136], off
	s_waitcnt vmcnt(15)
	s_clause 0x1
	global_store_b64 v[39:40], v[137:138], off
	global_store_b64 v[41:42], v[139:140], off
	;; [unrolled: 4-line block ×17, first 2 shown]
.LBB49_976:
	s_endpgm
	.section	.rodata,"a",@progbits
	.p2align	6, 0x0
	.amdhsa_kernel _ZN9rocsolver6v33100L18trti2_kernel_smallILi50EdPdEEv13rocblas_fill_17rocblas_diagonal_T1_iil
		.amdhsa_group_segment_fixed_size 800
		.amdhsa_private_segment_fixed_size 416
		.amdhsa_kernarg_size 32
		.amdhsa_user_sgpr_count 15
		.amdhsa_user_sgpr_dispatch_ptr 0
		.amdhsa_user_sgpr_queue_ptr 0
		.amdhsa_user_sgpr_kernarg_segment_ptr 1
		.amdhsa_user_sgpr_dispatch_id 0
		.amdhsa_user_sgpr_private_segment_size 0
		.amdhsa_wavefront_size32 1
		.amdhsa_uses_dynamic_stack 0
		.amdhsa_enable_private_segment 1
		.amdhsa_system_sgpr_workgroup_id_x 1
		.amdhsa_system_sgpr_workgroup_id_y 0
		.amdhsa_system_sgpr_workgroup_id_z 0
		.amdhsa_system_sgpr_workgroup_info 0
		.amdhsa_system_vgpr_workitem_id 0
		.amdhsa_next_free_vgpr 146
		.amdhsa_next_free_sgpr 22
		.amdhsa_reserve_vcc 1
		.amdhsa_float_round_mode_32 0
		.amdhsa_float_round_mode_16_64 0
		.amdhsa_float_denorm_mode_32 3
		.amdhsa_float_denorm_mode_16_64 3
		.amdhsa_dx10_clamp 1
		.amdhsa_ieee_mode 1
		.amdhsa_fp16_overflow 0
		.amdhsa_workgroup_processor_mode 1
		.amdhsa_memory_ordered 1
		.amdhsa_forward_progress 0
		.amdhsa_shared_vgpr_count 0
		.amdhsa_exception_fp_ieee_invalid_op 0
		.amdhsa_exception_fp_denorm_src 0
		.amdhsa_exception_fp_ieee_div_zero 0
		.amdhsa_exception_fp_ieee_overflow 0
		.amdhsa_exception_fp_ieee_underflow 0
		.amdhsa_exception_fp_ieee_inexact 0
		.amdhsa_exception_int_div_zero 0
	.end_amdhsa_kernel
	.section	.text._ZN9rocsolver6v33100L18trti2_kernel_smallILi50EdPdEEv13rocblas_fill_17rocblas_diagonal_T1_iil,"axG",@progbits,_ZN9rocsolver6v33100L18trti2_kernel_smallILi50EdPdEEv13rocblas_fill_17rocblas_diagonal_T1_iil,comdat
.Lfunc_end49:
	.size	_ZN9rocsolver6v33100L18trti2_kernel_smallILi50EdPdEEv13rocblas_fill_17rocblas_diagonal_T1_iil, .Lfunc_end49-_ZN9rocsolver6v33100L18trti2_kernel_smallILi50EdPdEEv13rocblas_fill_17rocblas_diagonal_T1_iil
                                        ; -- End function
	.section	.AMDGPU.csdata,"",@progbits
; Kernel info:
; codeLenInByte = 27392
; NumSgprs: 24
; NumVgprs: 146
; ScratchSize: 416
; MemoryBound: 0
; FloatMode: 240
; IeeeMode: 1
; LDSByteSize: 800 bytes/workgroup (compile time only)
; SGPRBlocks: 2
; VGPRBlocks: 18
; NumSGPRsForWavesPerEU: 24
; NumVGPRsForWavesPerEU: 146
; Occupancy: 9
; WaveLimiterHint : 0
; COMPUTE_PGM_RSRC2:SCRATCH_EN: 1
; COMPUTE_PGM_RSRC2:USER_SGPR: 15
; COMPUTE_PGM_RSRC2:TRAP_HANDLER: 0
; COMPUTE_PGM_RSRC2:TGID_X_EN: 1
; COMPUTE_PGM_RSRC2:TGID_Y_EN: 0
; COMPUTE_PGM_RSRC2:TGID_Z_EN: 0
; COMPUTE_PGM_RSRC2:TIDIG_COMP_CNT: 0
	.section	.text._ZN9rocsolver6v33100L18trti2_kernel_smallILi51EdPdEEv13rocblas_fill_17rocblas_diagonal_T1_iil,"axG",@progbits,_ZN9rocsolver6v33100L18trti2_kernel_smallILi51EdPdEEv13rocblas_fill_17rocblas_diagonal_T1_iil,comdat
	.globl	_ZN9rocsolver6v33100L18trti2_kernel_smallILi51EdPdEEv13rocblas_fill_17rocblas_diagonal_T1_iil ; -- Begin function _ZN9rocsolver6v33100L18trti2_kernel_smallILi51EdPdEEv13rocblas_fill_17rocblas_diagonal_T1_iil
	.p2align	8
	.type	_ZN9rocsolver6v33100L18trti2_kernel_smallILi51EdPdEEv13rocblas_fill_17rocblas_diagonal_T1_iil,@function
_ZN9rocsolver6v33100L18trti2_kernel_smallILi51EdPdEEv13rocblas_fill_17rocblas_diagonal_T1_iil: ; @_ZN9rocsolver6v33100L18trti2_kernel_smallILi51EdPdEEv13rocblas_fill_17rocblas_diagonal_T1_iil
; %bb.0:
	s_mov_b32 s2, exec_lo
	v_cmpx_gt_u32_e32 51, v0
	s_cbranch_execz .LBB50_996
; %bb.1:
	s_load_b256 s[0:7], s[0:1], 0x0
	s_ashr_i32 s8, s15, 31
	v_lshlrev_b32_e32 v105, 3, v0
	s_waitcnt lgkmcnt(0)
	s_mul_i32 s7, s15, s7
	s_mul_hi_u32 s9, s15, s6
	s_mul_i32 s8, s8, s6
	s_add_i32 s7, s9, s7
	s_mul_i32 s6, s15, s6
	s_add_i32 s7, s7, s8
	s_ashr_i32 s9, s4, 31
	s_lshl_b64 s[6:7], s[6:7], 3
	s_mov_b32 s8, s4
	s_add_u32 s4, s2, s6
	s_addc_u32 s7, s3, s7
	s_lshl_b64 s[2:3], s[8:9], 3
	s_mov_b32 s6, s5
	s_add_u32 s2, s4, s2
	s_addc_u32 s3, s7, s3
	v_add_co_u32 v15, s4, s2, v105
	s_ashr_i32 s7, s5, 31
	v_add_co_ci_u32_e64 v16, null, s3, 0, s4
	s_lshl_b64 s[6:7], s[6:7], 3
	v_add3_u32 v1, s5, s5, v0
	v_add_co_u32 v7, vcc_lo, v15, s6
	s_delay_alu instid0(VALU_DEP_3)
	v_add_co_ci_u32_e32 v8, vcc_lo, s7, v16, vcc_lo
	s_clause 0x1
	global_load_b64 v[47:48], v105, s[2:3]
	global_load_b64 v[49:50], v[7:8], off
	v_add_nc_u32_e32 v3, s5, v1
	v_ashrrev_i32_e32 v2, 31, v1
	s_cmpk_lg_i32 s1, 0x84
	s_delay_alu instid0(VALU_DEP_2) | instskip(SKIP_1) | instid1(VALU_DEP_3)
	v_add_nc_u32_e32 v5, s5, v3
	v_ashrrev_i32_e32 v4, 31, v3
	v_lshlrev_b64 v[1:2], 3, v[1:2]
	s_delay_alu instid0(VALU_DEP_3) | instskip(SKIP_1) | instid1(VALU_DEP_4)
	v_add_nc_u32_e32 v9, s5, v5
	v_ashrrev_i32_e32 v6, 31, v5
	v_lshlrev_b64 v[3:4], 3, v[3:4]
	s_delay_alu instid0(VALU_DEP_4) | instskip(NEXT) | instid1(VALU_DEP_4)
	v_add_co_u32 v41, vcc_lo, s2, v1
	v_add_nc_u32_e32 v11, s5, v9
	v_add_co_ci_u32_e32 v42, vcc_lo, s3, v2, vcc_lo
	v_lshlrev_b64 v[1:2], 3, v[5:6]
	v_ashrrev_i32_e32 v10, 31, v9
	s_delay_alu instid0(VALU_DEP_4) | instskip(SKIP_3) | instid1(VALU_DEP_4)
	v_add_nc_u32_e32 v13, s5, v11
	v_add_co_u32 v45, vcc_lo, s2, v3
	v_ashrrev_i32_e32 v12, 31, v11
	v_add_co_ci_u32_e32 v46, vcc_lo, s3, v4, vcc_lo
	v_add_nc_u32_e32 v17, s5, v13
	v_lshlrev_b64 v[3:4], 3, v[9:10]
	v_add_co_u32 v39, vcc_lo, s2, v1
	v_add_co_ci_u32_e32 v40, vcc_lo, s3, v2, vcc_lo
	s_delay_alu instid0(VALU_DEP_4) | instskip(SKIP_3) | instid1(VALU_DEP_4)
	v_add_nc_u32_e32 v19, s5, v17
	v_lshlrev_b64 v[1:2], 3, v[11:12]
	v_ashrrev_i32_e32 v14, 31, v13
	v_add_co_u32 v35, vcc_lo, s2, v3
	v_add_nc_u32_e32 v21, s5, v19
	v_ashrrev_i32_e32 v18, 31, v17
	v_add_co_ci_u32_e32 v36, vcc_lo, s3, v4, vcc_lo
	v_lshlrev_b64 v[3:4], 3, v[13:14]
	s_delay_alu instid0(VALU_DEP_4) | instskip(SKIP_2) | instid1(VALU_DEP_3)
	v_add_nc_u32_e32 v23, s5, v21
	v_add_co_u32 v29, vcc_lo, s2, v1
	v_add_co_ci_u32_e32 v30, vcc_lo, s3, v2, vcc_lo
	v_add_nc_u32_e32 v31, s5, v23
	v_lshlrev_b64 v[1:2], 3, v[17:18]
	v_ashrrev_i32_e32 v20, 31, v19
	v_add_co_u32 v33, vcc_lo, s2, v3
	s_delay_alu instid0(VALU_DEP_4) | instskip(SKIP_3) | instid1(VALU_DEP_4)
	v_add_nc_u32_e32 v37, s5, v31
	v_ashrrev_i32_e32 v22, 31, v21
	v_add_co_ci_u32_e32 v34, vcc_lo, s3, v4, vcc_lo
	v_lshlrev_b64 v[3:4], 3, v[19:20]
	v_add_nc_u32_e32 v43, s5, v37
	v_add_co_u32 v27, vcc_lo, s2, v1
	v_add_co_ci_u32_e32 v28, vcc_lo, s3, v2, vcc_lo
	s_delay_alu instid0(VALU_DEP_3) | instskip(SKIP_3) | instid1(VALU_DEP_4)
	v_add_nc_u32_e32 v73, s5, v43
	v_lshlrev_b64 v[1:2], 3, v[21:22]
	v_ashrrev_i32_e32 v24, 31, v23
	v_add_co_u32 v19, vcc_lo, s2, v3
	v_add_nc_u32_e32 v75, s5, v73
	v_ashrrev_i32_e32 v32, 31, v31
	s_clause 0x3
	global_load_b64 v[51:52], v[41:42], off
	global_load_b64 v[53:54], v[45:46], off
	;; [unrolled: 1-line block ×4, first 2 shown]
	v_add_co_ci_u32_e32 v20, vcc_lo, s3, v4, vcc_lo
	v_add_nc_u32_e32 v77, s5, v75
	v_lshlrev_b64 v[3:4], 3, v[23:24]
	v_add_co_u32 v25, vcc_lo, s2, v1
	v_add_co_ci_u32_e32 v26, vcc_lo, s3, v2, vcc_lo
	s_delay_alu instid0(VALU_DEP_4) | instskip(SKIP_3) | instid1(VALU_DEP_4)
	v_add_nc_u32_e32 v83, s5, v77
	v_lshlrev_b64 v[1:2], 3, v[31:32]
	v_ashrrev_i32_e32 v38, 31, v37
	v_add_co_u32 v23, vcc_lo, s2, v3
	v_add_nc_u32_e32 v85, s5, v83
	v_ashrrev_i32_e32 v44, 31, v43
	v_add_co_ci_u32_e32 v24, vcc_lo, s3, v4, vcc_lo
	v_lshlrev_b64 v[3:4], 3, v[37:38]
	s_delay_alu instid0(VALU_DEP_4)
	v_add_nc_u32_e32 v87, s5, v85
	s_clause 0x2
	global_load_b64 v[59:60], v[29:30], off
	global_load_b64 v[61:62], v[33:34], off
	;; [unrolled: 1-line block ×3, first 2 shown]
	v_add_co_u32 v17, vcc_lo, s2, v1
	global_load_b64 v[65:66], v[19:20], off
	v_add_nc_u32_e32 v89, s5, v87
	v_add_co_ci_u32_e32 v18, vcc_lo, s3, v2, vcc_lo
	v_lshlrev_b64 v[1:2], 3, v[43:44]
	v_ashrrev_i32_e32 v74, 31, v73
	s_delay_alu instid0(VALU_DEP_4) | instskip(SKIP_3) | instid1(VALU_DEP_4)
	v_add_nc_u32_e32 v91, s5, v89
	v_add_co_u32 v9, vcc_lo, s2, v3
	v_ashrrev_i32_e32 v76, 31, v75
	v_add_co_ci_u32_e32 v10, vcc_lo, s3, v4, vcc_lo
	v_add_nc_u32_e32 v93, s5, v91
	v_lshlrev_b64 v[3:4], 3, v[73:74]
	v_add_co_u32 v13, vcc_lo, s2, v1
	v_add_co_ci_u32_e32 v14, vcc_lo, s3, v2, vcc_lo
	s_delay_alu instid0(VALU_DEP_4) | instskip(SKIP_3) | instid1(VALU_DEP_4)
	v_add_nc_u32_e32 v95, s5, v93
	v_lshlrev_b64 v[1:2], 3, v[75:76]
	v_ashrrev_i32_e32 v78, 31, v77
	v_add_co_u32 v11, vcc_lo, s2, v3
	v_add_nc_u32_e32 v97, s5, v95
	s_clause 0x3
	global_load_b64 v[67:68], v[25:26], off
	global_load_b64 v[69:70], v[23:24], off
	;; [unrolled: 1-line block ×4, first 2 shown]
	v_add_co_ci_u32_e32 v12, vcc_lo, s3, v4, vcc_lo
	v_add_nc_u32_e32 v99, s5, v97
	v_lshlrev_b64 v[21:22], 3, v[77:78]
	v_add_co_u32 v3, vcc_lo, s2, v1
	v_add_co_ci_u32_e32 v4, vcc_lo, s3, v2, vcc_lo
	s_delay_alu instid0(VALU_DEP_4)
	v_add_nc_u32_e32 v101, s5, v99
	v_ashrrev_i32_e32 v84, 31, v83
	v_ashrrev_i32_e32 v86, 31, v85
	;; [unrolled: 1-line block ×4, first 2 shown]
	v_add_nc_u32_e32 v103, s5, v101
	v_ashrrev_i32_e32 v92, 31, v91
	v_lshlrev_b64 v[31:32], 3, v[85:86]
	v_lshlrev_b64 v[37:38], 3, v[87:88]
	;; [unrolled: 1-line block ×3, first 2 shown]
	v_add_nc_u32_e32 v106, s5, v103
	v_ashrrev_i32_e32 v94, 31, v93
	v_ashrrev_i32_e32 v96, 31, v95
	;; [unrolled: 1-line block ×4, first 2 shown]
	v_add_nc_u32_e32 v110, s5, v106
	v_ashrrev_i32_e32 v102, 31, v101
	v_ashrrev_i32_e32 v104, 31, v103
	s_delay_alu instid0(VALU_DEP_3) | instskip(SKIP_1) | instid1(VALU_DEP_2)
	v_add_nc_u32_e32 v112, s5, v110
	v_ashrrev_i32_e32 v111, 31, v110
	v_add_nc_u32_e32 v114, s5, v112
	v_ashrrev_i32_e32 v113, 31, v112
	s_delay_alu instid0(VALU_DEP_2) | instskip(SKIP_1) | instid1(VALU_DEP_2)
	v_add_nc_u32_e32 v116, s5, v114
	v_ashrrev_i32_e32 v115, 31, v114
	v_add_nc_u32_e32 v118, s5, v116
	v_ashrrev_i32_e32 v117, 31, v116
	s_delay_alu instid0(VALU_DEP_2) | instskip(SKIP_1) | instid1(VALU_DEP_2)
	;; [unrolled: 5-line block ×9, first 2 shown]
	v_add_nc_u32_e32 v148, s5, v146
	v_ashrrev_i32_e32 v147, 31, v146
	v_add_nc_u32_e32 v5, s5, v148
	v_ashrrev_i32_e32 v149, 31, v148
	s_delay_alu instid0(VALU_DEP_2) | instskip(NEXT) | instid1(VALU_DEP_1)
	v_ashrrev_i32_e32 v6, 31, v5
	v_lshlrev_b64 v[5:6], 3, v[5:6]
	s_delay_alu instid0(VALU_DEP_1) | instskip(NEXT) | instid1(VALU_DEP_2)
	v_add_co_u32 v1, vcc_lo, s2, v5
	v_add_co_ci_u32_e32 v2, vcc_lo, s3, v6, vcc_lo
	v_add_co_u32 v5, vcc_lo, s2, v21
	v_add_co_ci_u32_e32 v6, vcc_lo, s3, v22, vcc_lo
	global_load_b64 v[150:151], v[1:2], off
	v_lshlrev_b64 v[21:22], 3, v[83:84]
	s_delay_alu instid0(VALU_DEP_1) | instskip(NEXT) | instid1(VALU_DEP_2)
	v_add_co_u32 v21, vcc_lo, s2, v21
	v_add_co_ci_u32_e32 v22, vcc_lo, s3, v22, vcc_lo
	v_add_co_u32 v31, vcc_lo, s2, v31
	v_add_co_ci_u32_e32 v32, vcc_lo, s3, v32, vcc_lo
	;; [unrolled: 2-line block ×4, first 2 shown]
	s_waitcnt vmcnt(13)
	scratch_store_b128 off, v[47:50], off
	s_clause 0x3
	global_load_b64 v[75:76], v[13:14], off
	global_load_b64 v[77:78], v[11:12], off
	;; [unrolled: 1-line block ×4, first 2 shown]
	v_lshlrev_b64 v[47:48], 3, v[91:92]
	v_lshlrev_b64 v[49:50], 3, v[93:94]
	s_waitcnt vmcnt(15)
	scratch_store_b128 off, v[51:54], off offset:16
	s_waitcnt vmcnt(13)
	scratch_store_b128 off, v[55:58], off offset:32
	v_add_co_u32 v47, vcc_lo, s2, v47
	v_lshlrev_b64 v[51:52], 3, v[95:96]
	s_clause 0x2
	global_load_b64 v[83:84], v[21:22], off
	global_load_b64 v[85:86], v[31:32], off
	;; [unrolled: 1-line block ×3, first 2 shown]
	v_add_co_ci_u32_e32 v48, vcc_lo, s3, v48, vcc_lo
	global_load_b64 v[89:90], v[43:44], off
	v_add_co_u32 v49, vcc_lo, s2, v49
	v_lshlrev_b64 v[53:54], 3, v[97:98]
	v_add_co_ci_u32_e32 v50, vcc_lo, s3, v50, vcc_lo
	v_add_co_u32 v51, vcc_lo, s2, v51
	v_lshlrev_b64 v[55:56], 3, v[99:100]
	v_add_co_ci_u32_e32 v52, vcc_lo, s3, v52, vcc_lo
	v_add_co_u32 v53, vcc_lo, s2, v53
	v_lshlrev_b64 v[57:58], 3, v[101:102]
	s_waitcnt vmcnt(15)
	scratch_store_b128 off, v[59:62], off offset:48
	s_waitcnt vmcnt(13)
	scratch_store_b128 off, v[63:66], off offset:64
	v_lshlrev_b64 v[59:60], 3, v[103:104]
	v_mov_b32_e32 v103, 0
	v_ashrrev_i32_e32 v107, 31, v106
	v_add_co_ci_u32_e32 v54, vcc_lo, s3, v54, vcc_lo
	v_add_co_u32 v55, vcc_lo, s2, v55
	s_clause 0x3
	global_load_b64 v[91:92], v[47:48], off
	global_load_b64 v[93:94], v[49:50], off
	;; [unrolled: 1-line block ×4, first 2 shown]
	v_add_co_ci_u32_e32 v56, vcc_lo, s3, v56, vcc_lo
	v_add_co_u32 v57, vcc_lo, s2, v57
	v_lshlrev_b64 v[61:62], 3, v[106:107]
	v_add_co_ci_u32_e32 v58, vcc_lo, s3, v58, vcc_lo
	v_add_co_u32 v59, vcc_lo, s2, v59
	v_lshlrev_b64 v[63:64], 3, v[110:111]
	;; [unrolled: 3-line block ×3, first 2 shown]
	v_add_co_ci_u32_e32 v62, vcc_lo, s3, v62, vcc_lo
	s_waitcnt vmcnt(15)
	scratch_store_b128 off, v[67:70], off offset:80
	s_waitcnt vmcnt(13)
	scratch_store_b128 off, v[71:74], off offset:96
	v_add_co_u32 v63, vcc_lo, s2, v63
	v_lshlrev_b64 v[67:68], 3, v[114:115]
	s_clause 0x3
	global_load_b64 v[99:100], v[55:56], off
	global_load_b64 v[101:102], v[57:58], off
	;; [unrolled: 1-line block ×4, first 2 shown]
	v_add_co_ci_u32_e32 v64, vcc_lo, s3, v64, vcc_lo
	v_add_co_u32 v65, vcc_lo, s2, v65
	v_lshlrev_b64 v[69:70], 3, v[116:117]
	v_add_co_ci_u32_e32 v66, vcc_lo, s3, v66, vcc_lo
	v_add_co_u32 v67, vcc_lo, s2, v67
	v_add_co_ci_u32_e32 v68, vcc_lo, s3, v68, vcc_lo
	s_delay_alu instid0(VALU_DEP_4)
	v_add_co_u32 v69, vcc_lo, s2, v69
	v_add_co_ci_u32_e32 v70, vcc_lo, s3, v70, vcc_lo
	v_lshlrev_b64 v[71:72], 3, v[118:119]
	v_lshlrev_b64 v[73:74], 3, v[120:121]
	v_mov_b32_e32 v104, 0xbff00000
	s_waitcnt vmcnt(14)
	scratch_store_b128 off, v[75:78], off offset:112
	s_waitcnt vmcnt(12)
	scratch_store_b128 off, v[79:82], off offset:128
	s_clause 0x3
	global_load_b64 v[110:111], v[63:64], off
	global_load_b64 v[112:113], v[65:66], off
	;; [unrolled: 1-line block ×4, first 2 shown]
	v_add_co_u32 v71, vcc_lo, s2, v71
	v_lshlrev_b64 v[75:76], 3, v[122:123]
	v_add_co_ci_u32_e32 v72, vcc_lo, s3, v72, vcc_lo
	v_add_co_u32 v73, vcc_lo, s2, v73
	v_lshlrev_b64 v[77:78], 3, v[124:125]
	v_add_co_ci_u32_e32 v74, vcc_lo, s3, v74, vcc_lo
	;; [unrolled: 3-line block ×4, first 2 shown]
	s_waitcnt vmcnt(14)
	scratch_store_b128 off, v[83:86], off offset:144
	s_waitcnt vmcnt(12)
	scratch_store_b128 off, v[87:90], off offset:160
	v_add_co_u32 v79, vcc_lo, s2, v79
	v_lshlrev_b64 v[83:84], 3, v[130:131]
	v_add_co_ci_u32_e32 v80, vcc_lo, s3, v80, vcc_lo
	v_add_co_u32 v81, vcc_lo, s2, v81
	v_lshlrev_b64 v[85:86], 3, v[132:133]
	v_add_co_ci_u32_e32 v82, vcc_lo, s3, v82, vcc_lo
	;; [unrolled: 3-line block ×4, first 2 shown]
	s_clause 0x2
	global_load_b64 v[118:119], v[71:72], off
	global_load_b64 v[120:121], v[73:74], off
	;; [unrolled: 1-line block ×3, first 2 shown]
	s_waitcnt vmcnt(13)
	scratch_store_b128 off, v[91:94], off offset:176
	s_waitcnt vmcnt(11)
	scratch_store_b128 off, v[95:98], off offset:192
	v_add_co_u32 v87, vcc_lo, s2, v87
	v_lshlrev_b64 v[91:92], 3, v[138:139]
	v_add_co_ci_u32_e32 v88, vcc_lo, s3, v88, vcc_lo
	v_add_co_u32 v89, vcc_lo, s2, v89
	v_lshlrev_b64 v[93:94], 3, v[140:141]
	v_add_co_ci_u32_e32 v90, vcc_lo, s3, v90, vcc_lo
	;; [unrolled: 3-line block ×4, first 2 shown]
	s_clause 0x3
	global_load_b64 v[124:125], v[77:78], off
	global_load_b64 v[126:127], v[79:80], off
	global_load_b64 v[128:129], v[81:82], off
	global_load_b64 v[130:131], v[83:84], off
	s_waitcnt vmcnt(13)
	scratch_store_b128 off, v[99:102], off offset:208
	s_waitcnt vmcnt(11)
	scratch_store_b128 off, v[106:109], off offset:224
	v_add_co_u32 v95, vcc_lo, s2, v95
	v_lshlrev_b64 v[99:100], 3, v[146:147]
	v_add_co_ci_u32_e32 v96, vcc_lo, s3, v96, vcc_lo
	v_add_co_u32 v97, vcc_lo, s2, v97
	v_lshlrev_b64 v[101:102], 3, v[148:149]
	v_add_co_ci_u32_e32 v98, vcc_lo, s3, v98, vcc_lo
	v_add_co_u32 v99, vcc_lo, s2, v99
	v_add_co_ci_u32_e32 v100, vcc_lo, s3, v100, vcc_lo
	s_delay_alu instid0(VALU_DEP_4)
	v_add_co_u32 v101, vcc_lo, s2, v101
	s_clause 0x3
	global_load_b64 v[132:133], v[85:86], off
	global_load_b64 v[106:107], v[87:88], off
	;; [unrolled: 1-line block ×4, first 2 shown]
	v_add_co_ci_u32_e32 v102, vcc_lo, s3, v102, vcc_lo
	s_cselect_b32 s3, -1, 0
	s_cmpk_eq_i32 s1, 0x84
	s_waitcnt vmcnt(13)
	scratch_store_b128 off, v[110:113], off offset:240
	s_waitcnt vmcnt(11)
	scratch_store_b128 off, v[114:117], off offset:256
	s_clause 0x4
	global_load_b64 v[136:137], v[93:94], off
	global_load_b64 v[110:111], v[95:96], off
	;; [unrolled: 1-line block ×5, first 2 shown]
	s_waitcnt vmcnt(14)
	scratch_store_b128 off, v[118:121], off offset:272
	s_waitcnt vmcnt(12)
	scratch_store_b128 off, v[122:125], off offset:288
	;; [unrolled: 2-line block ×7, first 2 shown]
	s_waitcnt vmcnt(0)
	s_clause 0x1
	scratch_store_b128 off, v[114:117], off offset:384
	scratch_store_b64 off, v[150:151], off offset:400
	s_cbranch_scc1 .LBB50_3
; %bb.2:
	scratch_load_b64 v[103:104], v105, off
	s_waitcnt vmcnt(0)
	v_div_scale_f64 v[106:107], null, v[103:104], v[103:104], 1.0
	v_div_scale_f64 v[112:113], vcc_lo, 1.0, v[103:104], 1.0
	s_delay_alu instid0(VALU_DEP_2) | instskip(SKIP_2) | instid1(VALU_DEP_1)
	v_rcp_f64_e32 v[108:109], v[106:107]
	s_waitcnt_depctr 0xfff
	v_fma_f64 v[110:111], -v[106:107], v[108:109], 1.0
	v_fma_f64 v[108:109], v[108:109], v[110:111], v[108:109]
	s_delay_alu instid0(VALU_DEP_1) | instskip(NEXT) | instid1(VALU_DEP_1)
	v_fma_f64 v[110:111], -v[106:107], v[108:109], 1.0
	v_fma_f64 v[108:109], v[108:109], v[110:111], v[108:109]
	s_delay_alu instid0(VALU_DEP_1) | instskip(NEXT) | instid1(VALU_DEP_1)
	v_mul_f64 v[110:111], v[112:113], v[108:109]
	v_fma_f64 v[106:107], -v[106:107], v[110:111], v[112:113]
	s_delay_alu instid0(VALU_DEP_1) | instskip(NEXT) | instid1(VALU_DEP_1)
	v_div_fmas_f64 v[106:107], v[106:107], v[108:109], v[110:111]
	v_div_fixup_f64 v[103:104], v[106:107], v[103:104], 1.0
	scratch_store_b64 v105, v[103:104], off
	v_xor_b32_e32 v104, 0x80000000, v104
.LBB50_3:
	v_add_nc_u32_e32 v106, 0x1a0, v105
	v_add_nc_u32_e32 v107, 0, v105
	s_cmpk_eq_i32 s0, 0x79
	s_mov_b32 s0, -1
	ds_store_b64 v105, v[103:104]
	s_cbranch_scc1 .LBB50_499
; %bb.4:
	scratch_load_b64 v[103:104], off, off offset:392
	v_cmp_eq_u32_e64 s0, 50, v0
	s_movk_i32 s1, 0x50
	s_movk_i32 s2, 0x60
	;; [unrolled: 1-line block ×20, first 2 shown]
	s_waitcnt vmcnt(0)
	ds_store_b64 v106, v[103:104]
	s_waitcnt lgkmcnt(0)
	s_waitcnt_vscnt null, 0x0
	s_barrier
	buffer_gl0_inv
	s_and_saveexec_b32 s22, s0
	s_cbranch_execz .LBB50_10
; %bb.5:
	s_and_b32 vcc_lo, exec_lo, s3
	s_cbranch_vccz .LBB50_7
; %bb.6:
	scratch_load_b64 v[103:104], v107, off
	ds_load_b64 v[108:109], v106
	s_waitcnt vmcnt(0) lgkmcnt(0)
	v_mul_f64 v[103:104], v[103:104], v[108:109]
	s_cbranch_execz .LBB50_8
	s_branch .LBB50_9
.LBB50_7:
                                        ; implicit-def: $vgpr103_vgpr104
.LBB50_8:
	ds_load_b64 v[103:104], v106
.LBB50_9:
	v_mov_b32_e32 v108, 0
	ds_load_b64 v[108:109], v108 offset:392
	s_waitcnt lgkmcnt(0)
	v_mul_f64 v[103:104], v[103:104], v[108:109]
	scratch_store_b64 off, v[103:104], off offset:392
.LBB50_10:
	s_or_b32 exec_lo, exec_lo, s22
	scratch_load_b64 v[103:104], off, off offset:384
	v_add_nc_u32_e64 v108, 0, 16
	v_add_nc_u32_e64 v109, 0, 32
	;; [unrolled: 1-line block ×24, first 2 shown]
	v_cmp_lt_u32_e64 s2, 48, v0
	s_waitcnt vmcnt(0)
	ds_store_b64 v106, v[103:104]
	s_waitcnt lgkmcnt(0)
	s_waitcnt_vscnt null, 0x0
	s_barrier
	buffer_gl0_inv
	s_and_saveexec_b32 s1, s2
	s_cbranch_execz .LBB50_18
; %bb.11:
	s_and_not1_b32 vcc_lo, exec_lo, s3
	s_cbranch_vccnz .LBB50_13
; %bb.12:
	scratch_load_b64 v[103:104], v107, off
	ds_load_b64 v[132:133], v106
	s_waitcnt vmcnt(0) lgkmcnt(0)
	v_mul_f64 v[103:104], v[103:104], v[132:133]
	s_cbranch_execz .LBB50_14
	s_branch .LBB50_15
.LBB50_13:
                                        ; implicit-def: $vgpr103_vgpr104
.LBB50_14:
	ds_load_b64 v[103:104], v106
.LBB50_15:
	s_and_saveexec_b32 s4, s0
	s_cbranch_execz .LBB50_17
; %bb.16:
	scratch_load_b64 v[132:133], off, off offset:392
	v_mov_b32_e32 v134, 0
	ds_load_b64 v[134:135], v134 offset:808
	s_waitcnt vmcnt(0) lgkmcnt(0)
	v_fma_f64 v[103:104], v[132:133], v[134:135], v[103:104]
.LBB50_17:
	s_or_b32 exec_lo, exec_lo, s4
	v_mov_b32_e32 v132, 0
	ds_load_b64 v[132:133], v132 offset:384
	s_waitcnt lgkmcnt(0)
	v_mul_f64 v[103:104], v[103:104], v[132:133]
	scratch_store_b64 off, v[103:104], off offset:384
.LBB50_18:
	s_or_b32 exec_lo, exec_lo, s1
	scratch_load_b64 v[103:104], off, off offset:376
	v_cmp_lt_u32_e64 s1, 47, v0
	s_waitcnt vmcnt(0)
	ds_store_b64 v106, v[103:104]
	s_waitcnt lgkmcnt(0)
	s_waitcnt_vscnt null, 0x0
	s_barrier
	buffer_gl0_inv
	s_and_saveexec_b32 s0, s1
	s_cbranch_execz .LBB50_28
; %bb.19:
	s_and_not1_b32 vcc_lo, exec_lo, s3
	s_cbranch_vccnz .LBB50_21
; %bb.20:
	scratch_load_b64 v[103:104], v107, off
	ds_load_b64 v[132:133], v106
	s_waitcnt vmcnt(0) lgkmcnt(0)
	v_mul_f64 v[103:104], v[103:104], v[132:133]
	s_cbranch_execz .LBB50_22
	s_branch .LBB50_23
.LBB50_21:
                                        ; implicit-def: $vgpr103_vgpr104
.LBB50_22:
	ds_load_b64 v[103:104], v106
.LBB50_23:
	s_and_saveexec_b32 s4, s2
	s_cbranch_execz .LBB50_27
; %bb.24:
	v_subrev_nc_u32_e32 v132, 48, v0
	s_movk_i32 s5, 0x320
	s_mov_b32 s2, 0
.LBB50_25:                              ; =>This Inner Loop Header: Depth=1
	scratch_load_b64 v[133:134], v131, off
	v_dual_mov_b32 v135, s5 :: v_dual_add_nc_u32 v132, -1, v132
	v_add_nc_u32_e32 v131, 8, v131
	s_add_i32 s5, s5, 8
	ds_load_b64 v[135:136], v135
	v_cmp_eq_u32_e32 vcc_lo, 0, v132
	s_or_b32 s2, vcc_lo, s2
	s_waitcnt vmcnt(0) lgkmcnt(0)
	v_fma_f64 v[103:104], v[133:134], v[135:136], v[103:104]
	s_and_not1_b32 exec_lo, exec_lo, s2
	s_cbranch_execnz .LBB50_25
; %bb.26:
	s_or_b32 exec_lo, exec_lo, s2
.LBB50_27:
	s_delay_alu instid0(SALU_CYCLE_1)
	s_or_b32 exec_lo, exec_lo, s4
	v_mov_b32_e32 v131, 0
	ds_load_b64 v[131:132], v131 offset:376
	s_waitcnt lgkmcnt(0)
	v_mul_f64 v[103:104], v[103:104], v[131:132]
	scratch_store_b64 off, v[103:104], off offset:376
.LBB50_28:
	s_or_b32 exec_lo, exec_lo, s0
	scratch_load_b64 v[103:104], off, off offset:368
	v_cmp_lt_u32_e64 s0, 46, v0
	s_waitcnt vmcnt(0)
	ds_store_b64 v106, v[103:104]
	s_waitcnt lgkmcnt(0)
	s_waitcnt_vscnt null, 0x0
	s_barrier
	buffer_gl0_inv
	s_and_saveexec_b32 s2, s0
	s_cbranch_execz .LBB50_38
; %bb.29:
	s_and_not1_b32 vcc_lo, exec_lo, s3
	s_cbranch_vccnz .LBB50_31
; %bb.30:
	scratch_load_b64 v[103:104], v107, off
	ds_load_b64 v[131:132], v106
	s_waitcnt vmcnt(0) lgkmcnt(0)
	v_mul_f64 v[103:104], v[103:104], v[131:132]
	s_cbranch_execz .LBB50_32
	s_branch .LBB50_33
.LBB50_31:
                                        ; implicit-def: $vgpr103_vgpr104
.LBB50_32:
	ds_load_b64 v[103:104], v106
.LBB50_33:
	s_and_saveexec_b32 s4, s1
	s_cbranch_execz .LBB50_37
; %bb.34:
	v_mov_b32_e32 v131, 0
	v_subrev_nc_u32_e32 v132, 47, v0
	s_movk_i32 s5, 0x318
	s_mov_b32 s1, 0
	s_delay_alu instid0(VALU_DEP_2)
	v_add_nc_u32_e32 v131, 0x178, v131
.LBB50_35:                              ; =>This Inner Loop Header: Depth=1
	scratch_load_b64 v[133:134], v131, off
	v_dual_mov_b32 v135, s5 :: v_dual_add_nc_u32 v132, -1, v132
	v_add_nc_u32_e32 v131, 8, v131
	s_add_i32 s5, s5, 8
	ds_load_b64 v[135:136], v135
	v_cmp_eq_u32_e32 vcc_lo, 0, v132
	s_or_b32 s1, vcc_lo, s1
	s_waitcnt vmcnt(0) lgkmcnt(0)
	v_fma_f64 v[103:104], v[133:134], v[135:136], v[103:104]
	s_and_not1_b32 exec_lo, exec_lo, s1
	s_cbranch_execnz .LBB50_35
; %bb.36:
	s_or_b32 exec_lo, exec_lo, s1
.LBB50_37:
	s_delay_alu instid0(SALU_CYCLE_1)
	s_or_b32 exec_lo, exec_lo, s4
	v_mov_b32_e32 v131, 0
	ds_load_b64 v[131:132], v131 offset:368
	s_waitcnt lgkmcnt(0)
	v_mul_f64 v[103:104], v[103:104], v[131:132]
	scratch_store_b64 off, v[103:104], off offset:368
.LBB50_38:
	s_or_b32 exec_lo, exec_lo, s2
	scratch_load_b64 v[103:104], off, off offset:360
	v_cmp_lt_u32_e64 s1, 45, v0
	s_waitcnt vmcnt(0)
	ds_store_b64 v106, v[103:104]
	s_waitcnt lgkmcnt(0)
	s_waitcnt_vscnt null, 0x0
	s_barrier
	buffer_gl0_inv
	s_and_saveexec_b32 s2, s1
	s_cbranch_execz .LBB50_48
; %bb.39:
	s_and_not1_b32 vcc_lo, exec_lo, s3
	s_cbranch_vccnz .LBB50_41
; %bb.40:
	scratch_load_b64 v[103:104], v107, off
	ds_load_b64 v[131:132], v106
	s_waitcnt vmcnt(0) lgkmcnt(0)
	v_mul_f64 v[103:104], v[103:104], v[131:132]
	s_cbranch_execz .LBB50_42
	s_branch .LBB50_43
.LBB50_41:
                                        ; implicit-def: $vgpr103_vgpr104
.LBB50_42:
	ds_load_b64 v[103:104], v106
.LBB50_43:
	s_and_saveexec_b32 s4, s0
	s_cbranch_execz .LBB50_47
; %bb.44:
	v_subrev_nc_u32_e32 v131, 46, v0
	s_movk_i32 s5, 0x310
	s_mov_b32 s0, 0
.LBB50_45:                              ; =>This Inner Loop Header: Depth=1
	scratch_load_b64 v[132:133], v130, off
	v_dual_mov_b32 v134, s5 :: v_dual_add_nc_u32 v131, -1, v131
	v_add_nc_u32_e32 v130, 8, v130
	s_add_i32 s5, s5, 8
	ds_load_b64 v[134:135], v134
	v_cmp_eq_u32_e32 vcc_lo, 0, v131
	s_or_b32 s0, vcc_lo, s0
	s_waitcnt vmcnt(0) lgkmcnt(0)
	v_fma_f64 v[103:104], v[132:133], v[134:135], v[103:104]
	s_and_not1_b32 exec_lo, exec_lo, s0
	s_cbranch_execnz .LBB50_45
; %bb.46:
	s_or_b32 exec_lo, exec_lo, s0
.LBB50_47:
	s_delay_alu instid0(SALU_CYCLE_1)
	s_or_b32 exec_lo, exec_lo, s4
	v_mov_b32_e32 v130, 0
	ds_load_b64 v[130:131], v130 offset:360
	s_waitcnt lgkmcnt(0)
	v_mul_f64 v[103:104], v[103:104], v[130:131]
	scratch_store_b64 off, v[103:104], off offset:360
.LBB50_48:
	s_or_b32 exec_lo, exec_lo, s2
	scratch_load_b64 v[103:104], off, off offset:352
	v_cmp_lt_u32_e64 s0, 44, v0
	s_waitcnt vmcnt(0)
	ds_store_b64 v106, v[103:104]
	s_waitcnt lgkmcnt(0)
	s_waitcnt_vscnt null, 0x0
	s_barrier
	buffer_gl0_inv
	s_and_saveexec_b32 s2, s0
	s_cbranch_execz .LBB50_58
; %bb.49:
	s_and_not1_b32 vcc_lo, exec_lo, s3
	s_cbranch_vccnz .LBB50_51
; %bb.50:
	scratch_load_b64 v[103:104], v107, off
	ds_load_b64 v[130:131], v106
	s_waitcnt vmcnt(0) lgkmcnt(0)
	v_mul_f64 v[103:104], v[103:104], v[130:131]
	s_cbranch_execz .LBB50_52
	s_branch .LBB50_53
.LBB50_51:
                                        ; implicit-def: $vgpr103_vgpr104
.LBB50_52:
	ds_load_b64 v[103:104], v106
.LBB50_53:
	s_and_saveexec_b32 s4, s1
	s_cbranch_execz .LBB50_57
; %bb.54:
	v_mov_b32_e32 v130, 0
	v_subrev_nc_u32_e32 v131, 45, v0
	s_movk_i32 s5, 0x308
	s_mov_b32 s1, 0
	s_delay_alu instid0(VALU_DEP_2)
	v_add_nc_u32_e32 v130, 0x168, v130
.LBB50_55:                              ; =>This Inner Loop Header: Depth=1
	scratch_load_b64 v[132:133], v130, off
	v_dual_mov_b32 v134, s5 :: v_dual_add_nc_u32 v131, -1, v131
	v_add_nc_u32_e32 v130, 8, v130
	s_add_i32 s5, s5, 8
	ds_load_b64 v[134:135], v134
	v_cmp_eq_u32_e32 vcc_lo, 0, v131
	s_or_b32 s1, vcc_lo, s1
	s_waitcnt vmcnt(0) lgkmcnt(0)
	v_fma_f64 v[103:104], v[132:133], v[134:135], v[103:104]
	s_and_not1_b32 exec_lo, exec_lo, s1
	s_cbranch_execnz .LBB50_55
; %bb.56:
	s_or_b32 exec_lo, exec_lo, s1
.LBB50_57:
	s_delay_alu instid0(SALU_CYCLE_1)
	s_or_b32 exec_lo, exec_lo, s4
	v_mov_b32_e32 v130, 0
	ds_load_b64 v[130:131], v130 offset:352
	s_waitcnt lgkmcnt(0)
	v_mul_f64 v[103:104], v[103:104], v[130:131]
	scratch_store_b64 off, v[103:104], off offset:352
.LBB50_58:
	s_or_b32 exec_lo, exec_lo, s2
	scratch_load_b64 v[103:104], off, off offset:344
	v_cmp_lt_u32_e64 s1, 43, v0
	s_waitcnt vmcnt(0)
	ds_store_b64 v106, v[103:104]
	s_waitcnt lgkmcnt(0)
	s_waitcnt_vscnt null, 0x0
	s_barrier
	buffer_gl0_inv
	s_and_saveexec_b32 s2, s1
	s_cbranch_execz .LBB50_68
; %bb.59:
	s_and_not1_b32 vcc_lo, exec_lo, s3
	s_cbranch_vccnz .LBB50_61
; %bb.60:
	scratch_load_b64 v[103:104], v107, off
	ds_load_b64 v[130:131], v106
	s_waitcnt vmcnt(0) lgkmcnt(0)
	v_mul_f64 v[103:104], v[103:104], v[130:131]
	s_cbranch_execz .LBB50_62
	s_branch .LBB50_63
.LBB50_61:
                                        ; implicit-def: $vgpr103_vgpr104
.LBB50_62:
	ds_load_b64 v[103:104], v106
.LBB50_63:
	s_and_saveexec_b32 s4, s0
	s_cbranch_execz .LBB50_67
; %bb.64:
	v_subrev_nc_u32_e32 v130, 44, v0
	s_movk_i32 s5, 0x300
	s_mov_b32 s0, 0
.LBB50_65:                              ; =>This Inner Loop Header: Depth=1
	scratch_load_b64 v[131:132], v129, off
	v_dual_mov_b32 v133, s5 :: v_dual_add_nc_u32 v130, -1, v130
	v_add_nc_u32_e32 v129, 8, v129
	s_add_i32 s5, s5, 8
	ds_load_b64 v[133:134], v133
	v_cmp_eq_u32_e32 vcc_lo, 0, v130
	s_or_b32 s0, vcc_lo, s0
	s_waitcnt vmcnt(0) lgkmcnt(0)
	v_fma_f64 v[103:104], v[131:132], v[133:134], v[103:104]
	s_and_not1_b32 exec_lo, exec_lo, s0
	s_cbranch_execnz .LBB50_65
; %bb.66:
	s_or_b32 exec_lo, exec_lo, s0
.LBB50_67:
	s_delay_alu instid0(SALU_CYCLE_1)
	s_or_b32 exec_lo, exec_lo, s4
	v_mov_b32_e32 v129, 0
	ds_load_b64 v[129:130], v129 offset:344
	s_waitcnt lgkmcnt(0)
	v_mul_f64 v[103:104], v[103:104], v[129:130]
	scratch_store_b64 off, v[103:104], off offset:344
.LBB50_68:
	s_or_b32 exec_lo, exec_lo, s2
	scratch_load_b64 v[103:104], off, off offset:336
	v_cmp_lt_u32_e64 s0, 42, v0
	s_waitcnt vmcnt(0)
	ds_store_b64 v106, v[103:104]
	s_waitcnt lgkmcnt(0)
	s_waitcnt_vscnt null, 0x0
	s_barrier
	buffer_gl0_inv
	s_and_saveexec_b32 s2, s0
	s_cbranch_execz .LBB50_78
; %bb.69:
	s_and_not1_b32 vcc_lo, exec_lo, s3
	s_cbranch_vccnz .LBB50_71
; %bb.70:
	scratch_load_b64 v[103:104], v107, off
	ds_load_b64 v[129:130], v106
	s_waitcnt vmcnt(0) lgkmcnt(0)
	v_mul_f64 v[103:104], v[103:104], v[129:130]
	s_cbranch_execz .LBB50_72
	s_branch .LBB50_73
.LBB50_71:
                                        ; implicit-def: $vgpr103_vgpr104
.LBB50_72:
	ds_load_b64 v[103:104], v106
.LBB50_73:
	s_and_saveexec_b32 s4, s1
	s_cbranch_execz .LBB50_77
; %bb.74:
	v_mov_b32_e32 v129, 0
	v_subrev_nc_u32_e32 v130, 43, v0
	s_movk_i32 s5, 0x2f8
	s_mov_b32 s1, 0
	s_delay_alu instid0(VALU_DEP_2)
	v_add_nc_u32_e32 v129, 0x158, v129
.LBB50_75:                              ; =>This Inner Loop Header: Depth=1
	scratch_load_b64 v[131:132], v129, off
	v_dual_mov_b32 v133, s5 :: v_dual_add_nc_u32 v130, -1, v130
	v_add_nc_u32_e32 v129, 8, v129
	s_add_i32 s5, s5, 8
	ds_load_b64 v[133:134], v133
	v_cmp_eq_u32_e32 vcc_lo, 0, v130
	s_or_b32 s1, vcc_lo, s1
	s_waitcnt vmcnt(0) lgkmcnt(0)
	v_fma_f64 v[103:104], v[131:132], v[133:134], v[103:104]
	s_and_not1_b32 exec_lo, exec_lo, s1
	s_cbranch_execnz .LBB50_75
; %bb.76:
	s_or_b32 exec_lo, exec_lo, s1
.LBB50_77:
	s_delay_alu instid0(SALU_CYCLE_1)
	s_or_b32 exec_lo, exec_lo, s4
	v_mov_b32_e32 v129, 0
	ds_load_b64 v[129:130], v129 offset:336
	s_waitcnt lgkmcnt(0)
	v_mul_f64 v[103:104], v[103:104], v[129:130]
	scratch_store_b64 off, v[103:104], off offset:336
.LBB50_78:
	s_or_b32 exec_lo, exec_lo, s2
	scratch_load_b64 v[103:104], off, off offset:328
	v_cmp_lt_u32_e64 s1, 41, v0
	s_waitcnt vmcnt(0)
	ds_store_b64 v106, v[103:104]
	s_waitcnt lgkmcnt(0)
	s_waitcnt_vscnt null, 0x0
	s_barrier
	buffer_gl0_inv
	s_and_saveexec_b32 s2, s1
	s_cbranch_execz .LBB50_88
; %bb.79:
	s_and_not1_b32 vcc_lo, exec_lo, s3
	s_cbranch_vccnz .LBB50_81
; %bb.80:
	scratch_load_b64 v[103:104], v107, off
	ds_load_b64 v[129:130], v106
	s_waitcnt vmcnt(0) lgkmcnt(0)
	v_mul_f64 v[103:104], v[103:104], v[129:130]
	s_cbranch_execz .LBB50_82
	s_branch .LBB50_83
.LBB50_81:
                                        ; implicit-def: $vgpr103_vgpr104
.LBB50_82:
	ds_load_b64 v[103:104], v106
.LBB50_83:
	s_and_saveexec_b32 s4, s0
	s_cbranch_execz .LBB50_87
; %bb.84:
	v_subrev_nc_u32_e32 v129, 42, v0
	s_movk_i32 s5, 0x2f0
	s_mov_b32 s0, 0
.LBB50_85:                              ; =>This Inner Loop Header: Depth=1
	scratch_load_b64 v[130:131], v128, off
	v_dual_mov_b32 v132, s5 :: v_dual_add_nc_u32 v129, -1, v129
	v_add_nc_u32_e32 v128, 8, v128
	s_add_i32 s5, s5, 8
	ds_load_b64 v[132:133], v132
	v_cmp_eq_u32_e32 vcc_lo, 0, v129
	s_or_b32 s0, vcc_lo, s0
	s_waitcnt vmcnt(0) lgkmcnt(0)
	v_fma_f64 v[103:104], v[130:131], v[132:133], v[103:104]
	s_and_not1_b32 exec_lo, exec_lo, s0
	s_cbranch_execnz .LBB50_85
; %bb.86:
	s_or_b32 exec_lo, exec_lo, s0
.LBB50_87:
	s_delay_alu instid0(SALU_CYCLE_1)
	s_or_b32 exec_lo, exec_lo, s4
	v_mov_b32_e32 v128, 0
	ds_load_b64 v[128:129], v128 offset:328
	s_waitcnt lgkmcnt(0)
	v_mul_f64 v[103:104], v[103:104], v[128:129]
	scratch_store_b64 off, v[103:104], off offset:328
.LBB50_88:
	s_or_b32 exec_lo, exec_lo, s2
	scratch_load_b64 v[103:104], off, off offset:320
	v_cmp_lt_u32_e64 s0, 40, v0
	s_waitcnt vmcnt(0)
	ds_store_b64 v106, v[103:104]
	s_waitcnt lgkmcnt(0)
	s_waitcnt_vscnt null, 0x0
	s_barrier
	buffer_gl0_inv
	s_and_saveexec_b32 s2, s0
	s_cbranch_execz .LBB50_98
; %bb.89:
	s_and_not1_b32 vcc_lo, exec_lo, s3
	s_cbranch_vccnz .LBB50_91
; %bb.90:
	scratch_load_b64 v[103:104], v107, off
	ds_load_b64 v[128:129], v106
	s_waitcnt vmcnt(0) lgkmcnt(0)
	v_mul_f64 v[103:104], v[103:104], v[128:129]
	s_cbranch_execz .LBB50_92
	s_branch .LBB50_93
.LBB50_91:
                                        ; implicit-def: $vgpr103_vgpr104
.LBB50_92:
	ds_load_b64 v[103:104], v106
.LBB50_93:
	s_and_saveexec_b32 s4, s1
	s_cbranch_execz .LBB50_97
; %bb.94:
	v_mov_b32_e32 v128, 0
	v_subrev_nc_u32_e32 v129, 41, v0
	s_movk_i32 s5, 0x2e8
	s_mov_b32 s1, 0
	s_delay_alu instid0(VALU_DEP_2)
	v_add_nc_u32_e32 v128, 0x148, v128
.LBB50_95:                              ; =>This Inner Loop Header: Depth=1
	scratch_load_b64 v[130:131], v128, off
	v_dual_mov_b32 v132, s5 :: v_dual_add_nc_u32 v129, -1, v129
	v_add_nc_u32_e32 v128, 8, v128
	s_add_i32 s5, s5, 8
	ds_load_b64 v[132:133], v132
	v_cmp_eq_u32_e32 vcc_lo, 0, v129
	s_or_b32 s1, vcc_lo, s1
	s_waitcnt vmcnt(0) lgkmcnt(0)
	v_fma_f64 v[103:104], v[130:131], v[132:133], v[103:104]
	s_and_not1_b32 exec_lo, exec_lo, s1
	s_cbranch_execnz .LBB50_95
; %bb.96:
	s_or_b32 exec_lo, exec_lo, s1
.LBB50_97:
	s_delay_alu instid0(SALU_CYCLE_1)
	s_or_b32 exec_lo, exec_lo, s4
	v_mov_b32_e32 v128, 0
	ds_load_b64 v[128:129], v128 offset:320
	s_waitcnt lgkmcnt(0)
	v_mul_f64 v[103:104], v[103:104], v[128:129]
	scratch_store_b64 off, v[103:104], off offset:320
.LBB50_98:
	s_or_b32 exec_lo, exec_lo, s2
	scratch_load_b64 v[103:104], off, off offset:312
	v_cmp_lt_u32_e64 s1, 39, v0
	s_waitcnt vmcnt(0)
	ds_store_b64 v106, v[103:104]
	s_waitcnt lgkmcnt(0)
	s_waitcnt_vscnt null, 0x0
	s_barrier
	buffer_gl0_inv
	s_and_saveexec_b32 s2, s1
	s_cbranch_execz .LBB50_108
; %bb.99:
	s_and_not1_b32 vcc_lo, exec_lo, s3
	s_cbranch_vccnz .LBB50_101
; %bb.100:
	scratch_load_b64 v[103:104], v107, off
	ds_load_b64 v[128:129], v106
	s_waitcnt vmcnt(0) lgkmcnt(0)
	v_mul_f64 v[103:104], v[103:104], v[128:129]
	s_cbranch_execz .LBB50_102
	s_branch .LBB50_103
.LBB50_101:
                                        ; implicit-def: $vgpr103_vgpr104
.LBB50_102:
	ds_load_b64 v[103:104], v106
.LBB50_103:
	s_and_saveexec_b32 s4, s0
	s_cbranch_execz .LBB50_107
; %bb.104:
	v_subrev_nc_u32_e32 v128, 40, v0
	s_movk_i32 s5, 0x2e0
	s_mov_b32 s0, 0
.LBB50_105:                             ; =>This Inner Loop Header: Depth=1
	scratch_load_b64 v[129:130], v127, off
	v_dual_mov_b32 v131, s5 :: v_dual_add_nc_u32 v128, -1, v128
	v_add_nc_u32_e32 v127, 8, v127
	s_add_i32 s5, s5, 8
	ds_load_b64 v[131:132], v131
	v_cmp_eq_u32_e32 vcc_lo, 0, v128
	s_or_b32 s0, vcc_lo, s0
	s_waitcnt vmcnt(0) lgkmcnt(0)
	v_fma_f64 v[103:104], v[129:130], v[131:132], v[103:104]
	s_and_not1_b32 exec_lo, exec_lo, s0
	s_cbranch_execnz .LBB50_105
; %bb.106:
	s_or_b32 exec_lo, exec_lo, s0
.LBB50_107:
	s_delay_alu instid0(SALU_CYCLE_1)
	s_or_b32 exec_lo, exec_lo, s4
	v_mov_b32_e32 v127, 0
	ds_load_b64 v[127:128], v127 offset:312
	s_waitcnt lgkmcnt(0)
	v_mul_f64 v[103:104], v[103:104], v[127:128]
	scratch_store_b64 off, v[103:104], off offset:312
.LBB50_108:
	s_or_b32 exec_lo, exec_lo, s2
	scratch_load_b64 v[103:104], off, off offset:304
	v_cmp_lt_u32_e64 s0, 38, v0
	s_waitcnt vmcnt(0)
	ds_store_b64 v106, v[103:104]
	s_waitcnt lgkmcnt(0)
	s_waitcnt_vscnt null, 0x0
	s_barrier
	buffer_gl0_inv
	s_and_saveexec_b32 s2, s0
	s_cbranch_execz .LBB50_118
; %bb.109:
	s_and_not1_b32 vcc_lo, exec_lo, s3
	s_cbranch_vccnz .LBB50_111
; %bb.110:
	scratch_load_b64 v[103:104], v107, off
	ds_load_b64 v[127:128], v106
	s_waitcnt vmcnt(0) lgkmcnt(0)
	v_mul_f64 v[103:104], v[103:104], v[127:128]
	s_cbranch_execz .LBB50_112
	s_branch .LBB50_113
.LBB50_111:
                                        ; implicit-def: $vgpr103_vgpr104
.LBB50_112:
	ds_load_b64 v[103:104], v106
.LBB50_113:
	s_and_saveexec_b32 s4, s1
	s_cbranch_execz .LBB50_117
; %bb.114:
	v_mov_b32_e32 v127, 0
	v_subrev_nc_u32_e32 v128, 39, v0
	s_movk_i32 s5, 0x2d8
	s_mov_b32 s1, 0
	s_delay_alu instid0(VALU_DEP_2)
	v_add_nc_u32_e32 v127, 0x138, v127
.LBB50_115:                             ; =>This Inner Loop Header: Depth=1
	scratch_load_b64 v[129:130], v127, off
	v_dual_mov_b32 v131, s5 :: v_dual_add_nc_u32 v128, -1, v128
	v_add_nc_u32_e32 v127, 8, v127
	s_add_i32 s5, s5, 8
	ds_load_b64 v[131:132], v131
	v_cmp_eq_u32_e32 vcc_lo, 0, v128
	s_or_b32 s1, vcc_lo, s1
	s_waitcnt vmcnt(0) lgkmcnt(0)
	v_fma_f64 v[103:104], v[129:130], v[131:132], v[103:104]
	s_and_not1_b32 exec_lo, exec_lo, s1
	s_cbranch_execnz .LBB50_115
; %bb.116:
	s_or_b32 exec_lo, exec_lo, s1
.LBB50_117:
	s_delay_alu instid0(SALU_CYCLE_1)
	s_or_b32 exec_lo, exec_lo, s4
	v_mov_b32_e32 v127, 0
	ds_load_b64 v[127:128], v127 offset:304
	s_waitcnt lgkmcnt(0)
	v_mul_f64 v[103:104], v[103:104], v[127:128]
	scratch_store_b64 off, v[103:104], off offset:304
.LBB50_118:
	s_or_b32 exec_lo, exec_lo, s2
	scratch_load_b64 v[103:104], off, off offset:296
	v_cmp_lt_u32_e64 s1, 37, v0
	s_waitcnt vmcnt(0)
	ds_store_b64 v106, v[103:104]
	s_waitcnt lgkmcnt(0)
	s_waitcnt_vscnt null, 0x0
	s_barrier
	buffer_gl0_inv
	s_and_saveexec_b32 s2, s1
	s_cbranch_execz .LBB50_128
; %bb.119:
	s_and_not1_b32 vcc_lo, exec_lo, s3
	s_cbranch_vccnz .LBB50_121
; %bb.120:
	scratch_load_b64 v[103:104], v107, off
	ds_load_b64 v[127:128], v106
	s_waitcnt vmcnt(0) lgkmcnt(0)
	v_mul_f64 v[103:104], v[103:104], v[127:128]
	s_cbranch_execz .LBB50_122
	s_branch .LBB50_123
.LBB50_121:
                                        ; implicit-def: $vgpr103_vgpr104
.LBB50_122:
	ds_load_b64 v[103:104], v106
.LBB50_123:
	s_and_saveexec_b32 s4, s0
	s_cbranch_execz .LBB50_127
; %bb.124:
	v_subrev_nc_u32_e32 v127, 38, v0
	s_movk_i32 s5, 0x2d0
	s_mov_b32 s0, 0
.LBB50_125:                             ; =>This Inner Loop Header: Depth=1
	scratch_load_b64 v[128:129], v126, off
	v_dual_mov_b32 v130, s5 :: v_dual_add_nc_u32 v127, -1, v127
	v_add_nc_u32_e32 v126, 8, v126
	s_add_i32 s5, s5, 8
	ds_load_b64 v[130:131], v130
	v_cmp_eq_u32_e32 vcc_lo, 0, v127
	s_or_b32 s0, vcc_lo, s0
	s_waitcnt vmcnt(0) lgkmcnt(0)
	v_fma_f64 v[103:104], v[128:129], v[130:131], v[103:104]
	s_and_not1_b32 exec_lo, exec_lo, s0
	s_cbranch_execnz .LBB50_125
; %bb.126:
	s_or_b32 exec_lo, exec_lo, s0
.LBB50_127:
	s_delay_alu instid0(SALU_CYCLE_1)
	s_or_b32 exec_lo, exec_lo, s4
	v_mov_b32_e32 v126, 0
	ds_load_b64 v[126:127], v126 offset:296
	s_waitcnt lgkmcnt(0)
	v_mul_f64 v[103:104], v[103:104], v[126:127]
	scratch_store_b64 off, v[103:104], off offset:296
.LBB50_128:
	s_or_b32 exec_lo, exec_lo, s2
	scratch_load_b64 v[103:104], off, off offset:288
	v_cmp_lt_u32_e64 s0, 36, v0
	s_waitcnt vmcnt(0)
	ds_store_b64 v106, v[103:104]
	s_waitcnt lgkmcnt(0)
	s_waitcnt_vscnt null, 0x0
	s_barrier
	buffer_gl0_inv
	s_and_saveexec_b32 s2, s0
	s_cbranch_execz .LBB50_138
; %bb.129:
	s_and_not1_b32 vcc_lo, exec_lo, s3
	s_cbranch_vccnz .LBB50_131
; %bb.130:
	scratch_load_b64 v[103:104], v107, off
	ds_load_b64 v[126:127], v106
	s_waitcnt vmcnt(0) lgkmcnt(0)
	v_mul_f64 v[103:104], v[103:104], v[126:127]
	s_cbranch_execz .LBB50_132
	s_branch .LBB50_133
.LBB50_131:
                                        ; implicit-def: $vgpr103_vgpr104
.LBB50_132:
	ds_load_b64 v[103:104], v106
.LBB50_133:
	s_and_saveexec_b32 s4, s1
	s_cbranch_execz .LBB50_137
; %bb.134:
	v_mov_b32_e32 v126, 0
	v_subrev_nc_u32_e32 v127, 37, v0
	s_movk_i32 s5, 0x2c8
	s_mov_b32 s1, 0
	s_delay_alu instid0(VALU_DEP_2)
	v_add_nc_u32_e32 v126, 0x128, v126
.LBB50_135:                             ; =>This Inner Loop Header: Depth=1
	scratch_load_b64 v[128:129], v126, off
	v_dual_mov_b32 v130, s5 :: v_dual_add_nc_u32 v127, -1, v127
	v_add_nc_u32_e32 v126, 8, v126
	s_add_i32 s5, s5, 8
	ds_load_b64 v[130:131], v130
	v_cmp_eq_u32_e32 vcc_lo, 0, v127
	s_or_b32 s1, vcc_lo, s1
	s_waitcnt vmcnt(0) lgkmcnt(0)
	v_fma_f64 v[103:104], v[128:129], v[130:131], v[103:104]
	s_and_not1_b32 exec_lo, exec_lo, s1
	s_cbranch_execnz .LBB50_135
; %bb.136:
	s_or_b32 exec_lo, exec_lo, s1
.LBB50_137:
	s_delay_alu instid0(SALU_CYCLE_1)
	s_or_b32 exec_lo, exec_lo, s4
	v_mov_b32_e32 v126, 0
	ds_load_b64 v[126:127], v126 offset:288
	s_waitcnt lgkmcnt(0)
	v_mul_f64 v[103:104], v[103:104], v[126:127]
	scratch_store_b64 off, v[103:104], off offset:288
.LBB50_138:
	s_or_b32 exec_lo, exec_lo, s2
	scratch_load_b64 v[103:104], off, off offset:280
	v_cmp_lt_u32_e64 s1, 35, v0
	s_waitcnt vmcnt(0)
	ds_store_b64 v106, v[103:104]
	s_waitcnt lgkmcnt(0)
	s_waitcnt_vscnt null, 0x0
	s_barrier
	buffer_gl0_inv
	s_and_saveexec_b32 s2, s1
	s_cbranch_execz .LBB50_148
; %bb.139:
	s_and_not1_b32 vcc_lo, exec_lo, s3
	s_cbranch_vccnz .LBB50_141
; %bb.140:
	scratch_load_b64 v[103:104], v107, off
	ds_load_b64 v[126:127], v106
	s_waitcnt vmcnt(0) lgkmcnt(0)
	v_mul_f64 v[103:104], v[103:104], v[126:127]
	s_cbranch_execz .LBB50_142
	s_branch .LBB50_143
.LBB50_141:
                                        ; implicit-def: $vgpr103_vgpr104
.LBB50_142:
	ds_load_b64 v[103:104], v106
.LBB50_143:
	s_and_saveexec_b32 s4, s0
	s_cbranch_execz .LBB50_147
; %bb.144:
	v_subrev_nc_u32_e32 v126, 36, v0
	s_movk_i32 s5, 0x2c0
	s_mov_b32 s0, 0
.LBB50_145:                             ; =>This Inner Loop Header: Depth=1
	scratch_load_b64 v[127:128], v125, off
	v_dual_mov_b32 v129, s5 :: v_dual_add_nc_u32 v126, -1, v126
	v_add_nc_u32_e32 v125, 8, v125
	s_add_i32 s5, s5, 8
	ds_load_b64 v[129:130], v129
	v_cmp_eq_u32_e32 vcc_lo, 0, v126
	s_or_b32 s0, vcc_lo, s0
	s_waitcnt vmcnt(0) lgkmcnt(0)
	v_fma_f64 v[103:104], v[127:128], v[129:130], v[103:104]
	s_and_not1_b32 exec_lo, exec_lo, s0
	s_cbranch_execnz .LBB50_145
; %bb.146:
	s_or_b32 exec_lo, exec_lo, s0
.LBB50_147:
	s_delay_alu instid0(SALU_CYCLE_1)
	s_or_b32 exec_lo, exec_lo, s4
	v_mov_b32_e32 v125, 0
	ds_load_b64 v[125:126], v125 offset:280
	s_waitcnt lgkmcnt(0)
	v_mul_f64 v[103:104], v[103:104], v[125:126]
	scratch_store_b64 off, v[103:104], off offset:280
.LBB50_148:
	s_or_b32 exec_lo, exec_lo, s2
	scratch_load_b64 v[103:104], off, off offset:272
	v_cmp_lt_u32_e64 s0, 34, v0
	s_waitcnt vmcnt(0)
	ds_store_b64 v106, v[103:104]
	s_waitcnt lgkmcnt(0)
	s_waitcnt_vscnt null, 0x0
	s_barrier
	buffer_gl0_inv
	s_and_saveexec_b32 s2, s0
	s_cbranch_execz .LBB50_158
; %bb.149:
	s_and_not1_b32 vcc_lo, exec_lo, s3
	s_cbranch_vccnz .LBB50_151
; %bb.150:
	scratch_load_b64 v[103:104], v107, off
	ds_load_b64 v[125:126], v106
	s_waitcnt vmcnt(0) lgkmcnt(0)
	v_mul_f64 v[103:104], v[103:104], v[125:126]
	s_cbranch_execz .LBB50_152
	s_branch .LBB50_153
.LBB50_151:
                                        ; implicit-def: $vgpr103_vgpr104
.LBB50_152:
	ds_load_b64 v[103:104], v106
.LBB50_153:
	s_and_saveexec_b32 s4, s1
	s_cbranch_execz .LBB50_157
; %bb.154:
	v_mov_b32_e32 v125, 0
	v_subrev_nc_u32_e32 v126, 35, v0
	s_movk_i32 s5, 0x2b8
	s_mov_b32 s1, 0
	s_delay_alu instid0(VALU_DEP_2)
	v_add_nc_u32_e32 v125, 0x118, v125
.LBB50_155:                             ; =>This Inner Loop Header: Depth=1
	scratch_load_b64 v[127:128], v125, off
	v_dual_mov_b32 v129, s5 :: v_dual_add_nc_u32 v126, -1, v126
	v_add_nc_u32_e32 v125, 8, v125
	s_add_i32 s5, s5, 8
	ds_load_b64 v[129:130], v129
	v_cmp_eq_u32_e32 vcc_lo, 0, v126
	s_or_b32 s1, vcc_lo, s1
	s_waitcnt vmcnt(0) lgkmcnt(0)
	v_fma_f64 v[103:104], v[127:128], v[129:130], v[103:104]
	s_and_not1_b32 exec_lo, exec_lo, s1
	s_cbranch_execnz .LBB50_155
; %bb.156:
	s_or_b32 exec_lo, exec_lo, s1
.LBB50_157:
	s_delay_alu instid0(SALU_CYCLE_1)
	s_or_b32 exec_lo, exec_lo, s4
	v_mov_b32_e32 v125, 0
	ds_load_b64 v[125:126], v125 offset:272
	s_waitcnt lgkmcnt(0)
	v_mul_f64 v[103:104], v[103:104], v[125:126]
	scratch_store_b64 off, v[103:104], off offset:272
.LBB50_158:
	s_or_b32 exec_lo, exec_lo, s2
	scratch_load_b64 v[103:104], off, off offset:264
	v_cmp_lt_u32_e64 s1, 33, v0
	s_waitcnt vmcnt(0)
	ds_store_b64 v106, v[103:104]
	s_waitcnt lgkmcnt(0)
	s_waitcnt_vscnt null, 0x0
	s_barrier
	buffer_gl0_inv
	s_and_saveexec_b32 s2, s1
	s_cbranch_execz .LBB50_168
; %bb.159:
	s_and_not1_b32 vcc_lo, exec_lo, s3
	s_cbranch_vccnz .LBB50_161
; %bb.160:
	scratch_load_b64 v[103:104], v107, off
	ds_load_b64 v[125:126], v106
	s_waitcnt vmcnt(0) lgkmcnt(0)
	v_mul_f64 v[103:104], v[103:104], v[125:126]
	s_cbranch_execz .LBB50_162
	s_branch .LBB50_163
.LBB50_161:
                                        ; implicit-def: $vgpr103_vgpr104
.LBB50_162:
	ds_load_b64 v[103:104], v106
.LBB50_163:
	s_and_saveexec_b32 s4, s0
	s_cbranch_execz .LBB50_167
; %bb.164:
	v_subrev_nc_u32_e32 v125, 34, v0
	s_movk_i32 s5, 0x2b0
	s_mov_b32 s0, 0
.LBB50_165:                             ; =>This Inner Loop Header: Depth=1
	scratch_load_b64 v[126:127], v124, off
	v_dual_mov_b32 v128, s5 :: v_dual_add_nc_u32 v125, -1, v125
	v_add_nc_u32_e32 v124, 8, v124
	s_add_i32 s5, s5, 8
	ds_load_b64 v[128:129], v128
	v_cmp_eq_u32_e32 vcc_lo, 0, v125
	s_or_b32 s0, vcc_lo, s0
	s_waitcnt vmcnt(0) lgkmcnt(0)
	v_fma_f64 v[103:104], v[126:127], v[128:129], v[103:104]
	s_and_not1_b32 exec_lo, exec_lo, s0
	s_cbranch_execnz .LBB50_165
; %bb.166:
	s_or_b32 exec_lo, exec_lo, s0
.LBB50_167:
	s_delay_alu instid0(SALU_CYCLE_1)
	s_or_b32 exec_lo, exec_lo, s4
	v_mov_b32_e32 v124, 0
	ds_load_b64 v[124:125], v124 offset:264
	s_waitcnt lgkmcnt(0)
	v_mul_f64 v[103:104], v[103:104], v[124:125]
	scratch_store_b64 off, v[103:104], off offset:264
.LBB50_168:
	s_or_b32 exec_lo, exec_lo, s2
	scratch_load_b64 v[103:104], off, off offset:256
	v_cmp_lt_u32_e64 s0, 32, v0
	s_waitcnt vmcnt(0)
	ds_store_b64 v106, v[103:104]
	s_waitcnt lgkmcnt(0)
	s_waitcnt_vscnt null, 0x0
	s_barrier
	buffer_gl0_inv
	s_and_saveexec_b32 s2, s0
	s_cbranch_execz .LBB50_178
; %bb.169:
	s_and_not1_b32 vcc_lo, exec_lo, s3
	s_cbranch_vccnz .LBB50_171
; %bb.170:
	scratch_load_b64 v[103:104], v107, off
	ds_load_b64 v[124:125], v106
	s_waitcnt vmcnt(0) lgkmcnt(0)
	v_mul_f64 v[103:104], v[103:104], v[124:125]
	s_cbranch_execz .LBB50_172
	s_branch .LBB50_173
.LBB50_171:
                                        ; implicit-def: $vgpr103_vgpr104
.LBB50_172:
	ds_load_b64 v[103:104], v106
.LBB50_173:
	s_and_saveexec_b32 s4, s1
	s_cbranch_execz .LBB50_177
; %bb.174:
	v_mov_b32_e32 v124, 0
	v_subrev_nc_u32_e32 v125, 33, v0
	s_movk_i32 s5, 0x2a8
	s_mov_b32 s1, 0
	s_delay_alu instid0(VALU_DEP_2)
	v_add_nc_u32_e32 v124, 0x108, v124
.LBB50_175:                             ; =>This Inner Loop Header: Depth=1
	scratch_load_b64 v[126:127], v124, off
	v_dual_mov_b32 v128, s5 :: v_dual_add_nc_u32 v125, -1, v125
	v_add_nc_u32_e32 v124, 8, v124
	s_add_i32 s5, s5, 8
	ds_load_b64 v[128:129], v128
	v_cmp_eq_u32_e32 vcc_lo, 0, v125
	s_or_b32 s1, vcc_lo, s1
	s_waitcnt vmcnt(0) lgkmcnt(0)
	v_fma_f64 v[103:104], v[126:127], v[128:129], v[103:104]
	s_and_not1_b32 exec_lo, exec_lo, s1
	s_cbranch_execnz .LBB50_175
; %bb.176:
	s_or_b32 exec_lo, exec_lo, s1
.LBB50_177:
	s_delay_alu instid0(SALU_CYCLE_1)
	s_or_b32 exec_lo, exec_lo, s4
	v_mov_b32_e32 v124, 0
	ds_load_b64 v[124:125], v124 offset:256
	s_waitcnt lgkmcnt(0)
	v_mul_f64 v[103:104], v[103:104], v[124:125]
	scratch_store_b64 off, v[103:104], off offset:256
.LBB50_178:
	s_or_b32 exec_lo, exec_lo, s2
	scratch_load_b64 v[103:104], off, off offset:248
	v_cmp_lt_u32_e64 s1, 31, v0
	s_waitcnt vmcnt(0)
	ds_store_b64 v106, v[103:104]
	s_waitcnt lgkmcnt(0)
	s_waitcnt_vscnt null, 0x0
	s_barrier
	buffer_gl0_inv
	s_and_saveexec_b32 s2, s1
	s_cbranch_execz .LBB50_188
; %bb.179:
	s_and_not1_b32 vcc_lo, exec_lo, s3
	s_cbranch_vccnz .LBB50_181
; %bb.180:
	scratch_load_b64 v[103:104], v107, off
	ds_load_b64 v[124:125], v106
	s_waitcnt vmcnt(0) lgkmcnt(0)
	v_mul_f64 v[103:104], v[103:104], v[124:125]
	s_cbranch_execz .LBB50_182
	s_branch .LBB50_183
.LBB50_181:
                                        ; implicit-def: $vgpr103_vgpr104
.LBB50_182:
	ds_load_b64 v[103:104], v106
.LBB50_183:
	s_and_saveexec_b32 s4, s0
	s_cbranch_execz .LBB50_187
; %bb.184:
	v_subrev_nc_u32_e32 v124, 32, v0
	s_movk_i32 s5, 0x2a0
	s_mov_b32 s0, 0
.LBB50_185:                             ; =>This Inner Loop Header: Depth=1
	scratch_load_b64 v[125:126], v123, off
	v_dual_mov_b32 v127, s5 :: v_dual_add_nc_u32 v124, -1, v124
	v_add_nc_u32_e32 v123, 8, v123
	s_add_i32 s5, s5, 8
	ds_load_b64 v[127:128], v127
	v_cmp_eq_u32_e32 vcc_lo, 0, v124
	s_or_b32 s0, vcc_lo, s0
	s_waitcnt vmcnt(0) lgkmcnt(0)
	v_fma_f64 v[103:104], v[125:126], v[127:128], v[103:104]
	s_and_not1_b32 exec_lo, exec_lo, s0
	s_cbranch_execnz .LBB50_185
; %bb.186:
	s_or_b32 exec_lo, exec_lo, s0
.LBB50_187:
	s_delay_alu instid0(SALU_CYCLE_1)
	s_or_b32 exec_lo, exec_lo, s4
	v_mov_b32_e32 v123, 0
	ds_load_b64 v[123:124], v123 offset:248
	s_waitcnt lgkmcnt(0)
	v_mul_f64 v[103:104], v[103:104], v[123:124]
	scratch_store_b64 off, v[103:104], off offset:248
.LBB50_188:
	s_or_b32 exec_lo, exec_lo, s2
	scratch_load_b64 v[103:104], off, off offset:240
	v_cmp_lt_u32_e64 s0, 30, v0
	s_waitcnt vmcnt(0)
	ds_store_b64 v106, v[103:104]
	s_waitcnt lgkmcnt(0)
	s_waitcnt_vscnt null, 0x0
	s_barrier
	buffer_gl0_inv
	s_and_saveexec_b32 s2, s0
	s_cbranch_execz .LBB50_198
; %bb.189:
	s_and_not1_b32 vcc_lo, exec_lo, s3
	s_cbranch_vccnz .LBB50_191
; %bb.190:
	scratch_load_b64 v[103:104], v107, off
	ds_load_b64 v[123:124], v106
	s_waitcnt vmcnt(0) lgkmcnt(0)
	v_mul_f64 v[103:104], v[103:104], v[123:124]
	s_cbranch_execz .LBB50_192
	s_branch .LBB50_193
.LBB50_191:
                                        ; implicit-def: $vgpr103_vgpr104
.LBB50_192:
	ds_load_b64 v[103:104], v106
.LBB50_193:
	s_and_saveexec_b32 s4, s1
	s_cbranch_execz .LBB50_197
; %bb.194:
	v_mov_b32_e32 v123, 0
	v_subrev_nc_u32_e32 v124, 31, v0
	s_movk_i32 s5, 0x298
	s_mov_b32 s1, 0
	s_delay_alu instid0(VALU_DEP_2)
	v_add_nc_u32_e32 v123, 0xf8, v123
.LBB50_195:                             ; =>This Inner Loop Header: Depth=1
	scratch_load_b64 v[125:126], v123, off
	v_dual_mov_b32 v127, s5 :: v_dual_add_nc_u32 v124, -1, v124
	v_add_nc_u32_e32 v123, 8, v123
	s_add_i32 s5, s5, 8
	ds_load_b64 v[127:128], v127
	v_cmp_eq_u32_e32 vcc_lo, 0, v124
	s_or_b32 s1, vcc_lo, s1
	s_waitcnt vmcnt(0) lgkmcnt(0)
	v_fma_f64 v[103:104], v[125:126], v[127:128], v[103:104]
	s_and_not1_b32 exec_lo, exec_lo, s1
	s_cbranch_execnz .LBB50_195
; %bb.196:
	s_or_b32 exec_lo, exec_lo, s1
.LBB50_197:
	s_delay_alu instid0(SALU_CYCLE_1)
	s_or_b32 exec_lo, exec_lo, s4
	v_mov_b32_e32 v123, 0
	ds_load_b64 v[123:124], v123 offset:240
	s_waitcnt lgkmcnt(0)
	v_mul_f64 v[103:104], v[103:104], v[123:124]
	scratch_store_b64 off, v[103:104], off offset:240
.LBB50_198:
	s_or_b32 exec_lo, exec_lo, s2
	scratch_load_b64 v[103:104], off, off offset:232
	v_cmp_lt_u32_e64 s1, 29, v0
	s_waitcnt vmcnt(0)
	ds_store_b64 v106, v[103:104]
	s_waitcnt lgkmcnt(0)
	s_waitcnt_vscnt null, 0x0
	s_barrier
	buffer_gl0_inv
	s_and_saveexec_b32 s2, s1
	s_cbranch_execz .LBB50_208
; %bb.199:
	s_and_not1_b32 vcc_lo, exec_lo, s3
	s_cbranch_vccnz .LBB50_201
; %bb.200:
	scratch_load_b64 v[103:104], v107, off
	ds_load_b64 v[123:124], v106
	s_waitcnt vmcnt(0) lgkmcnt(0)
	v_mul_f64 v[103:104], v[103:104], v[123:124]
	s_cbranch_execz .LBB50_202
	s_branch .LBB50_203
.LBB50_201:
                                        ; implicit-def: $vgpr103_vgpr104
.LBB50_202:
	ds_load_b64 v[103:104], v106
.LBB50_203:
	s_and_saveexec_b32 s4, s0
	s_cbranch_execz .LBB50_207
; %bb.204:
	v_subrev_nc_u32_e32 v123, 30, v0
	s_movk_i32 s5, 0x290
	s_mov_b32 s0, 0
.LBB50_205:                             ; =>This Inner Loop Header: Depth=1
	scratch_load_b64 v[124:125], v122, off
	v_dual_mov_b32 v126, s5 :: v_dual_add_nc_u32 v123, -1, v123
	v_add_nc_u32_e32 v122, 8, v122
	s_add_i32 s5, s5, 8
	ds_load_b64 v[126:127], v126
	v_cmp_eq_u32_e32 vcc_lo, 0, v123
	s_or_b32 s0, vcc_lo, s0
	s_waitcnt vmcnt(0) lgkmcnt(0)
	v_fma_f64 v[103:104], v[124:125], v[126:127], v[103:104]
	s_and_not1_b32 exec_lo, exec_lo, s0
	s_cbranch_execnz .LBB50_205
; %bb.206:
	s_or_b32 exec_lo, exec_lo, s0
.LBB50_207:
	s_delay_alu instid0(SALU_CYCLE_1)
	s_or_b32 exec_lo, exec_lo, s4
	v_mov_b32_e32 v122, 0
	ds_load_b64 v[122:123], v122 offset:232
	s_waitcnt lgkmcnt(0)
	v_mul_f64 v[103:104], v[103:104], v[122:123]
	scratch_store_b64 off, v[103:104], off offset:232
.LBB50_208:
	s_or_b32 exec_lo, exec_lo, s2
	scratch_load_b64 v[103:104], off, off offset:224
	v_cmp_lt_u32_e64 s0, 28, v0
	s_waitcnt vmcnt(0)
	ds_store_b64 v106, v[103:104]
	s_waitcnt lgkmcnt(0)
	s_waitcnt_vscnt null, 0x0
	s_barrier
	buffer_gl0_inv
	s_and_saveexec_b32 s2, s0
	s_cbranch_execz .LBB50_218
; %bb.209:
	s_and_not1_b32 vcc_lo, exec_lo, s3
	s_cbranch_vccnz .LBB50_211
; %bb.210:
	scratch_load_b64 v[103:104], v107, off
	ds_load_b64 v[122:123], v106
	s_waitcnt vmcnt(0) lgkmcnt(0)
	v_mul_f64 v[103:104], v[103:104], v[122:123]
	s_cbranch_execz .LBB50_212
	s_branch .LBB50_213
.LBB50_211:
                                        ; implicit-def: $vgpr103_vgpr104
.LBB50_212:
	ds_load_b64 v[103:104], v106
.LBB50_213:
	s_and_saveexec_b32 s4, s1
	s_cbranch_execz .LBB50_217
; %bb.214:
	v_mov_b32_e32 v122, 0
	v_subrev_nc_u32_e32 v123, 29, v0
	s_movk_i32 s5, 0x288
	s_mov_b32 s1, 0
	s_delay_alu instid0(VALU_DEP_2)
	v_add_nc_u32_e32 v122, 0xe8, v122
.LBB50_215:                             ; =>This Inner Loop Header: Depth=1
	scratch_load_b64 v[124:125], v122, off
	v_dual_mov_b32 v126, s5 :: v_dual_add_nc_u32 v123, -1, v123
	v_add_nc_u32_e32 v122, 8, v122
	s_add_i32 s5, s5, 8
	ds_load_b64 v[126:127], v126
	v_cmp_eq_u32_e32 vcc_lo, 0, v123
	s_or_b32 s1, vcc_lo, s1
	s_waitcnt vmcnt(0) lgkmcnt(0)
	v_fma_f64 v[103:104], v[124:125], v[126:127], v[103:104]
	s_and_not1_b32 exec_lo, exec_lo, s1
	s_cbranch_execnz .LBB50_215
; %bb.216:
	s_or_b32 exec_lo, exec_lo, s1
.LBB50_217:
	s_delay_alu instid0(SALU_CYCLE_1)
	s_or_b32 exec_lo, exec_lo, s4
	v_mov_b32_e32 v122, 0
	ds_load_b64 v[122:123], v122 offset:224
	s_waitcnt lgkmcnt(0)
	v_mul_f64 v[103:104], v[103:104], v[122:123]
	scratch_store_b64 off, v[103:104], off offset:224
.LBB50_218:
	s_or_b32 exec_lo, exec_lo, s2
	scratch_load_b64 v[103:104], off, off offset:216
	v_cmp_lt_u32_e64 s1, 27, v0
	s_waitcnt vmcnt(0)
	ds_store_b64 v106, v[103:104]
	s_waitcnt lgkmcnt(0)
	s_waitcnt_vscnt null, 0x0
	s_barrier
	buffer_gl0_inv
	s_and_saveexec_b32 s2, s1
	s_cbranch_execz .LBB50_228
; %bb.219:
	s_and_not1_b32 vcc_lo, exec_lo, s3
	s_cbranch_vccnz .LBB50_221
; %bb.220:
	scratch_load_b64 v[103:104], v107, off
	ds_load_b64 v[122:123], v106
	s_waitcnt vmcnt(0) lgkmcnt(0)
	v_mul_f64 v[103:104], v[103:104], v[122:123]
	s_cbranch_execz .LBB50_222
	s_branch .LBB50_223
.LBB50_221:
                                        ; implicit-def: $vgpr103_vgpr104
.LBB50_222:
	ds_load_b64 v[103:104], v106
.LBB50_223:
	s_and_saveexec_b32 s4, s0
	s_cbranch_execz .LBB50_227
; %bb.224:
	v_subrev_nc_u32_e32 v122, 28, v0
	s_movk_i32 s5, 0x280
	s_mov_b32 s0, 0
.LBB50_225:                             ; =>This Inner Loop Header: Depth=1
	scratch_load_b64 v[123:124], v121, off
	v_dual_mov_b32 v125, s5 :: v_dual_add_nc_u32 v122, -1, v122
	v_add_nc_u32_e32 v121, 8, v121
	s_add_i32 s5, s5, 8
	ds_load_b64 v[125:126], v125
	v_cmp_eq_u32_e32 vcc_lo, 0, v122
	s_or_b32 s0, vcc_lo, s0
	s_waitcnt vmcnt(0) lgkmcnt(0)
	v_fma_f64 v[103:104], v[123:124], v[125:126], v[103:104]
	s_and_not1_b32 exec_lo, exec_lo, s0
	s_cbranch_execnz .LBB50_225
; %bb.226:
	s_or_b32 exec_lo, exec_lo, s0
.LBB50_227:
	s_delay_alu instid0(SALU_CYCLE_1)
	s_or_b32 exec_lo, exec_lo, s4
	v_mov_b32_e32 v121, 0
	ds_load_b64 v[121:122], v121 offset:216
	s_waitcnt lgkmcnt(0)
	v_mul_f64 v[103:104], v[103:104], v[121:122]
	scratch_store_b64 off, v[103:104], off offset:216
.LBB50_228:
	s_or_b32 exec_lo, exec_lo, s2
	scratch_load_b64 v[103:104], off, off offset:208
	v_cmp_lt_u32_e64 s0, 26, v0
	s_waitcnt vmcnt(0)
	ds_store_b64 v106, v[103:104]
	s_waitcnt lgkmcnt(0)
	s_waitcnt_vscnt null, 0x0
	s_barrier
	buffer_gl0_inv
	s_and_saveexec_b32 s2, s0
	s_cbranch_execz .LBB50_238
; %bb.229:
	s_and_not1_b32 vcc_lo, exec_lo, s3
	s_cbranch_vccnz .LBB50_231
; %bb.230:
	scratch_load_b64 v[103:104], v107, off
	ds_load_b64 v[121:122], v106
	s_waitcnt vmcnt(0) lgkmcnt(0)
	v_mul_f64 v[103:104], v[103:104], v[121:122]
	s_cbranch_execz .LBB50_232
	s_branch .LBB50_233
.LBB50_231:
                                        ; implicit-def: $vgpr103_vgpr104
.LBB50_232:
	ds_load_b64 v[103:104], v106
.LBB50_233:
	s_and_saveexec_b32 s4, s1
	s_cbranch_execz .LBB50_237
; %bb.234:
	v_mov_b32_e32 v121, 0
	v_subrev_nc_u32_e32 v122, 27, v0
	s_movk_i32 s5, 0x278
	s_mov_b32 s1, 0
	s_delay_alu instid0(VALU_DEP_2)
	v_add_nc_u32_e32 v121, 0xd8, v121
.LBB50_235:                             ; =>This Inner Loop Header: Depth=1
	scratch_load_b64 v[123:124], v121, off
	v_dual_mov_b32 v125, s5 :: v_dual_add_nc_u32 v122, -1, v122
	v_add_nc_u32_e32 v121, 8, v121
	s_add_i32 s5, s5, 8
	ds_load_b64 v[125:126], v125
	v_cmp_eq_u32_e32 vcc_lo, 0, v122
	s_or_b32 s1, vcc_lo, s1
	s_waitcnt vmcnt(0) lgkmcnt(0)
	v_fma_f64 v[103:104], v[123:124], v[125:126], v[103:104]
	s_and_not1_b32 exec_lo, exec_lo, s1
	s_cbranch_execnz .LBB50_235
; %bb.236:
	s_or_b32 exec_lo, exec_lo, s1
.LBB50_237:
	s_delay_alu instid0(SALU_CYCLE_1)
	s_or_b32 exec_lo, exec_lo, s4
	v_mov_b32_e32 v121, 0
	ds_load_b64 v[121:122], v121 offset:208
	s_waitcnt lgkmcnt(0)
	v_mul_f64 v[103:104], v[103:104], v[121:122]
	scratch_store_b64 off, v[103:104], off offset:208
.LBB50_238:
	s_or_b32 exec_lo, exec_lo, s2
	scratch_load_b64 v[103:104], off, off offset:200
	v_cmp_lt_u32_e64 s1, 25, v0
	s_waitcnt vmcnt(0)
	ds_store_b64 v106, v[103:104]
	s_waitcnt lgkmcnt(0)
	s_waitcnt_vscnt null, 0x0
	s_barrier
	buffer_gl0_inv
	s_and_saveexec_b32 s2, s1
	s_cbranch_execz .LBB50_248
; %bb.239:
	s_and_not1_b32 vcc_lo, exec_lo, s3
	s_cbranch_vccnz .LBB50_241
; %bb.240:
	scratch_load_b64 v[103:104], v107, off
	ds_load_b64 v[121:122], v106
	s_waitcnt vmcnt(0) lgkmcnt(0)
	v_mul_f64 v[103:104], v[103:104], v[121:122]
	s_cbranch_execz .LBB50_242
	s_branch .LBB50_243
.LBB50_241:
                                        ; implicit-def: $vgpr103_vgpr104
.LBB50_242:
	ds_load_b64 v[103:104], v106
.LBB50_243:
	s_and_saveexec_b32 s4, s0
	s_cbranch_execz .LBB50_247
; %bb.244:
	v_subrev_nc_u32_e32 v121, 26, v0
	s_movk_i32 s5, 0x270
	s_mov_b32 s0, 0
.LBB50_245:                             ; =>This Inner Loop Header: Depth=1
	scratch_load_b64 v[122:123], v120, off
	v_dual_mov_b32 v124, s5 :: v_dual_add_nc_u32 v121, -1, v121
	v_add_nc_u32_e32 v120, 8, v120
	s_add_i32 s5, s5, 8
	ds_load_b64 v[124:125], v124
	v_cmp_eq_u32_e32 vcc_lo, 0, v121
	s_or_b32 s0, vcc_lo, s0
	s_waitcnt vmcnt(0) lgkmcnt(0)
	v_fma_f64 v[103:104], v[122:123], v[124:125], v[103:104]
	s_and_not1_b32 exec_lo, exec_lo, s0
	s_cbranch_execnz .LBB50_245
; %bb.246:
	s_or_b32 exec_lo, exec_lo, s0
.LBB50_247:
	s_delay_alu instid0(SALU_CYCLE_1)
	s_or_b32 exec_lo, exec_lo, s4
	v_mov_b32_e32 v120, 0
	ds_load_b64 v[120:121], v120 offset:200
	s_waitcnt lgkmcnt(0)
	v_mul_f64 v[103:104], v[103:104], v[120:121]
	scratch_store_b64 off, v[103:104], off offset:200
.LBB50_248:
	s_or_b32 exec_lo, exec_lo, s2
	scratch_load_b64 v[103:104], off, off offset:192
	v_cmp_lt_u32_e64 s0, 24, v0
	s_waitcnt vmcnt(0)
	ds_store_b64 v106, v[103:104]
	s_waitcnt lgkmcnt(0)
	s_waitcnt_vscnt null, 0x0
	s_barrier
	buffer_gl0_inv
	s_and_saveexec_b32 s2, s0
	s_cbranch_execz .LBB50_258
; %bb.249:
	s_and_not1_b32 vcc_lo, exec_lo, s3
	s_cbranch_vccnz .LBB50_251
; %bb.250:
	scratch_load_b64 v[103:104], v107, off
	ds_load_b64 v[120:121], v106
	s_waitcnt vmcnt(0) lgkmcnt(0)
	v_mul_f64 v[103:104], v[103:104], v[120:121]
	s_cbranch_execz .LBB50_252
	s_branch .LBB50_253
.LBB50_251:
                                        ; implicit-def: $vgpr103_vgpr104
.LBB50_252:
	ds_load_b64 v[103:104], v106
.LBB50_253:
	s_and_saveexec_b32 s4, s1
	s_cbranch_execz .LBB50_257
; %bb.254:
	v_mov_b32_e32 v120, 0
	v_subrev_nc_u32_e32 v121, 25, v0
	s_movk_i32 s5, 0x268
	s_mov_b32 s1, 0
	s_delay_alu instid0(VALU_DEP_2)
	v_add_nc_u32_e32 v120, 0xc8, v120
.LBB50_255:                             ; =>This Inner Loop Header: Depth=1
	scratch_load_b64 v[122:123], v120, off
	v_dual_mov_b32 v124, s5 :: v_dual_add_nc_u32 v121, -1, v121
	v_add_nc_u32_e32 v120, 8, v120
	s_add_i32 s5, s5, 8
	ds_load_b64 v[124:125], v124
	v_cmp_eq_u32_e32 vcc_lo, 0, v121
	s_or_b32 s1, vcc_lo, s1
	s_waitcnt vmcnt(0) lgkmcnt(0)
	v_fma_f64 v[103:104], v[122:123], v[124:125], v[103:104]
	s_and_not1_b32 exec_lo, exec_lo, s1
	s_cbranch_execnz .LBB50_255
; %bb.256:
	s_or_b32 exec_lo, exec_lo, s1
.LBB50_257:
	s_delay_alu instid0(SALU_CYCLE_1)
	s_or_b32 exec_lo, exec_lo, s4
	v_mov_b32_e32 v120, 0
	ds_load_b64 v[120:121], v120 offset:192
	s_waitcnt lgkmcnt(0)
	v_mul_f64 v[103:104], v[103:104], v[120:121]
	scratch_store_b64 off, v[103:104], off offset:192
.LBB50_258:
	s_or_b32 exec_lo, exec_lo, s2
	scratch_load_b64 v[103:104], off, off offset:184
	v_cmp_lt_u32_e64 s1, 23, v0
	s_waitcnt vmcnt(0)
	ds_store_b64 v106, v[103:104]
	s_waitcnt lgkmcnt(0)
	s_waitcnt_vscnt null, 0x0
	s_barrier
	buffer_gl0_inv
	s_and_saveexec_b32 s2, s1
	s_cbranch_execz .LBB50_268
; %bb.259:
	s_and_not1_b32 vcc_lo, exec_lo, s3
	s_cbranch_vccnz .LBB50_261
; %bb.260:
	scratch_load_b64 v[103:104], v107, off
	ds_load_b64 v[120:121], v106
	s_waitcnt vmcnt(0) lgkmcnt(0)
	v_mul_f64 v[103:104], v[103:104], v[120:121]
	s_cbranch_execz .LBB50_262
	s_branch .LBB50_263
.LBB50_261:
                                        ; implicit-def: $vgpr103_vgpr104
.LBB50_262:
	ds_load_b64 v[103:104], v106
.LBB50_263:
	s_and_saveexec_b32 s4, s0
	s_cbranch_execz .LBB50_267
; %bb.264:
	v_subrev_nc_u32_e32 v120, 24, v0
	s_movk_i32 s5, 0x260
	s_mov_b32 s0, 0
.LBB50_265:                             ; =>This Inner Loop Header: Depth=1
	scratch_load_b64 v[121:122], v119, off
	v_dual_mov_b32 v123, s5 :: v_dual_add_nc_u32 v120, -1, v120
	v_add_nc_u32_e32 v119, 8, v119
	s_add_i32 s5, s5, 8
	ds_load_b64 v[123:124], v123
	v_cmp_eq_u32_e32 vcc_lo, 0, v120
	s_or_b32 s0, vcc_lo, s0
	s_waitcnt vmcnt(0) lgkmcnt(0)
	v_fma_f64 v[103:104], v[121:122], v[123:124], v[103:104]
	s_and_not1_b32 exec_lo, exec_lo, s0
	s_cbranch_execnz .LBB50_265
; %bb.266:
	s_or_b32 exec_lo, exec_lo, s0
.LBB50_267:
	s_delay_alu instid0(SALU_CYCLE_1)
	s_or_b32 exec_lo, exec_lo, s4
	v_mov_b32_e32 v119, 0
	ds_load_b64 v[119:120], v119 offset:184
	s_waitcnt lgkmcnt(0)
	v_mul_f64 v[103:104], v[103:104], v[119:120]
	scratch_store_b64 off, v[103:104], off offset:184
.LBB50_268:
	s_or_b32 exec_lo, exec_lo, s2
	scratch_load_b64 v[103:104], off, off offset:176
	v_cmp_lt_u32_e64 s0, 22, v0
	s_waitcnt vmcnt(0)
	ds_store_b64 v106, v[103:104]
	s_waitcnt lgkmcnt(0)
	s_waitcnt_vscnt null, 0x0
	s_barrier
	buffer_gl0_inv
	s_and_saveexec_b32 s2, s0
	s_cbranch_execz .LBB50_278
; %bb.269:
	s_and_not1_b32 vcc_lo, exec_lo, s3
	s_cbranch_vccnz .LBB50_271
; %bb.270:
	scratch_load_b64 v[103:104], v107, off
	ds_load_b64 v[119:120], v106
	s_waitcnt vmcnt(0) lgkmcnt(0)
	v_mul_f64 v[103:104], v[103:104], v[119:120]
	s_cbranch_execz .LBB50_272
	s_branch .LBB50_273
.LBB50_271:
                                        ; implicit-def: $vgpr103_vgpr104
.LBB50_272:
	ds_load_b64 v[103:104], v106
.LBB50_273:
	s_and_saveexec_b32 s4, s1
	s_cbranch_execz .LBB50_277
; %bb.274:
	v_mov_b32_e32 v119, 0
	v_subrev_nc_u32_e32 v120, 23, v0
	s_movk_i32 s5, 0x258
	s_mov_b32 s1, 0
	s_delay_alu instid0(VALU_DEP_2)
	v_add_nc_u32_e32 v119, 0xb8, v119
.LBB50_275:                             ; =>This Inner Loop Header: Depth=1
	scratch_load_b64 v[121:122], v119, off
	v_dual_mov_b32 v123, s5 :: v_dual_add_nc_u32 v120, -1, v120
	v_add_nc_u32_e32 v119, 8, v119
	s_add_i32 s5, s5, 8
	ds_load_b64 v[123:124], v123
	v_cmp_eq_u32_e32 vcc_lo, 0, v120
	s_or_b32 s1, vcc_lo, s1
	s_waitcnt vmcnt(0) lgkmcnt(0)
	v_fma_f64 v[103:104], v[121:122], v[123:124], v[103:104]
	s_and_not1_b32 exec_lo, exec_lo, s1
	s_cbranch_execnz .LBB50_275
; %bb.276:
	s_or_b32 exec_lo, exec_lo, s1
.LBB50_277:
	s_delay_alu instid0(SALU_CYCLE_1)
	s_or_b32 exec_lo, exec_lo, s4
	v_mov_b32_e32 v119, 0
	ds_load_b64 v[119:120], v119 offset:176
	s_waitcnt lgkmcnt(0)
	v_mul_f64 v[103:104], v[103:104], v[119:120]
	scratch_store_b64 off, v[103:104], off offset:176
.LBB50_278:
	s_or_b32 exec_lo, exec_lo, s2
	scratch_load_b64 v[103:104], off, off offset:168
	v_cmp_lt_u32_e64 s1, 21, v0
	s_waitcnt vmcnt(0)
	ds_store_b64 v106, v[103:104]
	s_waitcnt lgkmcnt(0)
	s_waitcnt_vscnt null, 0x0
	s_barrier
	buffer_gl0_inv
	s_and_saveexec_b32 s2, s1
	s_cbranch_execz .LBB50_288
; %bb.279:
	s_and_not1_b32 vcc_lo, exec_lo, s3
	s_cbranch_vccnz .LBB50_281
; %bb.280:
	scratch_load_b64 v[103:104], v107, off
	ds_load_b64 v[119:120], v106
	s_waitcnt vmcnt(0) lgkmcnt(0)
	v_mul_f64 v[103:104], v[103:104], v[119:120]
	s_cbranch_execz .LBB50_282
	s_branch .LBB50_283
.LBB50_281:
                                        ; implicit-def: $vgpr103_vgpr104
.LBB50_282:
	ds_load_b64 v[103:104], v106
.LBB50_283:
	s_and_saveexec_b32 s4, s0
	s_cbranch_execz .LBB50_287
; %bb.284:
	v_subrev_nc_u32_e32 v119, 22, v0
	s_movk_i32 s5, 0x250
	s_mov_b32 s0, 0
.LBB50_285:                             ; =>This Inner Loop Header: Depth=1
	scratch_load_b64 v[120:121], v118, off
	v_dual_mov_b32 v122, s5 :: v_dual_add_nc_u32 v119, -1, v119
	v_add_nc_u32_e32 v118, 8, v118
	s_add_i32 s5, s5, 8
	ds_load_b64 v[122:123], v122
	v_cmp_eq_u32_e32 vcc_lo, 0, v119
	s_or_b32 s0, vcc_lo, s0
	s_waitcnt vmcnt(0) lgkmcnt(0)
	v_fma_f64 v[103:104], v[120:121], v[122:123], v[103:104]
	s_and_not1_b32 exec_lo, exec_lo, s0
	s_cbranch_execnz .LBB50_285
; %bb.286:
	s_or_b32 exec_lo, exec_lo, s0
.LBB50_287:
	s_delay_alu instid0(SALU_CYCLE_1)
	s_or_b32 exec_lo, exec_lo, s4
	v_mov_b32_e32 v118, 0
	ds_load_b64 v[118:119], v118 offset:168
	s_waitcnt lgkmcnt(0)
	v_mul_f64 v[103:104], v[103:104], v[118:119]
	scratch_store_b64 off, v[103:104], off offset:168
.LBB50_288:
	s_or_b32 exec_lo, exec_lo, s2
	scratch_load_b64 v[103:104], off, off offset:160
	v_cmp_lt_u32_e64 s0, 20, v0
	s_waitcnt vmcnt(0)
	ds_store_b64 v106, v[103:104]
	s_waitcnt lgkmcnt(0)
	s_waitcnt_vscnt null, 0x0
	s_barrier
	buffer_gl0_inv
	s_and_saveexec_b32 s2, s0
	s_cbranch_execz .LBB50_298
; %bb.289:
	s_and_not1_b32 vcc_lo, exec_lo, s3
	s_cbranch_vccnz .LBB50_291
; %bb.290:
	scratch_load_b64 v[103:104], v107, off
	ds_load_b64 v[118:119], v106
	s_waitcnt vmcnt(0) lgkmcnt(0)
	v_mul_f64 v[103:104], v[103:104], v[118:119]
	s_cbranch_execz .LBB50_292
	s_branch .LBB50_293
.LBB50_291:
                                        ; implicit-def: $vgpr103_vgpr104
.LBB50_292:
	ds_load_b64 v[103:104], v106
.LBB50_293:
	s_and_saveexec_b32 s4, s1
	s_cbranch_execz .LBB50_297
; %bb.294:
	v_mov_b32_e32 v118, 0
	v_subrev_nc_u32_e32 v119, 21, v0
	s_movk_i32 s5, 0x248
	s_mov_b32 s1, 0
	s_delay_alu instid0(VALU_DEP_2)
	v_add_nc_u32_e32 v118, 0xa8, v118
.LBB50_295:                             ; =>This Inner Loop Header: Depth=1
	scratch_load_b64 v[120:121], v118, off
	v_dual_mov_b32 v122, s5 :: v_dual_add_nc_u32 v119, -1, v119
	v_add_nc_u32_e32 v118, 8, v118
	s_add_i32 s5, s5, 8
	ds_load_b64 v[122:123], v122
	v_cmp_eq_u32_e32 vcc_lo, 0, v119
	s_or_b32 s1, vcc_lo, s1
	s_waitcnt vmcnt(0) lgkmcnt(0)
	v_fma_f64 v[103:104], v[120:121], v[122:123], v[103:104]
	s_and_not1_b32 exec_lo, exec_lo, s1
	s_cbranch_execnz .LBB50_295
; %bb.296:
	s_or_b32 exec_lo, exec_lo, s1
.LBB50_297:
	s_delay_alu instid0(SALU_CYCLE_1)
	s_or_b32 exec_lo, exec_lo, s4
	v_mov_b32_e32 v118, 0
	ds_load_b64 v[118:119], v118 offset:160
	s_waitcnt lgkmcnt(0)
	v_mul_f64 v[103:104], v[103:104], v[118:119]
	scratch_store_b64 off, v[103:104], off offset:160
.LBB50_298:
	s_or_b32 exec_lo, exec_lo, s2
	scratch_load_b64 v[103:104], off, off offset:152
	v_cmp_lt_u32_e64 s1, 19, v0
	s_waitcnt vmcnt(0)
	ds_store_b64 v106, v[103:104]
	s_waitcnt lgkmcnt(0)
	s_waitcnt_vscnt null, 0x0
	s_barrier
	buffer_gl0_inv
	s_and_saveexec_b32 s2, s1
	s_cbranch_execz .LBB50_308
; %bb.299:
	s_and_not1_b32 vcc_lo, exec_lo, s3
	s_cbranch_vccnz .LBB50_301
; %bb.300:
	scratch_load_b64 v[103:104], v107, off
	ds_load_b64 v[118:119], v106
	s_waitcnt vmcnt(0) lgkmcnt(0)
	v_mul_f64 v[103:104], v[103:104], v[118:119]
	s_cbranch_execz .LBB50_302
	s_branch .LBB50_303
.LBB50_301:
                                        ; implicit-def: $vgpr103_vgpr104
.LBB50_302:
	ds_load_b64 v[103:104], v106
.LBB50_303:
	s_and_saveexec_b32 s4, s0
	s_cbranch_execz .LBB50_307
; %bb.304:
	v_subrev_nc_u32_e32 v118, 20, v0
	s_movk_i32 s5, 0x240
	s_mov_b32 s0, 0
.LBB50_305:                             ; =>This Inner Loop Header: Depth=1
	scratch_load_b64 v[119:120], v117, off
	v_dual_mov_b32 v121, s5 :: v_dual_add_nc_u32 v118, -1, v118
	v_add_nc_u32_e32 v117, 8, v117
	s_add_i32 s5, s5, 8
	ds_load_b64 v[121:122], v121
	v_cmp_eq_u32_e32 vcc_lo, 0, v118
	s_or_b32 s0, vcc_lo, s0
	s_waitcnt vmcnt(0) lgkmcnt(0)
	v_fma_f64 v[103:104], v[119:120], v[121:122], v[103:104]
	s_and_not1_b32 exec_lo, exec_lo, s0
	s_cbranch_execnz .LBB50_305
; %bb.306:
	s_or_b32 exec_lo, exec_lo, s0
.LBB50_307:
	s_delay_alu instid0(SALU_CYCLE_1)
	s_or_b32 exec_lo, exec_lo, s4
	v_mov_b32_e32 v117, 0
	ds_load_b64 v[117:118], v117 offset:152
	s_waitcnt lgkmcnt(0)
	v_mul_f64 v[103:104], v[103:104], v[117:118]
	scratch_store_b64 off, v[103:104], off offset:152
.LBB50_308:
	s_or_b32 exec_lo, exec_lo, s2
	scratch_load_b64 v[103:104], off, off offset:144
	v_cmp_lt_u32_e64 s0, 18, v0
	s_waitcnt vmcnt(0)
	ds_store_b64 v106, v[103:104]
	s_waitcnt lgkmcnt(0)
	s_waitcnt_vscnt null, 0x0
	s_barrier
	buffer_gl0_inv
	s_and_saveexec_b32 s2, s0
	s_cbranch_execz .LBB50_318
; %bb.309:
	s_and_not1_b32 vcc_lo, exec_lo, s3
	s_cbranch_vccnz .LBB50_311
; %bb.310:
	scratch_load_b64 v[103:104], v107, off
	ds_load_b64 v[117:118], v106
	s_waitcnt vmcnt(0) lgkmcnt(0)
	v_mul_f64 v[103:104], v[103:104], v[117:118]
	s_cbranch_execz .LBB50_312
	s_branch .LBB50_313
.LBB50_311:
                                        ; implicit-def: $vgpr103_vgpr104
.LBB50_312:
	ds_load_b64 v[103:104], v106
.LBB50_313:
	s_and_saveexec_b32 s4, s1
	s_cbranch_execz .LBB50_317
; %bb.314:
	v_mov_b32_e32 v117, 0
	v_subrev_nc_u32_e32 v118, 19, v0
	s_movk_i32 s5, 0x238
	s_mov_b32 s1, 0
	s_delay_alu instid0(VALU_DEP_2)
	v_add_nc_u32_e32 v117, 0x98, v117
.LBB50_315:                             ; =>This Inner Loop Header: Depth=1
	scratch_load_b64 v[119:120], v117, off
	v_dual_mov_b32 v121, s5 :: v_dual_add_nc_u32 v118, -1, v118
	v_add_nc_u32_e32 v117, 8, v117
	s_add_i32 s5, s5, 8
	ds_load_b64 v[121:122], v121
	v_cmp_eq_u32_e32 vcc_lo, 0, v118
	s_or_b32 s1, vcc_lo, s1
	s_waitcnt vmcnt(0) lgkmcnt(0)
	v_fma_f64 v[103:104], v[119:120], v[121:122], v[103:104]
	s_and_not1_b32 exec_lo, exec_lo, s1
	s_cbranch_execnz .LBB50_315
; %bb.316:
	s_or_b32 exec_lo, exec_lo, s1
.LBB50_317:
	s_delay_alu instid0(SALU_CYCLE_1)
	s_or_b32 exec_lo, exec_lo, s4
	v_mov_b32_e32 v117, 0
	ds_load_b64 v[117:118], v117 offset:144
	s_waitcnt lgkmcnt(0)
	v_mul_f64 v[103:104], v[103:104], v[117:118]
	scratch_store_b64 off, v[103:104], off offset:144
.LBB50_318:
	s_or_b32 exec_lo, exec_lo, s2
	scratch_load_b64 v[103:104], off, off offset:136
	v_cmp_lt_u32_e64 s1, 17, v0
	s_waitcnt vmcnt(0)
	ds_store_b64 v106, v[103:104]
	s_waitcnt lgkmcnt(0)
	s_waitcnt_vscnt null, 0x0
	s_barrier
	buffer_gl0_inv
	s_and_saveexec_b32 s2, s1
	s_cbranch_execz .LBB50_328
; %bb.319:
	s_and_not1_b32 vcc_lo, exec_lo, s3
	s_cbranch_vccnz .LBB50_321
; %bb.320:
	scratch_load_b64 v[103:104], v107, off
	ds_load_b64 v[117:118], v106
	s_waitcnt vmcnt(0) lgkmcnt(0)
	v_mul_f64 v[103:104], v[103:104], v[117:118]
	s_cbranch_execz .LBB50_322
	s_branch .LBB50_323
.LBB50_321:
                                        ; implicit-def: $vgpr103_vgpr104
.LBB50_322:
	ds_load_b64 v[103:104], v106
.LBB50_323:
	s_and_saveexec_b32 s4, s0
	s_cbranch_execz .LBB50_327
; %bb.324:
	v_subrev_nc_u32_e32 v117, 18, v0
	s_movk_i32 s5, 0x230
	s_mov_b32 s0, 0
.LBB50_325:                             ; =>This Inner Loop Header: Depth=1
	scratch_load_b64 v[118:119], v116, off
	v_dual_mov_b32 v120, s5 :: v_dual_add_nc_u32 v117, -1, v117
	v_add_nc_u32_e32 v116, 8, v116
	s_add_i32 s5, s5, 8
	ds_load_b64 v[120:121], v120
	v_cmp_eq_u32_e32 vcc_lo, 0, v117
	s_or_b32 s0, vcc_lo, s0
	s_waitcnt vmcnt(0) lgkmcnt(0)
	v_fma_f64 v[103:104], v[118:119], v[120:121], v[103:104]
	s_and_not1_b32 exec_lo, exec_lo, s0
	s_cbranch_execnz .LBB50_325
; %bb.326:
	s_or_b32 exec_lo, exec_lo, s0
.LBB50_327:
	s_delay_alu instid0(SALU_CYCLE_1)
	s_or_b32 exec_lo, exec_lo, s4
	v_mov_b32_e32 v116, 0
	ds_load_b64 v[116:117], v116 offset:136
	s_waitcnt lgkmcnt(0)
	v_mul_f64 v[103:104], v[103:104], v[116:117]
	scratch_store_b64 off, v[103:104], off offset:136
.LBB50_328:
	s_or_b32 exec_lo, exec_lo, s2
	scratch_load_b64 v[103:104], off, off offset:128
	v_cmp_lt_u32_e64 s0, 16, v0
	s_waitcnt vmcnt(0)
	ds_store_b64 v106, v[103:104]
	s_waitcnt lgkmcnt(0)
	s_waitcnt_vscnt null, 0x0
	s_barrier
	buffer_gl0_inv
	s_and_saveexec_b32 s2, s0
	s_cbranch_execz .LBB50_338
; %bb.329:
	s_and_not1_b32 vcc_lo, exec_lo, s3
	s_cbranch_vccnz .LBB50_331
; %bb.330:
	scratch_load_b64 v[103:104], v107, off
	ds_load_b64 v[116:117], v106
	s_waitcnt vmcnt(0) lgkmcnt(0)
	v_mul_f64 v[103:104], v[103:104], v[116:117]
	s_cbranch_execz .LBB50_332
	s_branch .LBB50_333
.LBB50_331:
                                        ; implicit-def: $vgpr103_vgpr104
.LBB50_332:
	ds_load_b64 v[103:104], v106
.LBB50_333:
	s_and_saveexec_b32 s4, s1
	s_cbranch_execz .LBB50_337
; %bb.334:
	v_mov_b32_e32 v116, 0
	v_subrev_nc_u32_e32 v117, 17, v0
	s_movk_i32 s5, 0x228
	s_mov_b32 s1, 0
	s_delay_alu instid0(VALU_DEP_2)
	v_add_nc_u32_e32 v116, 0x88, v116
.LBB50_335:                             ; =>This Inner Loop Header: Depth=1
	scratch_load_b64 v[118:119], v116, off
	v_dual_mov_b32 v120, s5 :: v_dual_add_nc_u32 v117, -1, v117
	v_add_nc_u32_e32 v116, 8, v116
	s_add_i32 s5, s5, 8
	ds_load_b64 v[120:121], v120
	v_cmp_eq_u32_e32 vcc_lo, 0, v117
	s_or_b32 s1, vcc_lo, s1
	s_waitcnt vmcnt(0) lgkmcnt(0)
	v_fma_f64 v[103:104], v[118:119], v[120:121], v[103:104]
	s_and_not1_b32 exec_lo, exec_lo, s1
	s_cbranch_execnz .LBB50_335
; %bb.336:
	s_or_b32 exec_lo, exec_lo, s1
.LBB50_337:
	s_delay_alu instid0(SALU_CYCLE_1)
	s_or_b32 exec_lo, exec_lo, s4
	v_mov_b32_e32 v116, 0
	ds_load_b64 v[116:117], v116 offset:128
	s_waitcnt lgkmcnt(0)
	v_mul_f64 v[103:104], v[103:104], v[116:117]
	scratch_store_b64 off, v[103:104], off offset:128
.LBB50_338:
	s_or_b32 exec_lo, exec_lo, s2
	scratch_load_b64 v[103:104], off, off offset:120
	v_cmp_lt_u32_e64 s1, 15, v0
	s_waitcnt vmcnt(0)
	ds_store_b64 v106, v[103:104]
	s_waitcnt lgkmcnt(0)
	s_waitcnt_vscnt null, 0x0
	s_barrier
	buffer_gl0_inv
	s_and_saveexec_b32 s2, s1
	s_cbranch_execz .LBB50_348
; %bb.339:
	s_and_not1_b32 vcc_lo, exec_lo, s3
	s_cbranch_vccnz .LBB50_341
; %bb.340:
	scratch_load_b64 v[103:104], v107, off
	ds_load_b64 v[116:117], v106
	s_waitcnt vmcnt(0) lgkmcnt(0)
	v_mul_f64 v[103:104], v[103:104], v[116:117]
	s_cbranch_execz .LBB50_342
	s_branch .LBB50_343
.LBB50_341:
                                        ; implicit-def: $vgpr103_vgpr104
.LBB50_342:
	ds_load_b64 v[103:104], v106
.LBB50_343:
	s_and_saveexec_b32 s4, s0
	s_cbranch_execz .LBB50_347
; %bb.344:
	v_add_nc_u32_e32 v116, -16, v0
	s_movk_i32 s5, 0x220
	s_mov_b32 s0, 0
.LBB50_345:                             ; =>This Inner Loop Header: Depth=1
	scratch_load_b64 v[117:118], v115, off
	v_dual_mov_b32 v119, s5 :: v_dual_add_nc_u32 v116, -1, v116
	v_add_nc_u32_e32 v115, 8, v115
	s_add_i32 s5, s5, 8
	ds_load_b64 v[119:120], v119
	v_cmp_eq_u32_e32 vcc_lo, 0, v116
	s_or_b32 s0, vcc_lo, s0
	s_waitcnt vmcnt(0) lgkmcnt(0)
	v_fma_f64 v[103:104], v[117:118], v[119:120], v[103:104]
	s_and_not1_b32 exec_lo, exec_lo, s0
	s_cbranch_execnz .LBB50_345
; %bb.346:
	s_or_b32 exec_lo, exec_lo, s0
.LBB50_347:
	s_delay_alu instid0(SALU_CYCLE_1)
	s_or_b32 exec_lo, exec_lo, s4
	v_mov_b32_e32 v115, 0
	ds_load_b64 v[115:116], v115 offset:120
	s_waitcnt lgkmcnt(0)
	v_mul_f64 v[103:104], v[103:104], v[115:116]
	scratch_store_b64 off, v[103:104], off offset:120
.LBB50_348:
	s_or_b32 exec_lo, exec_lo, s2
	scratch_load_b64 v[103:104], off, off offset:112
	v_cmp_lt_u32_e64 s0, 14, v0
	s_waitcnt vmcnt(0)
	ds_store_b64 v106, v[103:104]
	s_waitcnt lgkmcnt(0)
	s_waitcnt_vscnt null, 0x0
	s_barrier
	buffer_gl0_inv
	s_and_saveexec_b32 s2, s0
	s_cbranch_execz .LBB50_358
; %bb.349:
	s_and_not1_b32 vcc_lo, exec_lo, s3
	s_cbranch_vccnz .LBB50_351
; %bb.350:
	scratch_load_b64 v[103:104], v107, off
	ds_load_b64 v[115:116], v106
	s_waitcnt vmcnt(0) lgkmcnt(0)
	v_mul_f64 v[103:104], v[103:104], v[115:116]
	s_cbranch_execz .LBB50_352
	s_branch .LBB50_353
.LBB50_351:
                                        ; implicit-def: $vgpr103_vgpr104
.LBB50_352:
	ds_load_b64 v[103:104], v106
.LBB50_353:
	s_and_saveexec_b32 s4, s1
	s_cbranch_execz .LBB50_357
; %bb.354:
	v_dual_mov_b32 v115, 0 :: v_dual_add_nc_u32 v116, -15, v0
	s_movk_i32 s5, 0x218
	s_mov_b32 s1, 0
	s_delay_alu instid0(VALU_DEP_1)
	v_add_nc_u32_e32 v115, 0x78, v115
.LBB50_355:                             ; =>This Inner Loop Header: Depth=1
	scratch_load_b64 v[117:118], v115, off
	v_dual_mov_b32 v119, s5 :: v_dual_add_nc_u32 v116, -1, v116
	v_add_nc_u32_e32 v115, 8, v115
	s_add_i32 s5, s5, 8
	ds_load_b64 v[119:120], v119
	v_cmp_eq_u32_e32 vcc_lo, 0, v116
	s_or_b32 s1, vcc_lo, s1
	s_waitcnt vmcnt(0) lgkmcnt(0)
	v_fma_f64 v[103:104], v[117:118], v[119:120], v[103:104]
	s_and_not1_b32 exec_lo, exec_lo, s1
	s_cbranch_execnz .LBB50_355
; %bb.356:
	s_or_b32 exec_lo, exec_lo, s1
.LBB50_357:
	s_delay_alu instid0(SALU_CYCLE_1)
	s_or_b32 exec_lo, exec_lo, s4
	v_mov_b32_e32 v115, 0
	ds_load_b64 v[115:116], v115 offset:112
	s_waitcnt lgkmcnt(0)
	v_mul_f64 v[103:104], v[103:104], v[115:116]
	scratch_store_b64 off, v[103:104], off offset:112
.LBB50_358:
	s_or_b32 exec_lo, exec_lo, s2
	scratch_load_b64 v[103:104], off, off offset:104
	v_cmp_lt_u32_e64 s1, 13, v0
	s_waitcnt vmcnt(0)
	ds_store_b64 v106, v[103:104]
	s_waitcnt lgkmcnt(0)
	s_waitcnt_vscnt null, 0x0
	s_barrier
	buffer_gl0_inv
	s_and_saveexec_b32 s2, s1
	s_cbranch_execz .LBB50_368
; %bb.359:
	s_and_not1_b32 vcc_lo, exec_lo, s3
	s_cbranch_vccnz .LBB50_361
; %bb.360:
	scratch_load_b64 v[103:104], v107, off
	ds_load_b64 v[115:116], v106
	s_waitcnt vmcnt(0) lgkmcnt(0)
	v_mul_f64 v[103:104], v[103:104], v[115:116]
	s_cbranch_execz .LBB50_362
	s_branch .LBB50_363
.LBB50_361:
                                        ; implicit-def: $vgpr103_vgpr104
.LBB50_362:
	ds_load_b64 v[103:104], v106
.LBB50_363:
	s_and_saveexec_b32 s4, s0
	s_cbranch_execz .LBB50_367
; %bb.364:
	v_add_nc_u32_e32 v115, -14, v0
	s_movk_i32 s5, 0x210
	s_mov_b32 s0, 0
.LBB50_365:                             ; =>This Inner Loop Header: Depth=1
	scratch_load_b64 v[116:117], v114, off
	v_dual_mov_b32 v118, s5 :: v_dual_add_nc_u32 v115, -1, v115
	v_add_nc_u32_e32 v114, 8, v114
	s_add_i32 s5, s5, 8
	ds_load_b64 v[118:119], v118
	v_cmp_eq_u32_e32 vcc_lo, 0, v115
	s_or_b32 s0, vcc_lo, s0
	s_waitcnt vmcnt(0) lgkmcnt(0)
	v_fma_f64 v[103:104], v[116:117], v[118:119], v[103:104]
	s_and_not1_b32 exec_lo, exec_lo, s0
	s_cbranch_execnz .LBB50_365
; %bb.366:
	s_or_b32 exec_lo, exec_lo, s0
.LBB50_367:
	s_delay_alu instid0(SALU_CYCLE_1)
	s_or_b32 exec_lo, exec_lo, s4
	v_mov_b32_e32 v114, 0
	ds_load_b64 v[114:115], v114 offset:104
	s_waitcnt lgkmcnt(0)
	v_mul_f64 v[103:104], v[103:104], v[114:115]
	scratch_store_b64 off, v[103:104], off offset:104
.LBB50_368:
	s_or_b32 exec_lo, exec_lo, s2
	scratch_load_b64 v[103:104], off, off offset:96
	v_cmp_lt_u32_e64 s0, 12, v0
	s_waitcnt vmcnt(0)
	ds_store_b64 v106, v[103:104]
	s_waitcnt lgkmcnt(0)
	s_waitcnt_vscnt null, 0x0
	s_barrier
	buffer_gl0_inv
	s_and_saveexec_b32 s2, s0
	s_cbranch_execz .LBB50_378
; %bb.369:
	s_and_not1_b32 vcc_lo, exec_lo, s3
	s_cbranch_vccnz .LBB50_371
; %bb.370:
	scratch_load_b64 v[103:104], v107, off
	ds_load_b64 v[114:115], v106
	s_waitcnt vmcnt(0) lgkmcnt(0)
	v_mul_f64 v[103:104], v[103:104], v[114:115]
	s_cbranch_execz .LBB50_372
	s_branch .LBB50_373
.LBB50_371:
                                        ; implicit-def: $vgpr103_vgpr104
.LBB50_372:
	ds_load_b64 v[103:104], v106
.LBB50_373:
	s_and_saveexec_b32 s4, s1
	s_cbranch_execz .LBB50_377
; %bb.374:
	v_dual_mov_b32 v114, 0 :: v_dual_add_nc_u32 v115, -13, v0
	s_movk_i32 s5, 0x208
	s_mov_b32 s1, 0
	s_delay_alu instid0(VALU_DEP_1)
	v_add_nc_u32_e32 v114, 0x68, v114
.LBB50_375:                             ; =>This Inner Loop Header: Depth=1
	scratch_load_b64 v[116:117], v114, off
	v_dual_mov_b32 v118, s5 :: v_dual_add_nc_u32 v115, -1, v115
	v_add_nc_u32_e32 v114, 8, v114
	s_add_i32 s5, s5, 8
	ds_load_b64 v[118:119], v118
	v_cmp_eq_u32_e32 vcc_lo, 0, v115
	s_or_b32 s1, vcc_lo, s1
	s_waitcnt vmcnt(0) lgkmcnt(0)
	v_fma_f64 v[103:104], v[116:117], v[118:119], v[103:104]
	s_and_not1_b32 exec_lo, exec_lo, s1
	s_cbranch_execnz .LBB50_375
; %bb.376:
	s_or_b32 exec_lo, exec_lo, s1
.LBB50_377:
	s_delay_alu instid0(SALU_CYCLE_1)
	s_or_b32 exec_lo, exec_lo, s4
	v_mov_b32_e32 v114, 0
	ds_load_b64 v[114:115], v114 offset:96
	s_waitcnt lgkmcnt(0)
	v_mul_f64 v[103:104], v[103:104], v[114:115]
	scratch_store_b64 off, v[103:104], off offset:96
.LBB50_378:
	s_or_b32 exec_lo, exec_lo, s2
	scratch_load_b64 v[103:104], off, off offset:88
	v_cmp_lt_u32_e64 s1, 11, v0
	s_waitcnt vmcnt(0)
	ds_store_b64 v106, v[103:104]
	s_waitcnt lgkmcnt(0)
	s_waitcnt_vscnt null, 0x0
	s_barrier
	buffer_gl0_inv
	s_and_saveexec_b32 s2, s1
	s_cbranch_execz .LBB50_388
; %bb.379:
	s_and_not1_b32 vcc_lo, exec_lo, s3
	s_cbranch_vccnz .LBB50_381
; %bb.380:
	scratch_load_b64 v[103:104], v107, off
	ds_load_b64 v[114:115], v106
	s_waitcnt vmcnt(0) lgkmcnt(0)
	v_mul_f64 v[103:104], v[103:104], v[114:115]
	s_cbranch_execz .LBB50_382
	s_branch .LBB50_383
.LBB50_381:
                                        ; implicit-def: $vgpr103_vgpr104
.LBB50_382:
	ds_load_b64 v[103:104], v106
.LBB50_383:
	s_and_saveexec_b32 s4, s0
	s_cbranch_execz .LBB50_387
; %bb.384:
	v_add_nc_u32_e32 v114, -12, v0
	s_movk_i32 s5, 0x200
	s_mov_b32 s0, 0
.LBB50_385:                             ; =>This Inner Loop Header: Depth=1
	scratch_load_b64 v[115:116], v113, off
	v_dual_mov_b32 v117, s5 :: v_dual_add_nc_u32 v114, -1, v114
	v_add_nc_u32_e32 v113, 8, v113
	s_add_i32 s5, s5, 8
	ds_load_b64 v[117:118], v117
	v_cmp_eq_u32_e32 vcc_lo, 0, v114
	s_or_b32 s0, vcc_lo, s0
	s_waitcnt vmcnt(0) lgkmcnt(0)
	v_fma_f64 v[103:104], v[115:116], v[117:118], v[103:104]
	s_and_not1_b32 exec_lo, exec_lo, s0
	s_cbranch_execnz .LBB50_385
; %bb.386:
	s_or_b32 exec_lo, exec_lo, s0
.LBB50_387:
	s_delay_alu instid0(SALU_CYCLE_1)
	s_or_b32 exec_lo, exec_lo, s4
	v_mov_b32_e32 v113, 0
	ds_load_b64 v[113:114], v113 offset:88
	s_waitcnt lgkmcnt(0)
	v_mul_f64 v[103:104], v[103:104], v[113:114]
	scratch_store_b64 off, v[103:104], off offset:88
.LBB50_388:
	s_or_b32 exec_lo, exec_lo, s2
	scratch_load_b64 v[103:104], off, off offset:80
	v_cmp_lt_u32_e64 s0, 10, v0
	s_waitcnt vmcnt(0)
	ds_store_b64 v106, v[103:104]
	s_waitcnt lgkmcnt(0)
	s_waitcnt_vscnt null, 0x0
	s_barrier
	buffer_gl0_inv
	s_and_saveexec_b32 s2, s0
	s_cbranch_execz .LBB50_398
; %bb.389:
	s_and_not1_b32 vcc_lo, exec_lo, s3
	s_cbranch_vccnz .LBB50_391
; %bb.390:
	scratch_load_b64 v[103:104], v107, off
	ds_load_b64 v[113:114], v106
	s_waitcnt vmcnt(0) lgkmcnt(0)
	v_mul_f64 v[103:104], v[103:104], v[113:114]
	s_cbranch_execz .LBB50_392
	s_branch .LBB50_393
.LBB50_391:
                                        ; implicit-def: $vgpr103_vgpr104
.LBB50_392:
	ds_load_b64 v[103:104], v106
.LBB50_393:
	s_and_saveexec_b32 s4, s1
	s_cbranch_execz .LBB50_397
; %bb.394:
	v_dual_mov_b32 v113, 0 :: v_dual_add_nc_u32 v114, -11, v0
	s_movk_i32 s5, 0x1f8
	s_mov_b32 s1, 0
	s_delay_alu instid0(VALU_DEP_1)
	v_add_nc_u32_e32 v113, 0x58, v113
.LBB50_395:                             ; =>This Inner Loop Header: Depth=1
	scratch_load_b64 v[115:116], v113, off
	v_dual_mov_b32 v117, s5 :: v_dual_add_nc_u32 v114, -1, v114
	v_add_nc_u32_e32 v113, 8, v113
	s_add_i32 s5, s5, 8
	ds_load_b64 v[117:118], v117
	v_cmp_eq_u32_e32 vcc_lo, 0, v114
	s_or_b32 s1, vcc_lo, s1
	s_waitcnt vmcnt(0) lgkmcnt(0)
	v_fma_f64 v[103:104], v[115:116], v[117:118], v[103:104]
	s_and_not1_b32 exec_lo, exec_lo, s1
	s_cbranch_execnz .LBB50_395
; %bb.396:
	s_or_b32 exec_lo, exec_lo, s1
.LBB50_397:
	s_delay_alu instid0(SALU_CYCLE_1)
	s_or_b32 exec_lo, exec_lo, s4
	v_mov_b32_e32 v113, 0
	ds_load_b64 v[113:114], v113 offset:80
	s_waitcnt lgkmcnt(0)
	v_mul_f64 v[103:104], v[103:104], v[113:114]
	scratch_store_b64 off, v[103:104], off offset:80
.LBB50_398:
	s_or_b32 exec_lo, exec_lo, s2
	scratch_load_b64 v[103:104], off, off offset:72
	v_cmp_lt_u32_e64 s1, 9, v0
	s_waitcnt vmcnt(0)
	ds_store_b64 v106, v[103:104]
	s_waitcnt lgkmcnt(0)
	s_waitcnt_vscnt null, 0x0
	s_barrier
	buffer_gl0_inv
	s_and_saveexec_b32 s2, s1
	s_cbranch_execz .LBB50_408
; %bb.399:
	s_and_not1_b32 vcc_lo, exec_lo, s3
	s_cbranch_vccnz .LBB50_401
; %bb.400:
	scratch_load_b64 v[103:104], v107, off
	ds_load_b64 v[113:114], v106
	s_waitcnt vmcnt(0) lgkmcnt(0)
	v_mul_f64 v[103:104], v[103:104], v[113:114]
	s_cbranch_execz .LBB50_402
	s_branch .LBB50_403
.LBB50_401:
                                        ; implicit-def: $vgpr103_vgpr104
.LBB50_402:
	ds_load_b64 v[103:104], v106
.LBB50_403:
	s_and_saveexec_b32 s4, s0
	s_cbranch_execz .LBB50_407
; %bb.404:
	v_add_nc_u32_e32 v113, -10, v0
	s_movk_i32 s5, 0x1f0
	s_mov_b32 s0, 0
.LBB50_405:                             ; =>This Inner Loop Header: Depth=1
	scratch_load_b64 v[114:115], v112, off
	v_dual_mov_b32 v116, s5 :: v_dual_add_nc_u32 v113, -1, v113
	v_add_nc_u32_e32 v112, 8, v112
	s_add_i32 s5, s5, 8
	ds_load_b64 v[116:117], v116
	v_cmp_eq_u32_e32 vcc_lo, 0, v113
	s_or_b32 s0, vcc_lo, s0
	s_waitcnt vmcnt(0) lgkmcnt(0)
	v_fma_f64 v[103:104], v[114:115], v[116:117], v[103:104]
	s_and_not1_b32 exec_lo, exec_lo, s0
	s_cbranch_execnz .LBB50_405
; %bb.406:
	s_or_b32 exec_lo, exec_lo, s0
.LBB50_407:
	s_delay_alu instid0(SALU_CYCLE_1)
	s_or_b32 exec_lo, exec_lo, s4
	v_mov_b32_e32 v112, 0
	ds_load_b64 v[112:113], v112 offset:72
	s_waitcnt lgkmcnt(0)
	v_mul_f64 v[103:104], v[103:104], v[112:113]
	scratch_store_b64 off, v[103:104], off offset:72
.LBB50_408:
	s_or_b32 exec_lo, exec_lo, s2
	scratch_load_b64 v[103:104], off, off offset:64
	v_cmp_lt_u32_e64 s0, 8, v0
	s_waitcnt vmcnt(0)
	ds_store_b64 v106, v[103:104]
	s_waitcnt lgkmcnt(0)
	s_waitcnt_vscnt null, 0x0
	s_barrier
	buffer_gl0_inv
	s_and_saveexec_b32 s2, s0
	s_cbranch_execz .LBB50_418
; %bb.409:
	s_and_not1_b32 vcc_lo, exec_lo, s3
	s_cbranch_vccnz .LBB50_411
; %bb.410:
	scratch_load_b64 v[103:104], v107, off
	ds_load_b64 v[112:113], v106
	s_waitcnt vmcnt(0) lgkmcnt(0)
	v_mul_f64 v[103:104], v[103:104], v[112:113]
	s_cbranch_execz .LBB50_412
	s_branch .LBB50_413
.LBB50_411:
                                        ; implicit-def: $vgpr103_vgpr104
.LBB50_412:
	ds_load_b64 v[103:104], v106
.LBB50_413:
	s_and_saveexec_b32 s4, s1
	s_cbranch_execz .LBB50_417
; %bb.414:
	v_dual_mov_b32 v112, 0 :: v_dual_add_nc_u32 v113, -9, v0
	s_movk_i32 s5, 0x1e8
	s_mov_b32 s1, 0
	s_delay_alu instid0(VALU_DEP_1)
	v_add_nc_u32_e32 v112, 0x48, v112
.LBB50_415:                             ; =>This Inner Loop Header: Depth=1
	scratch_load_b64 v[114:115], v112, off
	v_dual_mov_b32 v116, s5 :: v_dual_add_nc_u32 v113, -1, v113
	v_add_nc_u32_e32 v112, 8, v112
	s_add_i32 s5, s5, 8
	ds_load_b64 v[116:117], v116
	v_cmp_eq_u32_e32 vcc_lo, 0, v113
	s_or_b32 s1, vcc_lo, s1
	s_waitcnt vmcnt(0) lgkmcnt(0)
	v_fma_f64 v[103:104], v[114:115], v[116:117], v[103:104]
	s_and_not1_b32 exec_lo, exec_lo, s1
	s_cbranch_execnz .LBB50_415
; %bb.416:
	s_or_b32 exec_lo, exec_lo, s1
.LBB50_417:
	s_delay_alu instid0(SALU_CYCLE_1)
	s_or_b32 exec_lo, exec_lo, s4
	v_mov_b32_e32 v112, 0
	ds_load_b64 v[112:113], v112 offset:64
	s_waitcnt lgkmcnt(0)
	v_mul_f64 v[103:104], v[103:104], v[112:113]
	scratch_store_b64 off, v[103:104], off offset:64
.LBB50_418:
	s_or_b32 exec_lo, exec_lo, s2
	scratch_load_b64 v[103:104], off, off offset:56
	v_cmp_lt_u32_e64 s1, 7, v0
	s_waitcnt vmcnt(0)
	ds_store_b64 v106, v[103:104]
	s_waitcnt lgkmcnt(0)
	s_waitcnt_vscnt null, 0x0
	s_barrier
	buffer_gl0_inv
	s_and_saveexec_b32 s2, s1
	s_cbranch_execz .LBB50_428
; %bb.419:
	s_and_not1_b32 vcc_lo, exec_lo, s3
	s_cbranch_vccnz .LBB50_421
; %bb.420:
	scratch_load_b64 v[103:104], v107, off
	ds_load_b64 v[112:113], v106
	s_waitcnt vmcnt(0) lgkmcnt(0)
	v_mul_f64 v[103:104], v[103:104], v[112:113]
	s_cbranch_execz .LBB50_422
	s_branch .LBB50_423
.LBB50_421:
                                        ; implicit-def: $vgpr103_vgpr104
.LBB50_422:
	ds_load_b64 v[103:104], v106
.LBB50_423:
	s_and_saveexec_b32 s4, s0
	s_cbranch_execz .LBB50_427
; %bb.424:
	v_add_nc_u32_e32 v112, -8, v0
	s_movk_i32 s5, 0x1e0
	s_mov_b32 s0, 0
.LBB50_425:                             ; =>This Inner Loop Header: Depth=1
	scratch_load_b64 v[113:114], v111, off
	v_dual_mov_b32 v115, s5 :: v_dual_add_nc_u32 v112, -1, v112
	v_add_nc_u32_e32 v111, 8, v111
	s_add_i32 s5, s5, 8
	ds_load_b64 v[115:116], v115
	v_cmp_eq_u32_e32 vcc_lo, 0, v112
	s_or_b32 s0, vcc_lo, s0
	s_waitcnt vmcnt(0) lgkmcnt(0)
	v_fma_f64 v[103:104], v[113:114], v[115:116], v[103:104]
	s_and_not1_b32 exec_lo, exec_lo, s0
	s_cbranch_execnz .LBB50_425
; %bb.426:
	s_or_b32 exec_lo, exec_lo, s0
.LBB50_427:
	s_delay_alu instid0(SALU_CYCLE_1)
	s_or_b32 exec_lo, exec_lo, s4
	v_mov_b32_e32 v111, 0
	ds_load_b64 v[111:112], v111 offset:56
	s_waitcnt lgkmcnt(0)
	v_mul_f64 v[103:104], v[103:104], v[111:112]
	scratch_store_b64 off, v[103:104], off offset:56
.LBB50_428:
	s_or_b32 exec_lo, exec_lo, s2
	scratch_load_b64 v[103:104], off, off offset:48
	v_cmp_lt_u32_e64 s0, 6, v0
	s_waitcnt vmcnt(0)
	ds_store_b64 v106, v[103:104]
	s_waitcnt lgkmcnt(0)
	s_waitcnt_vscnt null, 0x0
	s_barrier
	buffer_gl0_inv
	s_and_saveexec_b32 s2, s0
	s_cbranch_execz .LBB50_438
; %bb.429:
	s_and_not1_b32 vcc_lo, exec_lo, s3
	s_cbranch_vccnz .LBB50_431
; %bb.430:
	scratch_load_b64 v[103:104], v107, off
	ds_load_b64 v[111:112], v106
	s_waitcnt vmcnt(0) lgkmcnt(0)
	v_mul_f64 v[103:104], v[103:104], v[111:112]
	s_cbranch_execz .LBB50_432
	s_branch .LBB50_433
.LBB50_431:
                                        ; implicit-def: $vgpr103_vgpr104
.LBB50_432:
	ds_load_b64 v[103:104], v106
.LBB50_433:
	s_and_saveexec_b32 s4, s1
	s_cbranch_execz .LBB50_437
; %bb.434:
	v_add_nc_u32_e64 v111, 0, 56
	v_add_nc_u32_e32 v112, -7, v0
	s_movk_i32 s5, 0x1d8
	s_mov_b32 s1, 0
.LBB50_435:                             ; =>This Inner Loop Header: Depth=1
	scratch_load_b64 v[113:114], v111, off
	v_dual_mov_b32 v115, s5 :: v_dual_add_nc_u32 v112, -1, v112
	v_add_nc_u32_e32 v111, 8, v111
	s_add_i32 s5, s5, 8
	ds_load_b64 v[115:116], v115
	v_cmp_eq_u32_e32 vcc_lo, 0, v112
	s_or_b32 s1, vcc_lo, s1
	s_waitcnt vmcnt(0) lgkmcnt(0)
	v_fma_f64 v[103:104], v[113:114], v[115:116], v[103:104]
	s_and_not1_b32 exec_lo, exec_lo, s1
	s_cbranch_execnz .LBB50_435
; %bb.436:
	s_or_b32 exec_lo, exec_lo, s1
.LBB50_437:
	s_delay_alu instid0(SALU_CYCLE_1)
	s_or_b32 exec_lo, exec_lo, s4
	v_mov_b32_e32 v111, 0
	ds_load_b64 v[111:112], v111 offset:48
	s_waitcnt lgkmcnt(0)
	v_mul_f64 v[103:104], v[103:104], v[111:112]
	scratch_store_b64 off, v[103:104], off offset:48
.LBB50_438:
	s_or_b32 exec_lo, exec_lo, s2
	scratch_load_b64 v[103:104], off, off offset:40
	v_cmp_lt_u32_e64 s1, 5, v0
	s_waitcnt vmcnt(0)
	ds_store_b64 v106, v[103:104]
	s_waitcnt lgkmcnt(0)
	s_waitcnt_vscnt null, 0x0
	s_barrier
	buffer_gl0_inv
	s_and_saveexec_b32 s2, s1
	s_cbranch_execz .LBB50_448
; %bb.439:
	s_and_not1_b32 vcc_lo, exec_lo, s3
	s_cbranch_vccnz .LBB50_441
; %bb.440:
	scratch_load_b64 v[103:104], v107, off
	ds_load_b64 v[111:112], v106
	s_waitcnt vmcnt(0) lgkmcnt(0)
	v_mul_f64 v[103:104], v[103:104], v[111:112]
	s_cbranch_execz .LBB50_442
	s_branch .LBB50_443
.LBB50_441:
                                        ; implicit-def: $vgpr103_vgpr104
.LBB50_442:
	ds_load_b64 v[103:104], v106
.LBB50_443:
	s_and_saveexec_b32 s4, s0
	s_cbranch_execz .LBB50_447
; %bb.444:
	v_add_nc_u32_e32 v111, -6, v0
	s_movk_i32 s5, 0x1d0
	s_mov_b32 s0, 0
.LBB50_445:                             ; =>This Inner Loop Header: Depth=1
	scratch_load_b64 v[112:113], v110, off
	v_dual_mov_b32 v114, s5 :: v_dual_add_nc_u32 v111, -1, v111
	v_add_nc_u32_e32 v110, 8, v110
	s_add_i32 s5, s5, 8
	ds_load_b64 v[114:115], v114
	v_cmp_eq_u32_e32 vcc_lo, 0, v111
	s_or_b32 s0, vcc_lo, s0
	s_waitcnt vmcnt(0) lgkmcnt(0)
	v_fma_f64 v[103:104], v[112:113], v[114:115], v[103:104]
	s_and_not1_b32 exec_lo, exec_lo, s0
	s_cbranch_execnz .LBB50_445
; %bb.446:
	s_or_b32 exec_lo, exec_lo, s0
.LBB50_447:
	s_delay_alu instid0(SALU_CYCLE_1)
	s_or_b32 exec_lo, exec_lo, s4
	v_mov_b32_e32 v110, 0
	ds_load_b64 v[110:111], v110 offset:40
	s_waitcnt lgkmcnt(0)
	v_mul_f64 v[103:104], v[103:104], v[110:111]
	scratch_store_b64 off, v[103:104], off offset:40
.LBB50_448:
	s_or_b32 exec_lo, exec_lo, s2
	scratch_load_b64 v[103:104], off, off offset:32
	v_cmp_lt_u32_e64 s0, 4, v0
	s_waitcnt vmcnt(0)
	ds_store_b64 v106, v[103:104]
	s_waitcnt lgkmcnt(0)
	s_waitcnt_vscnt null, 0x0
	s_barrier
	buffer_gl0_inv
	s_and_saveexec_b32 s2, s0
	s_cbranch_execz .LBB50_458
; %bb.449:
	s_and_not1_b32 vcc_lo, exec_lo, s3
	s_cbranch_vccnz .LBB50_451
; %bb.450:
	scratch_load_b64 v[103:104], v107, off
	ds_load_b64 v[110:111], v106
	s_waitcnt vmcnt(0) lgkmcnt(0)
	v_mul_f64 v[103:104], v[103:104], v[110:111]
	s_cbranch_execz .LBB50_452
	s_branch .LBB50_453
.LBB50_451:
                                        ; implicit-def: $vgpr103_vgpr104
.LBB50_452:
	ds_load_b64 v[103:104], v106
.LBB50_453:
	s_and_saveexec_b32 s4, s1
	s_cbranch_execz .LBB50_457
; %bb.454:
	v_add_nc_u32_e64 v110, 0, 40
	v_add_nc_u32_e32 v111, -5, v0
	s_movk_i32 s5, 0x1c8
	s_mov_b32 s1, 0
.LBB50_455:                             ; =>This Inner Loop Header: Depth=1
	scratch_load_b64 v[112:113], v110, off
	v_dual_mov_b32 v114, s5 :: v_dual_add_nc_u32 v111, -1, v111
	v_add_nc_u32_e32 v110, 8, v110
	s_add_i32 s5, s5, 8
	ds_load_b64 v[114:115], v114
	v_cmp_eq_u32_e32 vcc_lo, 0, v111
	s_or_b32 s1, vcc_lo, s1
	s_waitcnt vmcnt(0) lgkmcnt(0)
	v_fma_f64 v[103:104], v[112:113], v[114:115], v[103:104]
	s_and_not1_b32 exec_lo, exec_lo, s1
	s_cbranch_execnz .LBB50_455
; %bb.456:
	s_or_b32 exec_lo, exec_lo, s1
.LBB50_457:
	s_delay_alu instid0(SALU_CYCLE_1)
	s_or_b32 exec_lo, exec_lo, s4
	v_mov_b32_e32 v110, 0
	ds_load_b64 v[110:111], v110 offset:32
	s_waitcnt lgkmcnt(0)
	v_mul_f64 v[103:104], v[103:104], v[110:111]
	scratch_store_b64 off, v[103:104], off offset:32
.LBB50_458:
	s_or_b32 exec_lo, exec_lo, s2
	scratch_load_b64 v[103:104], off, off offset:24
	v_cmp_lt_u32_e64 s1, 3, v0
	s_waitcnt vmcnt(0)
	ds_store_b64 v106, v[103:104]
	s_waitcnt lgkmcnt(0)
	s_waitcnt_vscnt null, 0x0
	s_barrier
	buffer_gl0_inv
	s_and_saveexec_b32 s2, s1
	s_cbranch_execz .LBB50_468
; %bb.459:
	s_and_not1_b32 vcc_lo, exec_lo, s3
	s_cbranch_vccnz .LBB50_461
; %bb.460:
	scratch_load_b64 v[103:104], v107, off
	ds_load_b64 v[110:111], v106
	s_waitcnt vmcnt(0) lgkmcnt(0)
	v_mul_f64 v[103:104], v[103:104], v[110:111]
	s_cbranch_execz .LBB50_462
	s_branch .LBB50_463
.LBB50_461:
                                        ; implicit-def: $vgpr103_vgpr104
.LBB50_462:
	ds_load_b64 v[103:104], v106
.LBB50_463:
	s_and_saveexec_b32 s4, s0
	s_cbranch_execz .LBB50_467
; %bb.464:
	v_add_nc_u32_e32 v110, -4, v0
	s_movk_i32 s5, 0x1c0
	s_mov_b32 s0, 0
.LBB50_465:                             ; =>This Inner Loop Header: Depth=1
	scratch_load_b64 v[111:112], v109, off
	v_dual_mov_b32 v113, s5 :: v_dual_add_nc_u32 v110, -1, v110
	v_add_nc_u32_e32 v109, 8, v109
	s_add_i32 s5, s5, 8
	ds_load_b64 v[113:114], v113
	v_cmp_eq_u32_e32 vcc_lo, 0, v110
	s_or_b32 s0, vcc_lo, s0
	s_waitcnt vmcnt(0) lgkmcnt(0)
	v_fma_f64 v[103:104], v[111:112], v[113:114], v[103:104]
	s_and_not1_b32 exec_lo, exec_lo, s0
	s_cbranch_execnz .LBB50_465
; %bb.466:
	s_or_b32 exec_lo, exec_lo, s0
.LBB50_467:
	s_delay_alu instid0(SALU_CYCLE_1)
	s_or_b32 exec_lo, exec_lo, s4
	v_mov_b32_e32 v109, 0
	ds_load_b64 v[109:110], v109 offset:24
	s_waitcnt lgkmcnt(0)
	v_mul_f64 v[103:104], v[103:104], v[109:110]
	scratch_store_b64 off, v[103:104], off offset:24
.LBB50_468:
	s_or_b32 exec_lo, exec_lo, s2
	scratch_load_b64 v[103:104], off, off offset:16
	v_cmp_lt_u32_e64 s0, 2, v0
	s_waitcnt vmcnt(0)
	ds_store_b64 v106, v[103:104]
	s_waitcnt lgkmcnt(0)
	s_waitcnt_vscnt null, 0x0
	s_barrier
	buffer_gl0_inv
	s_and_saveexec_b32 s2, s0
	s_cbranch_execz .LBB50_478
; %bb.469:
	s_and_not1_b32 vcc_lo, exec_lo, s3
	s_cbranch_vccnz .LBB50_471
; %bb.470:
	scratch_load_b64 v[103:104], v107, off
	ds_load_b64 v[109:110], v106
	s_waitcnt vmcnt(0) lgkmcnt(0)
	v_mul_f64 v[103:104], v[103:104], v[109:110]
	s_cbranch_execz .LBB50_472
	s_branch .LBB50_473
.LBB50_471:
                                        ; implicit-def: $vgpr103_vgpr104
.LBB50_472:
	ds_load_b64 v[103:104], v106
.LBB50_473:
	s_and_saveexec_b32 s4, s1
	s_cbranch_execz .LBB50_477
; %bb.474:
	v_add_nc_u32_e64 v109, 0, 24
	v_add_nc_u32_e32 v110, -3, v0
	s_movk_i32 s5, 0x1b8
	s_mov_b32 s1, 0
.LBB50_475:                             ; =>This Inner Loop Header: Depth=1
	scratch_load_b64 v[111:112], v109, off
	v_dual_mov_b32 v113, s5 :: v_dual_add_nc_u32 v110, -1, v110
	v_add_nc_u32_e32 v109, 8, v109
	s_add_i32 s5, s5, 8
	ds_load_b64 v[113:114], v113
	v_cmp_eq_u32_e32 vcc_lo, 0, v110
	s_or_b32 s1, vcc_lo, s1
	s_waitcnt vmcnt(0) lgkmcnt(0)
	v_fma_f64 v[103:104], v[111:112], v[113:114], v[103:104]
	s_and_not1_b32 exec_lo, exec_lo, s1
	s_cbranch_execnz .LBB50_475
; %bb.476:
	s_or_b32 exec_lo, exec_lo, s1
.LBB50_477:
	s_delay_alu instid0(SALU_CYCLE_1)
	s_or_b32 exec_lo, exec_lo, s4
	v_mov_b32_e32 v109, 0
	ds_load_b64 v[109:110], v109 offset:16
	s_waitcnt lgkmcnt(0)
	v_mul_f64 v[103:104], v[103:104], v[109:110]
	scratch_store_b64 off, v[103:104], off offset:16
.LBB50_478:
	s_or_b32 exec_lo, exec_lo, s2
	scratch_load_b64 v[103:104], off, off offset:8
	v_cmp_lt_u32_e64 s1, 1, v0
	s_waitcnt vmcnt(0)
	ds_store_b64 v106, v[103:104]
	s_waitcnt lgkmcnt(0)
	s_waitcnt_vscnt null, 0x0
	s_barrier
	buffer_gl0_inv
	s_and_saveexec_b32 s2, s1
	s_cbranch_execz .LBB50_488
; %bb.479:
	s_and_not1_b32 vcc_lo, exec_lo, s3
	s_cbranch_vccnz .LBB50_481
; %bb.480:
	scratch_load_b64 v[103:104], v107, off
	ds_load_b64 v[109:110], v106
	s_waitcnt vmcnt(0) lgkmcnt(0)
	v_mul_f64 v[103:104], v[103:104], v[109:110]
	s_cbranch_execz .LBB50_482
	s_branch .LBB50_483
.LBB50_481:
                                        ; implicit-def: $vgpr103_vgpr104
.LBB50_482:
	ds_load_b64 v[103:104], v106
.LBB50_483:
	s_and_saveexec_b32 s4, s0
	s_cbranch_execz .LBB50_487
; %bb.484:
	v_add_nc_u32_e32 v109, -2, v0
	s_movk_i32 s5, 0x1b0
	s_mov_b32 s0, 0
.LBB50_485:                             ; =>This Inner Loop Header: Depth=1
	scratch_load_b64 v[110:111], v108, off
	v_dual_mov_b32 v112, s5 :: v_dual_add_nc_u32 v109, -1, v109
	v_add_nc_u32_e32 v108, 8, v108
	s_add_i32 s5, s5, 8
	ds_load_b64 v[112:113], v112
	v_cmp_eq_u32_e32 vcc_lo, 0, v109
	s_or_b32 s0, vcc_lo, s0
	s_waitcnt vmcnt(0) lgkmcnt(0)
	v_fma_f64 v[103:104], v[110:111], v[112:113], v[103:104]
	s_and_not1_b32 exec_lo, exec_lo, s0
	s_cbranch_execnz .LBB50_485
; %bb.486:
	s_or_b32 exec_lo, exec_lo, s0
.LBB50_487:
	s_delay_alu instid0(SALU_CYCLE_1)
	s_or_b32 exec_lo, exec_lo, s4
	v_mov_b32_e32 v108, 0
	ds_load_b64 v[108:109], v108 offset:8
	s_waitcnt lgkmcnt(0)
	v_mul_f64 v[103:104], v[103:104], v[108:109]
	scratch_store_b64 off, v[103:104], off offset:8
.LBB50_488:
	s_or_b32 exec_lo, exec_lo, s2
	scratch_load_b64 v[103:104], off, off
	s_mov_b32 s0, 0
	s_mov_b32 s2, exec_lo
	s_waitcnt vmcnt(0)
	ds_store_b64 v106, v[103:104]
	s_waitcnt lgkmcnt(0)
	s_waitcnt_vscnt null, 0x0
	s_barrier
	buffer_gl0_inv
	v_cmpx_ne_u32_e32 0, v0
	s_cbranch_execz .LBB50_498
; %bb.489:
	s_and_not1_b32 vcc_lo, exec_lo, s3
	s_cbranch_vccnz .LBB50_491
; %bb.490:
	scratch_load_b64 v[103:104], v107, off
	ds_load_b64 v[108:109], v106
	s_waitcnt vmcnt(0) lgkmcnt(0)
	v_mul_f64 v[103:104], v[103:104], v[108:109]
	s_cbranch_execz .LBB50_492
	s_branch .LBB50_493
.LBB50_491:
                                        ; implicit-def: $vgpr103_vgpr104
.LBB50_492:
	ds_load_b64 v[103:104], v106
.LBB50_493:
	s_and_saveexec_b32 s4, s1
	s_cbranch_execz .LBB50_497
; %bb.494:
	v_or_b32_e64 v108, 0, 8
	v_add_nc_u32_e32 v109, -1, v0
	s_movk_i32 s5, 0x1a8
	s_mov_b32 s1, 0
.LBB50_495:                             ; =>This Inner Loop Header: Depth=1
	scratch_load_b64 v[110:111], v108, off
	v_dual_mov_b32 v112, s5 :: v_dual_add_nc_u32 v109, -1, v109
	v_add_nc_u32_e32 v108, 8, v108
	s_add_i32 s5, s5, 8
	ds_load_b64 v[112:113], v112
	v_cmp_eq_u32_e32 vcc_lo, 0, v109
	s_or_b32 s1, vcc_lo, s1
	s_waitcnt vmcnt(0) lgkmcnt(0)
	v_fma_f64 v[103:104], v[110:111], v[112:113], v[103:104]
	s_and_not1_b32 exec_lo, exec_lo, s1
	s_cbranch_execnz .LBB50_495
; %bb.496:
	s_or_b32 exec_lo, exec_lo, s1
.LBB50_497:
	s_delay_alu instid0(SALU_CYCLE_1)
	s_or_b32 exec_lo, exec_lo, s4
	v_mov_b32_e32 v108, 0
	ds_load_b64 v[108:109], v108
	s_waitcnt lgkmcnt(0)
	v_mul_f64 v[103:104], v[103:104], v[108:109]
	scratch_store_b64 off, v[103:104], off
.LBB50_498:
	s_or_b32 exec_lo, exec_lo, s2
.LBB50_499:
	s_delay_alu instid0(SALU_CYCLE_1)
	s_and_b32 vcc_lo, exec_lo, s0
	s_cbranch_vccz .LBB50_995
; %bb.500:
	scratch_load_b64 v[103:104], off, off offset:8
	v_cmp_eq_u32_e64 s0, 0, v0
	s_waitcnt vmcnt(0)
	ds_store_b64 v106, v[103:104]
	s_waitcnt lgkmcnt(0)
	s_waitcnt_vscnt null, 0x0
	s_barrier
	buffer_gl0_inv
	s_and_saveexec_b32 s1, s0
	s_cbranch_execz .LBB50_506
; %bb.501:
	s_and_b32 vcc_lo, exec_lo, s3
	s_cbranch_vccz .LBB50_503
; %bb.502:
	scratch_load_b64 v[103:104], v107, off
	ds_load_b64 v[108:109], v106
	s_waitcnt vmcnt(0) lgkmcnt(0)
	v_mul_f64 v[103:104], v[103:104], v[108:109]
	s_cbranch_execz .LBB50_504
	s_branch .LBB50_505
.LBB50_503:
                                        ; implicit-def: $vgpr103_vgpr104
.LBB50_504:
	ds_load_b64 v[103:104], v106
.LBB50_505:
	v_mov_b32_e32 v108, 0
	ds_load_b64 v[108:109], v108 offset:8
	s_waitcnt lgkmcnt(0)
	v_mul_f64 v[103:104], v[103:104], v[108:109]
	scratch_store_b64 off, v[103:104], off offset:8
.LBB50_506:
	s_or_b32 exec_lo, exec_lo, s1
	scratch_load_b64 v[103:104], off, off offset:16
	v_cndmask_b32_e64 v108, 0, 1, s3
	s_mov_b32 s1, exec_lo
	s_waitcnt vmcnt(0)
	ds_store_b64 v106, v[103:104]
	s_waitcnt lgkmcnt(0)
	s_waitcnt_vscnt null, 0x0
	s_barrier
	buffer_gl0_inv
	v_cmpx_gt_u32_e32 2, v0
	s_cbranch_execz .LBB50_514
; %bb.507:
	s_and_not1_b32 vcc_lo, exec_lo, s3
	s_cbranch_vccnz .LBB50_509
; %bb.508:
	scratch_load_b64 v[103:104], v107, off
	ds_load_b64 v[109:110], v106
	s_waitcnt vmcnt(0) lgkmcnt(0)
	v_mul_f64 v[103:104], v[103:104], v[109:110]
	s_cbranch_execz .LBB50_510
	s_branch .LBB50_511
.LBB50_509:
                                        ; implicit-def: $vgpr103_vgpr104
.LBB50_510:
	ds_load_b64 v[103:104], v106
.LBB50_511:
	s_and_saveexec_b32 s2, s0
	s_cbranch_execz .LBB50_513
; %bb.512:
	scratch_load_b64 v[109:110], v107, off offset:8
	ds_load_b64 v[111:112], v106 offset:8
	s_waitcnt vmcnt(0) lgkmcnt(0)
	v_fma_f64 v[103:104], v[109:110], v[111:112], v[103:104]
.LBB50_513:
	s_or_b32 exec_lo, exec_lo, s2
	v_mov_b32_e32 v109, 0
	ds_load_b64 v[109:110], v109 offset:16
	s_waitcnt lgkmcnt(0)
	v_mul_f64 v[103:104], v[103:104], v[109:110]
	scratch_store_b64 off, v[103:104], off offset:16
.LBB50_514:
	s_or_b32 exec_lo, exec_lo, s1
	scratch_load_b64 v[103:104], off, off offset:24
	s_mov_b32 s1, exec_lo
	s_waitcnt vmcnt(0)
	ds_store_b64 v106, v[103:104]
	s_waitcnt lgkmcnt(0)
	s_waitcnt_vscnt null, 0x0
	s_barrier
	buffer_gl0_inv
	v_cmpx_gt_u32_e32 3, v0
	s_cbranch_execz .LBB50_524
; %bb.515:
	v_cmp_ne_u32_e32 vcc_lo, 1, v108
	s_cbranch_vccnz .LBB50_517
; %bb.516:
	scratch_load_b64 v[103:104], v107, off
	ds_load_b64 v[109:110], v106
	s_waitcnt vmcnt(0) lgkmcnt(0)
	v_mul_f64 v[103:104], v[103:104], v[109:110]
	s_cbranch_execz .LBB50_518
	s_branch .LBB50_519
.LBB50_517:
                                        ; implicit-def: $vgpr103_vgpr104
.LBB50_518:
	ds_load_b64 v[103:104], v106
.LBB50_519:
	s_mov_b32 s2, exec_lo
	v_cmpx_ne_u32_e32 2, v0
	s_cbranch_execz .LBB50_523
; %bb.520:
	scratch_load_b64 v[109:110], v107, off offset:8
	ds_load_b64 v[111:112], v106 offset:8
	s_waitcnt vmcnt(0) lgkmcnt(0)
	v_fma_f64 v[103:104], v[109:110], v[111:112], v[103:104]
	s_and_saveexec_b32 s3, s0
	s_cbranch_execz .LBB50_522
; %bb.521:
	scratch_load_b64 v[109:110], off, off offset:16
	v_mov_b32_e32 v111, 0
	ds_load_b64 v[111:112], v111 offset:432
	s_waitcnt vmcnt(0) lgkmcnt(0)
	v_fma_f64 v[103:104], v[109:110], v[111:112], v[103:104]
.LBB50_522:
	s_or_b32 exec_lo, exec_lo, s3
.LBB50_523:
	s_delay_alu instid0(SALU_CYCLE_1)
	s_or_b32 exec_lo, exec_lo, s2
	v_mov_b32_e32 v109, 0
	ds_load_b64 v[109:110], v109 offset:24
	s_waitcnt lgkmcnt(0)
	v_mul_f64 v[103:104], v[103:104], v[109:110]
	scratch_store_b64 off, v[103:104], off offset:24
.LBB50_524:
	s_or_b32 exec_lo, exec_lo, s1
	scratch_load_b64 v[103:104], off, off offset:32
	s_mov_b32 s0, exec_lo
	s_waitcnt vmcnt(0)
	ds_store_b64 v106, v[103:104]
	s_waitcnt lgkmcnt(0)
	s_waitcnt_vscnt null, 0x0
	s_barrier
	buffer_gl0_inv
	v_cmpx_gt_u32_e32 4, v0
	s_cbranch_execz .LBB50_534
; %bb.525:
	v_cmp_ne_u32_e32 vcc_lo, 1, v108
	s_cbranch_vccnz .LBB50_527
; %bb.526:
	scratch_load_b64 v[103:104], v107, off
	ds_load_b64 v[109:110], v106
	s_waitcnt vmcnt(0) lgkmcnt(0)
	v_mul_f64 v[103:104], v[103:104], v[109:110]
	s_cbranch_execz .LBB50_528
	s_branch .LBB50_529
.LBB50_527:
                                        ; implicit-def: $vgpr103_vgpr104
.LBB50_528:
	ds_load_b64 v[103:104], v106
.LBB50_529:
	s_mov_b32 s1, exec_lo
	v_cmpx_ne_u32_e32 3, v0
	s_cbranch_execz .LBB50_533
; %bb.530:
	v_add_nc_u32_e32 v109, 0x1a8, v105
	v_add3_u32 v110, 0, v105, 8
	v_mov_b32_e32 v111, v0
	s_mov_b32 s2, 0
.LBB50_531:                             ; =>This Inner Loop Header: Depth=1
	scratch_load_b64 v[112:113], v110, off
	ds_load_b64 v[114:115], v109
	v_add_nc_u32_e32 v111, 1, v111
	v_add_nc_u32_e32 v109, 8, v109
	v_add_nc_u32_e32 v110, 8, v110
	s_delay_alu instid0(VALU_DEP_3)
	v_cmp_lt_u32_e32 vcc_lo, 2, v111
	s_or_b32 s2, vcc_lo, s2
	s_waitcnt vmcnt(0) lgkmcnt(0)
	v_fma_f64 v[103:104], v[112:113], v[114:115], v[103:104]
	s_and_not1_b32 exec_lo, exec_lo, s2
	s_cbranch_execnz .LBB50_531
; %bb.532:
	s_or_b32 exec_lo, exec_lo, s2
.LBB50_533:
	s_delay_alu instid0(SALU_CYCLE_1)
	s_or_b32 exec_lo, exec_lo, s1
	v_mov_b32_e32 v109, 0
	ds_load_b64 v[109:110], v109 offset:32
	s_waitcnt lgkmcnt(0)
	v_mul_f64 v[103:104], v[103:104], v[109:110]
	scratch_store_b64 off, v[103:104], off offset:32
.LBB50_534:
	s_or_b32 exec_lo, exec_lo, s0
	scratch_load_b64 v[103:104], off, off offset:40
	s_mov_b32 s0, exec_lo
	s_waitcnt vmcnt(0)
	ds_store_b64 v106, v[103:104]
	s_waitcnt lgkmcnt(0)
	s_waitcnt_vscnt null, 0x0
	s_barrier
	buffer_gl0_inv
	v_cmpx_gt_u32_e32 5, v0
	s_cbranch_execz .LBB50_544
; %bb.535:
	v_cmp_ne_u32_e32 vcc_lo, 1, v108
	s_cbranch_vccnz .LBB50_537
; %bb.536:
	scratch_load_b64 v[103:104], v107, off
	ds_load_b64 v[109:110], v106
	s_waitcnt vmcnt(0) lgkmcnt(0)
	v_mul_f64 v[103:104], v[103:104], v[109:110]
	s_cbranch_execz .LBB50_538
	s_branch .LBB50_539
.LBB50_537:
                                        ; implicit-def: $vgpr103_vgpr104
.LBB50_538:
	ds_load_b64 v[103:104], v106
.LBB50_539:
	s_mov_b32 s1, exec_lo
	v_cmpx_ne_u32_e32 4, v0
	s_cbranch_execz .LBB50_543
; %bb.540:
	v_add_nc_u32_e32 v109, 0x1a8, v105
	v_add3_u32 v110, 0, v105, 8
	v_mov_b32_e32 v111, v0
	s_mov_b32 s2, 0
.LBB50_541:                             ; =>This Inner Loop Header: Depth=1
	scratch_load_b64 v[112:113], v110, off
	ds_load_b64 v[114:115], v109
	v_add_nc_u32_e32 v111, 1, v111
	v_add_nc_u32_e32 v109, 8, v109
	v_add_nc_u32_e32 v110, 8, v110
	s_delay_alu instid0(VALU_DEP_3)
	v_cmp_lt_u32_e32 vcc_lo, 3, v111
	s_or_b32 s2, vcc_lo, s2
	s_waitcnt vmcnt(0) lgkmcnt(0)
	v_fma_f64 v[103:104], v[112:113], v[114:115], v[103:104]
	s_and_not1_b32 exec_lo, exec_lo, s2
	s_cbranch_execnz .LBB50_541
; %bb.542:
	s_or_b32 exec_lo, exec_lo, s2
.LBB50_543:
	s_delay_alu instid0(SALU_CYCLE_1)
	s_or_b32 exec_lo, exec_lo, s1
	v_mov_b32_e32 v109, 0
	ds_load_b64 v[109:110], v109 offset:40
	s_waitcnt lgkmcnt(0)
	v_mul_f64 v[103:104], v[103:104], v[109:110]
	scratch_store_b64 off, v[103:104], off offset:40
.LBB50_544:
	;; [unrolled: 58-line block ×45, first 2 shown]
	s_or_b32 exec_lo, exec_lo, s0
	scratch_load_b64 v[103:104], off, off offset:392
	v_cmp_gt_u32_e64 s0, 49, v0
	s_waitcnt vmcnt(0)
	ds_store_b64 v106, v[103:104]
	s_waitcnt lgkmcnt(0)
	s_waitcnt_vscnt null, 0x0
	s_barrier
	buffer_gl0_inv
	s_and_saveexec_b32 s1, s0
	s_cbranch_execz .LBB50_984
; %bb.975:
	v_cmp_ne_u32_e32 vcc_lo, 1, v108
	s_cbranch_vccnz .LBB50_977
; %bb.976:
	scratch_load_b64 v[103:104], v107, off
	ds_load_b64 v[109:110], v106
	s_waitcnt vmcnt(0) lgkmcnt(0)
	v_mul_f64 v[103:104], v[103:104], v[109:110]
	s_cbranch_execz .LBB50_978
	s_branch .LBB50_979
.LBB50_977:
                                        ; implicit-def: $vgpr103_vgpr104
.LBB50_978:
	ds_load_b64 v[103:104], v106
.LBB50_979:
	s_mov_b32 s2, exec_lo
	v_cmpx_ne_u32_e32 48, v0
	s_cbranch_execz .LBB50_983
; %bb.980:
	v_add_nc_u32_e32 v109, 0x1a8, v105
	v_add3_u32 v110, 0, v105, 8
	v_mov_b32_e32 v111, v0
	s_mov_b32 s3, 0
.LBB50_981:                             ; =>This Inner Loop Header: Depth=1
	scratch_load_b64 v[112:113], v110, off
	ds_load_b64 v[114:115], v109
	v_add_nc_u32_e32 v111, 1, v111
	v_add_nc_u32_e32 v109, 8, v109
	;; [unrolled: 1-line block ×3, first 2 shown]
	s_delay_alu instid0(VALU_DEP_3)
	v_cmp_lt_u32_e32 vcc_lo, 47, v111
	s_or_b32 s3, vcc_lo, s3
	s_waitcnt vmcnt(0) lgkmcnt(0)
	v_fma_f64 v[103:104], v[112:113], v[114:115], v[103:104]
	s_and_not1_b32 exec_lo, exec_lo, s3
	s_cbranch_execnz .LBB50_981
; %bb.982:
	s_or_b32 exec_lo, exec_lo, s3
.LBB50_983:
	s_delay_alu instid0(SALU_CYCLE_1)
	s_or_b32 exec_lo, exec_lo, s2
	v_mov_b32_e32 v109, 0
	ds_load_b64 v[109:110], v109 offset:392
	s_waitcnt lgkmcnt(0)
	v_mul_f64 v[103:104], v[103:104], v[109:110]
	scratch_store_b64 off, v[103:104], off offset:392
.LBB50_984:
	s_or_b32 exec_lo, exec_lo, s1
	scratch_load_b64 v[103:104], off, off offset:400
	s_mov_b32 s1, exec_lo
	s_waitcnt vmcnt(0)
	ds_store_b64 v106, v[103:104]
	s_waitcnt lgkmcnt(0)
	s_waitcnt_vscnt null, 0x0
	s_barrier
	buffer_gl0_inv
	v_cmpx_ne_u32_e32 50, v0
	s_cbranch_execz .LBB50_994
; %bb.985:
	v_cmp_ne_u32_e32 vcc_lo, 1, v108
	s_cbranch_vccnz .LBB50_987
; %bb.986:
	scratch_load_b64 v[103:104], v107, off
	ds_load_b64 v[107:108], v106
	s_waitcnt vmcnt(0) lgkmcnt(0)
	v_mul_f64 v[103:104], v[103:104], v[107:108]
	s_cbranch_execz .LBB50_988
	s_branch .LBB50_989
.LBB50_987:
                                        ; implicit-def: $vgpr103_vgpr104
.LBB50_988:
	ds_load_b64 v[103:104], v106
.LBB50_989:
	s_and_saveexec_b32 s2, s0
	s_cbranch_execz .LBB50_993
; %bb.990:
	v_add_nc_u32_e32 v106, 0x1a8, v105
	v_add3_u32 v105, 0, v105, 8
	s_mov_b32 s0, 0
.LBB50_991:                             ; =>This Inner Loop Header: Depth=1
	scratch_load_b64 v[107:108], v105, off
	ds_load_b64 v[109:110], v106
	v_add_nc_u32_e32 v0, 1, v0
	v_add_nc_u32_e32 v106, 8, v106
	;; [unrolled: 1-line block ×3, first 2 shown]
	s_delay_alu instid0(VALU_DEP_3)
	v_cmp_lt_u32_e32 vcc_lo, 48, v0
	s_or_b32 s0, vcc_lo, s0
	s_waitcnt vmcnt(0) lgkmcnt(0)
	v_fma_f64 v[103:104], v[107:108], v[109:110], v[103:104]
	s_and_not1_b32 exec_lo, exec_lo, s0
	s_cbranch_execnz .LBB50_991
; %bb.992:
	s_or_b32 exec_lo, exec_lo, s0
.LBB50_993:
	s_delay_alu instid0(SALU_CYCLE_1)
	s_or_b32 exec_lo, exec_lo, s2
	v_mov_b32_e32 v0, 0
	ds_load_b64 v[105:106], v0 offset:400
	s_waitcnt lgkmcnt(0)
	v_mul_f64 v[103:104], v[103:104], v[105:106]
	scratch_store_b64 off, v[103:104], off offset:400
.LBB50_994:
	s_or_b32 exec_lo, exec_lo, s1
.LBB50_995:
	s_clause 0xb
	scratch_load_b128 v[103:106], off, off
	scratch_load_b128 v[107:110], off, off offset:16
	scratch_load_b128 v[111:114], off, off offset:32
	;; [unrolled: 1-line block ×11, first 2 shown]
	s_waitcnt vmcnt(11)
	s_clause 0x1
	global_store_b64 v[15:16], v[103:104], off
	global_store_b64 v[7:8], v[105:106], off
	s_waitcnt vmcnt(10)
	s_clause 0x1
	global_store_b64 v[41:42], v[107:108], off
	global_store_b64 v[45:46], v[109:110], off
	;; [unrolled: 4-line block ×4, first 2 shown]
	scratch_load_b128 v[33:36], off, off offset:256
	s_waitcnt vmcnt(8)
	s_clause 0x1
	global_store_b64 v[27:28], v[119:120], off
	global_store_b64 v[19:20], v[121:122], off
	s_waitcnt vmcnt(7)
	s_clause 0x1
	global_store_b64 v[25:26], v[123:124], off
	global_store_b64 v[23:24], v[125:126], off
	;; [unrolled: 4-line block ×4, first 2 shown]
	s_clause 0xc
	scratch_load_b128 v[103:106], off, off offset:160
	scratch_load_b128 v[107:110], off, off offset:192
	;; [unrolled: 1-line block ×12, first 2 shown]
	scratch_load_b64 v[19:20], off, off offset:400
	s_waitcnt vmcnt(17)
	s_clause 0x1
	global_store_b64 v[3:4], v[135:136], off
	global_store_b64 v[5:6], v[137:138], off
	s_waitcnt vmcnt(16)
	s_clause 0x1
	global_store_b64 v[21:22], v[139:140], off
	global_store_b64 v[31:32], v[141:142], off
	;; [unrolled: 4-line block ×3, first 2 shown]
	global_store_b64 v[47:48], v[143:144], off
	global_store_b64 v[49:50], v[145:146], off
	s_waitcnt vmcnt(11)
	s_clause 0x1
	global_store_b64 v[51:52], v[107:108], off
	global_store_b64 v[53:54], v[109:110], off
	s_waitcnt vmcnt(10)
	s_clause 0x1
	;; [unrolled: 4-line block ×3, first 2 shown]
	global_store_b64 v[59:60], v[111:112], off
	global_store_b64 v[61:62], v[113:114], off
	;; [unrolled: 1-line block ×6, first 2 shown]
	s_waitcnt vmcnt(8)
	s_clause 0x1
	global_store_b64 v[71:72], v[27:28], off
	global_store_b64 v[73:74], v[29:30], off
	s_waitcnt vmcnt(7)
	s_clause 0x1
	global_store_b64 v[75:76], v[115:116], off
	global_store_b64 v[77:78], v[117:118], off
	;; [unrolled: 4-line block ×8, first 2 shown]
	s_waitcnt vmcnt(0)
	global_store_b64 v[1:2], v[19:20], off
.LBB50_996:
	s_endpgm
	.section	.rodata,"a",@progbits
	.p2align	6, 0x0
	.amdhsa_kernel _ZN9rocsolver6v33100L18trti2_kernel_smallILi51EdPdEEv13rocblas_fill_17rocblas_diagonal_T1_iil
		.amdhsa_group_segment_fixed_size 824
		.amdhsa_private_segment_fixed_size 416
		.amdhsa_kernarg_size 32
		.amdhsa_user_sgpr_count 15
		.amdhsa_user_sgpr_dispatch_ptr 0
		.amdhsa_user_sgpr_queue_ptr 0
		.amdhsa_user_sgpr_kernarg_segment_ptr 1
		.amdhsa_user_sgpr_dispatch_id 0
		.amdhsa_user_sgpr_private_segment_size 0
		.amdhsa_wavefront_size32 1
		.amdhsa_uses_dynamic_stack 0
		.amdhsa_enable_private_segment 1
		.amdhsa_system_sgpr_workgroup_id_x 1
		.amdhsa_system_sgpr_workgroup_id_y 0
		.amdhsa_system_sgpr_workgroup_id_z 0
		.amdhsa_system_sgpr_workgroup_info 0
		.amdhsa_system_vgpr_workitem_id 0
		.amdhsa_next_free_vgpr 152
		.amdhsa_next_free_sgpr 23
		.amdhsa_reserve_vcc 1
		.amdhsa_float_round_mode_32 0
		.amdhsa_float_round_mode_16_64 0
		.amdhsa_float_denorm_mode_32 3
		.amdhsa_float_denorm_mode_16_64 3
		.amdhsa_dx10_clamp 1
		.amdhsa_ieee_mode 1
		.amdhsa_fp16_overflow 0
		.amdhsa_workgroup_processor_mode 1
		.amdhsa_memory_ordered 1
		.amdhsa_forward_progress 0
		.amdhsa_shared_vgpr_count 0
		.amdhsa_exception_fp_ieee_invalid_op 0
		.amdhsa_exception_fp_denorm_src 0
		.amdhsa_exception_fp_ieee_div_zero 0
		.amdhsa_exception_fp_ieee_overflow 0
		.amdhsa_exception_fp_ieee_underflow 0
		.amdhsa_exception_fp_ieee_inexact 0
		.amdhsa_exception_int_div_zero 0
	.end_amdhsa_kernel
	.section	.text._ZN9rocsolver6v33100L18trti2_kernel_smallILi51EdPdEEv13rocblas_fill_17rocblas_diagonal_T1_iil,"axG",@progbits,_ZN9rocsolver6v33100L18trti2_kernel_smallILi51EdPdEEv13rocblas_fill_17rocblas_diagonal_T1_iil,comdat
.Lfunc_end50:
	.size	_ZN9rocsolver6v33100L18trti2_kernel_smallILi51EdPdEEv13rocblas_fill_17rocblas_diagonal_T1_iil, .Lfunc_end50-_ZN9rocsolver6v33100L18trti2_kernel_smallILi51EdPdEEv13rocblas_fill_17rocblas_diagonal_T1_iil
                                        ; -- End function
	.section	.AMDGPU.csdata,"",@progbits
; Kernel info:
; codeLenInByte = 27904
; NumSgprs: 25
; NumVgprs: 152
; ScratchSize: 416
; MemoryBound: 0
; FloatMode: 240
; IeeeMode: 1
; LDSByteSize: 824 bytes/workgroup (compile time only)
; SGPRBlocks: 3
; VGPRBlocks: 18
; NumSGPRsForWavesPerEU: 25
; NumVGPRsForWavesPerEU: 152
; Occupancy: 9
; WaveLimiterHint : 0
; COMPUTE_PGM_RSRC2:SCRATCH_EN: 1
; COMPUTE_PGM_RSRC2:USER_SGPR: 15
; COMPUTE_PGM_RSRC2:TRAP_HANDLER: 0
; COMPUTE_PGM_RSRC2:TGID_X_EN: 1
; COMPUTE_PGM_RSRC2:TGID_Y_EN: 0
; COMPUTE_PGM_RSRC2:TGID_Z_EN: 0
; COMPUTE_PGM_RSRC2:TIDIG_COMP_CNT: 0
	.section	.text._ZN9rocsolver6v33100L18trti2_kernel_smallILi52EdPdEEv13rocblas_fill_17rocblas_diagonal_T1_iil,"axG",@progbits,_ZN9rocsolver6v33100L18trti2_kernel_smallILi52EdPdEEv13rocblas_fill_17rocblas_diagonal_T1_iil,comdat
	.globl	_ZN9rocsolver6v33100L18trti2_kernel_smallILi52EdPdEEv13rocblas_fill_17rocblas_diagonal_T1_iil ; -- Begin function _ZN9rocsolver6v33100L18trti2_kernel_smallILi52EdPdEEv13rocblas_fill_17rocblas_diagonal_T1_iil
	.p2align	8
	.type	_ZN9rocsolver6v33100L18trti2_kernel_smallILi52EdPdEEv13rocblas_fill_17rocblas_diagonal_T1_iil,@function
_ZN9rocsolver6v33100L18trti2_kernel_smallILi52EdPdEEv13rocblas_fill_17rocblas_diagonal_T1_iil: ; @_ZN9rocsolver6v33100L18trti2_kernel_smallILi52EdPdEEv13rocblas_fill_17rocblas_diagonal_T1_iil
; %bb.0:
	s_mov_b32 s2, exec_lo
	v_cmpx_gt_u32_e32 52, v0
	s_cbranch_execz .LBB51_1016
; %bb.1:
	s_load_b256 s[0:7], s[0:1], 0x0
	s_ashr_i32 s8, s15, 31
	v_lshlrev_b32_e32 v107, 3, v0
	s_waitcnt lgkmcnt(0)
	v_add3_u32 v1, s5, s5, v0
	s_mul_i32 s7, s15, s7
	s_mul_hi_u32 s10, s15, s6
	s_ashr_i32 s9, s4, 31
	s_mul_i32 s11, s8, s6
	s_mov_b32 s8, s4
	s_add_i32 s4, s10, s7
	v_ashrrev_i32_e32 v2, 31, v1
	s_mul_i32 s6, s15, s6
	s_add_i32 s7, s4, s11
	v_add_nc_u32_e32 v3, s5, v1
	s_lshl_b64 s[6:7], s[6:7], 3
	v_lshlrev_b64 v[1:2], 3, v[1:2]
	s_add_u32 s4, s2, s6
	s_addc_u32 s6, s3, s7
	s_lshl_b64 s[2:3], s[8:9], 3
	v_ashrrev_i32_e32 v4, 31, v3
	s_add_u32 s2, s4, s2
	s_addc_u32 s3, s6, s3
	v_add_co_u32 v13, vcc_lo, s2, v1
	v_add_nc_u32_e32 v1, s5, v3
	v_add_co_u32 v19, s4, s2, v107
	s_mov_b32 s10, s5
	s_ashr_i32 s11, s5, 31
	v_lshlrev_b64 v[5:6], 3, v[3:4]
	v_add_nc_u32_e32 v3, s5, v1
	v_add_co_ci_u32_e64 v20, null, s3, 0, s4
	s_lshl_b64 s[6:7], s[10:11], 3
	v_add_co_ci_u32_e32 v14, vcc_lo, s3, v2, vcc_lo
	v_add_co_u32 v31, vcc_lo, v19, s6
	v_ashrrev_i32_e32 v2, 31, v1
	v_add_nc_u32_e32 v9, s5, v3
	v_add_co_ci_u32_e32 v32, vcc_lo, s7, v20, vcc_lo
	v_add_co_u32 v5, vcc_lo, s2, v5
	v_ashrrev_i32_e32 v4, 31, v3
	v_add_co_ci_u32_e32 v6, vcc_lo, s3, v6, vcc_lo
	v_lshlrev_b64 v[1:2], 3, v[1:2]
	v_add_nc_u32_e32 v17, s5, v9
	s_clause 0x3
	global_load_b64 v[21:22], v107, s[2:3]
	global_load_b64 v[23:24], v[31:32], off
	global_load_b64 v[41:42], v[13:14], off
	;; [unrolled: 1-line block ×3, first 2 shown]
	v_lshlrev_b64 v[3:4], 3, v[3:4]
	v_ashrrev_i32_e32 v10, 31, v9
	s_cmpk_lg_i32 s1, 0x84
	v_add_co_u32 v15, vcc_lo, s2, v1
	v_ashrrev_i32_e32 v18, 31, v17
	v_add_co_ci_u32_e32 v16, vcc_lo, s3, v2, vcc_lo
	v_lshlrev_b64 v[1:2], 3, v[9:10]
	v_add_co_u32 v7, vcc_lo, s2, v3
	v_add_co_ci_u32_e32 v8, vcc_lo, s3, v4, vcc_lo
	v_lshlrev_b64 v[3:4], 3, v[17:18]
	s_delay_alu instid0(VALU_DEP_4)
	v_add_co_u32 v11, vcc_lo, s2, v1
	v_add_co_ci_u32_e32 v12, vcc_lo, s3, v2, vcc_lo
	s_clause 0x1
	global_load_b64 v[47:48], v[15:16], off
	global_load_b64 v[49:50], v[7:8], off
	v_add_co_u32 v3, vcc_lo, s2, v3
	v_add_co_ci_u32_e32 v4, vcc_lo, s3, v4, vcc_lo
	s_clause 0x1
	global_load_b64 v[51:52], v[11:12], off
	global_load_b64 v[53:54], v[3:4], off
	v_add_nc_u32_e32 v1, s5, v17
	s_delay_alu instid0(VALU_DEP_1) | instskip(SKIP_1) | instid1(VALU_DEP_2)
	v_add_nc_u32_e32 v9, s5, v1
	v_ashrrev_i32_e32 v2, 31, v1
	v_add_nc_u32_e32 v17, s5, v9
	s_delay_alu instid0(VALU_DEP_2) | instskip(SKIP_1) | instid1(VALU_DEP_3)
	v_lshlrev_b64 v[1:2], 3, v[1:2]
	v_ashrrev_i32_e32 v10, 31, v9
	v_add_nc_u32_e32 v25, s5, v17
	v_ashrrev_i32_e32 v18, 31, v17
	s_delay_alu instid0(VALU_DEP_4) | instskip(SKIP_1) | instid1(VALU_DEP_4)
	v_add_co_u32 v45, vcc_lo, s2, v1
	v_add_co_ci_u32_e32 v46, vcc_lo, s3, v2, vcc_lo
	v_add_nc_u32_e32 v27, s5, v25
	v_lshlrev_b64 v[1:2], 3, v[9:10]
	v_ashrrev_i32_e32 v26, 31, v25
	v_lshlrev_b64 v[9:10], 3, v[17:18]
	global_load_b64 v[55:56], v[45:46], off
	v_add_nc_u32_e32 v29, s5, v27
	v_ashrrev_i32_e32 v28, 31, v27
	v_add_co_u32 v39, vcc_lo, s2, v1
	v_add_co_ci_u32_e32 v40, vcc_lo, s3, v2, vcc_lo
	s_delay_alu instid0(VALU_DEP_4)
	v_add_nc_u32_e32 v63, s5, v29
	v_lshlrev_b64 v[1:2], 3, v[25:26]
	v_add_co_u32 v33, vcc_lo, s2, v9
	global_load_b64 v[57:58], v[39:40], off
	v_add_nc_u32_e32 v65, s5, v63
	v_ashrrev_i32_e32 v30, 31, v29
	v_add_co_ci_u32_e32 v34, vcc_lo, s3, v10, vcc_lo
	v_lshlrev_b64 v[9:10], 3, v[27:28]
	s_delay_alu instid0(VALU_DEP_4) | instskip(SKIP_2) | instid1(VALU_DEP_3)
	v_add_nc_u32_e32 v67, s5, v65
	v_add_co_u32 v37, vcc_lo, s2, v1
	v_add_co_ci_u32_e32 v38, vcc_lo, s3, v2, vcc_lo
	v_add_nc_u32_e32 v69, s5, v67
	v_lshlrev_b64 v[1:2], 3, v[29:30]
	v_ashrrev_i32_e32 v64, 31, v63
	v_add_co_u32 v35, vcc_lo, s2, v9
	s_delay_alu instid0(VALU_DEP_4) | instskip(SKIP_3) | instid1(VALU_DEP_4)
	v_add_nc_u32_e32 v75, s5, v69
	v_ashrrev_i32_e32 v66, 31, v65
	v_add_co_ci_u32_e32 v36, vcc_lo, s3, v10, vcc_lo
	v_lshlrev_b64 v[9:10], 3, v[63:64]
	v_add_nc_u32_e32 v77, s5, v75
	v_add_co_u32 v27, vcc_lo, s2, v1
	v_add_co_ci_u32_e32 v28, vcc_lo, s3, v2, vcc_lo
	s_delay_alu instid0(VALU_DEP_3)
	v_add_nc_u32_e32 v79, s5, v77
	v_lshlrev_b64 v[1:2], 3, v[65:66]
	v_ashrrev_i32_e32 v68, 31, v67
	s_clause 0x1
	global_load_b64 v[59:60], v[33:34], off
	global_load_b64 v[61:62], v[37:38], off
	v_add_co_u32 v29, vcc_lo, s2, v9
	v_add_nc_u32_e32 v81, s5, v79
	v_add_co_ci_u32_e32 v30, vcc_lo, s3, v10, vcc_lo
	v_lshlrev_b64 v[9:10], 3, v[67:68]
	v_add_co_u32 v25, vcc_lo, s2, v1
	s_delay_alu instid0(VALU_DEP_4)
	v_add_nc_u32_e32 v83, s5, v81
	v_ashrrev_i32_e32 v70, 31, v69
	v_add_co_ci_u32_e32 v26, vcc_lo, s3, v2, vcc_lo
	s_clause 0x1
	global_load_b64 v[63:64], v[35:36], off
	global_load_b64 v[65:66], v[27:28], off
	v_add_nc_u32_e32 v85, s5, v83
	v_lshlrev_b64 v[67:68], 3, v[69:70]
	v_ashrrev_i32_e32 v76, 31, v75
	v_ashrrev_i32_e32 v78, 31, v77
	;; [unrolled: 1-line block ×3, first 2 shown]
	v_add_nc_u32_e32 v87, s5, v85
	v_ashrrev_i32_e32 v82, 31, v81
	v_ashrrev_i32_e32 v84, 31, v83
	;; [unrolled: 1-line block ×3, first 2 shown]
	s_delay_alu instid0(VALU_DEP_4) | instskip(SKIP_1) | instid1(VALU_DEP_2)
	v_add_nc_u32_e32 v89, s5, v87
	v_ashrrev_i32_e32 v88, 31, v87
	v_add_nc_u32_e32 v91, s5, v89
	v_ashrrev_i32_e32 v90, 31, v89
	s_delay_alu instid0(VALU_DEP_2) | instskip(SKIP_1) | instid1(VALU_DEP_2)
	v_add_nc_u32_e32 v93, s5, v91
	v_ashrrev_i32_e32 v92, 31, v91
	v_add_nc_u32_e32 v95, s5, v93
	v_ashrrev_i32_e32 v94, 31, v93
	s_delay_alu instid0(VALU_DEP_2) | instskip(SKIP_1) | instid1(VALU_DEP_2)
	;; [unrolled: 5-line block ×4, first 2 shown]
	v_add_nc_u32_e32 v105, s5, v103
	v_ashrrev_i32_e32 v104, 31, v103
	v_add_nc_u32_e32 v108, s5, v105
	v_ashrrev_i32_e32 v106, 31, v105
	s_delay_alu instid0(VALU_DEP_2) | instskip(NEXT) | instid1(VALU_DEP_1)
	v_add_nc_u32_e32 v114, s5, v108
	v_add_nc_u32_e32 v120, s5, v114
	v_ashrrev_i32_e32 v115, 31, v114
	s_delay_alu instid0(VALU_DEP_2) | instskip(SKIP_1) | instid1(VALU_DEP_2)
	v_add_nc_u32_e32 v122, s5, v120
	v_ashrrev_i32_e32 v121, 31, v120
	v_add_nc_u32_e32 v124, s5, v122
	v_ashrrev_i32_e32 v123, 31, v122
	s_delay_alu instid0(VALU_DEP_2) | instskip(SKIP_1) | instid1(VALU_DEP_2)
	v_add_nc_u32_e32 v126, s5, v124
	v_ashrrev_i32_e32 v125, 31, v124
	;; [unrolled: 5-line block ×8, first 2 shown]
	v_ashrrev_i32_e32 v18, 31, v17
	s_delay_alu instid0(VALU_DEP_1) | instskip(SKIP_2) | instid1(VALU_DEP_3)
	v_lshlrev_b64 v[1:2], 3, v[17:18]
	v_add_co_u32 v17, vcc_lo, s2, v9
	v_add_co_ci_u32_e32 v18, vcc_lo, s3, v10, vcc_lo
	v_add_co_u32 v1, vcc_lo, s2, v1
	s_delay_alu instid0(VALU_DEP_4)
	v_add_co_ci_u32_e32 v2, vcc_lo, s3, v2, vcc_lo
	v_add_co_u32 v9, vcc_lo, s2, v67
	v_add_co_ci_u32_e32 v10, vcc_lo, s3, v68, vcc_lo
	global_load_b64 v[110:111], v[1:2], off
	s_waitcnt vmcnt(13)
	scratch_store_b128 off, v[21:24], off
	s_waitcnt vmcnt(11)
	scratch_store_b128 off, v[41:44], off offset:16
	s_clause 0x3
	global_load_b64 v[67:68], v[29:30], off
	global_load_b64 v[69:70], v[25:26], off
	;; [unrolled: 1-line block ×4, first 2 shown]
	v_lshlrev_b64 v[21:22], 3, v[75:76]
	v_lshlrev_b64 v[23:24], 3, v[77:78]
	;; [unrolled: 1-line block ×4, first 2 shown]
	s_delay_alu instid0(VALU_DEP_4)
	v_add_co_u32 v21, vcc_lo, s2, v21
	v_add_co_ci_u32_e32 v22, vcc_lo, s3, v22, vcc_lo
	v_add_co_u32 v23, vcc_lo, s2, v23
	v_add_co_ci_u32_e32 v24, vcc_lo, s3, v24, vcc_lo
	v_add_co_u32 v41, vcc_lo, s2, v41
	v_add_co_ci_u32_e32 v42, vcc_lo, s3, v42, vcc_lo
	v_add_co_u32 v43, vcc_lo, s2, v43
	v_add_co_ci_u32_e32 v44, vcc_lo, s3, v44, vcc_lo
	s_waitcnt vmcnt(13)
	scratch_store_b128 off, v[47:50], off offset:32
	s_clause 0x1
	global_load_b64 v[75:76], v[21:22], off
	global_load_b64 v[77:78], v[23:24], off
	s_waitcnt vmcnt(13)
	scratch_store_b128 off, v[51:54], off offset:48
	s_clause 0x1
	global_load_b64 v[79:80], v[41:42], off
	global_load_b64 v[81:82], v[43:44], off
	v_lshlrev_b64 v[47:48], 3, v[83:84]
	v_lshlrev_b64 v[49:50], 3, v[85:86]
	v_lshlrev_b64 v[51:52], 3, v[87:88]
	v_lshlrev_b64 v[53:54], 3, v[89:90]
	s_delay_alu instid0(VALU_DEP_4)
	v_add_co_u32 v47, vcc_lo, s2, v47
	v_add_co_ci_u32_e32 v48, vcc_lo, s3, v48, vcc_lo
	v_add_co_u32 v49, vcc_lo, s2, v49
	v_add_co_ci_u32_e32 v50, vcc_lo, s3, v50, vcc_lo
	;; [unrolled: 2-line block ×4, first 2 shown]
	s_waitcnt vmcnt(13)
	scratch_store_b128 off, v[55:58], off offset:64
	v_lshlrev_b64 v[55:56], 3, v[91:92]
	v_lshlrev_b64 v[57:58], 3, v[93:94]
	s_clause 0x2
	global_load_b64 v[83:84], v[47:48], off
	global_load_b64 v[85:86], v[49:50], off
	global_load_b64 v[87:88], v[51:52], off
	v_add_co_u32 v55, vcc_lo, s2, v55
	v_add_co_ci_u32_e32 v56, vcc_lo, s3, v56, vcc_lo
	v_add_co_u32 v57, vcc_lo, s2, v57
	v_add_co_ci_u32_e32 v58, vcc_lo, s3, v58, vcc_lo
	s_waitcnt vmcnt(14)
	scratch_store_b128 off, v[59:62], off offset:80
	v_lshlrev_b64 v[59:60], 3, v[95:96]
	v_lshlrev_b64 v[61:62], 3, v[97:98]
	s_delay_alu instid0(VALU_DEP_2) | instskip(NEXT) | instid1(VALU_DEP_3)
	v_add_co_u32 v59, vcc_lo, s2, v59
	v_add_co_ci_u32_e32 v60, vcc_lo, s3, v60, vcc_lo
	s_delay_alu instid0(VALU_DEP_3) | instskip(NEXT) | instid1(VALU_DEP_4)
	v_add_co_u32 v61, vcc_lo, s2, v61
	v_add_co_ci_u32_e32 v62, vcc_lo, s3, v62, vcc_lo
	s_waitcnt vmcnt(12)
	scratch_store_b128 off, v[63:66], off offset:96
	v_lshlrev_b64 v[63:64], 3, v[99:100]
	s_clause 0x2
	global_load_b64 v[89:90], v[53:54], off
	global_load_b64 v[91:92], v[55:56], off
	;; [unrolled: 1-line block ×3, first 2 shown]
	v_lshlrev_b64 v[65:66], 3, v[101:102]
	global_load_b64 v[95:96], v[59:60], off
	v_add_co_u32 v63, vcc_lo, s2, v63
	v_add_co_ci_u32_e32 v64, vcc_lo, s3, v64, vcc_lo
	v_add_co_u32 v65, vcc_lo, s2, v65
	v_add_co_ci_u32_e32 v66, vcc_lo, s3, v66, vcc_lo
	s_waitcnt vmcnt(13)
	scratch_store_b128 off, v[67:70], off offset:112
	v_lshlrev_b64 v[67:68], 3, v[103:104]
	s_waitcnt vmcnt(11)
	scratch_store_b128 off, v[71:74], off offset:128
	s_clause 0x2
	global_load_b64 v[97:98], v[61:62], off
	global_load_b64 v[99:100], v[63:64], off
	;; [unrolled: 1-line block ×3, first 2 shown]
	v_lshlrev_b64 v[69:70], 3, v[105:106]
	v_mov_b32_e32 v105, 0
	v_ashrrev_i32_e32 v109, 31, v108
	v_add_co_u32 v67, vcc_lo, s2, v67
	v_add_co_ci_u32_e32 v68, vcc_lo, s3, v68, vcc_lo
	s_delay_alu instid0(VALU_DEP_3) | instskip(SKIP_3) | instid1(VALU_DEP_4)
	v_lshlrev_b64 v[71:72], 3, v[108:109]
	v_add_co_u32 v69, vcc_lo, s2, v69
	v_lshlrev_b64 v[73:74], 3, v[114:115]
	v_add_co_ci_u32_e32 v70, vcc_lo, s3, v70, vcc_lo
	v_add_co_u32 v71, vcc_lo, s2, v71
	v_add_co_ci_u32_e32 v72, vcc_lo, s3, v72, vcc_lo
	s_delay_alu instid0(VALU_DEP_4)
	v_add_co_u32 v73, vcc_lo, s2, v73
	v_add_co_ci_u32_e32 v74, vcc_lo, s3, v74, vcc_lo
	s_clause 0x1
	global_load_b64 v[112:113], v[67:68], off
	global_load_b64 v[114:115], v[69:70], off
	s_waitcnt vmcnt(14)
	scratch_store_b128 off, v[75:78], off offset:144
	s_waitcnt vmcnt(12)
	scratch_store_b128 off, v[79:82], off offset:160
	s_clause 0x1
	global_load_b64 v[116:117], v[71:72], off
	global_load_b64 v[118:119], v[73:74], off
	v_lshlrev_b64 v[75:76], 3, v[120:121]
	v_lshlrev_b64 v[77:78], 3, v[122:123]
	;; [unrolled: 1-line block ×5, first 2 shown]
	v_mov_b32_e32 v106, 0xbff00000
	v_add_co_u32 v75, vcc_lo, s2, v75
	v_add_co_ci_u32_e32 v76, vcc_lo, s3, v76, vcc_lo
	v_add_co_u32 v77, vcc_lo, s2, v77
	v_add_co_ci_u32_e32 v78, vcc_lo, s3, v78, vcc_lo
	;; [unrolled: 2-line block ×4, first 2 shown]
	global_load_b64 v[120:121], v[75:76], off
	s_waitcnt vmcnt(13)
	scratch_store_b128 off, v[83:86], off offset:176
	v_lshlrev_b64 v[83:84], 3, v[128:129]
	v_lshlrev_b64 v[85:86], 3, v[130:131]
	s_waitcnt vmcnt(11)
	scratch_store_b128 off, v[87:90], off offset:192
	s_waitcnt vmcnt(9)
	scratch_store_b128 off, v[91:94], off offset:208
	v_add_co_u32 v83, vcc_lo, s2, v83
	v_add_co_ci_u32_e32 v84, vcc_lo, s3, v84, vcc_lo
	v_add_co_u32 v85, vcc_lo, s2, v85
	v_lshlrev_b64 v[89:90], 3, v[134:135]
	v_add_co_ci_u32_e32 v86, vcc_lo, s3, v86, vcc_lo
	v_add_co_u32 v87, vcc_lo, s2, v103
	v_lshlrev_b64 v[91:92], 3, v[136:137]
	;; [unrolled: 3-line block ×4, first 2 shown]
	v_add_co_ci_u32_e32 v92, vcc_lo, s3, v92, vcc_lo
	s_clause 0x3
	global_load_b64 v[122:123], v[77:78], off
	global_load_b64 v[124:125], v[79:80], off
	;; [unrolled: 1-line block ×4, first 2 shown]
	v_add_co_u32 v93, vcc_lo, s2, v93
	v_add_co_ci_u32_e32 v94, vcc_lo, s3, v94, vcc_lo
	s_waitcnt vmcnt(11)
	scratch_store_b128 off, v[95:98], off offset:224
	s_waitcnt vmcnt(9)
	scratch_store_b128 off, v[99:102], off offset:240
	v_lshlrev_b64 v[97:98], 3, v[142:143]
	v_add_co_u32 v95, vcc_lo, s2, v103
	v_lshlrev_b64 v[99:100], 3, v[144:145]
	v_add_co_ci_u32_e32 v96, vcc_lo, s3, v104, vcc_lo
	s_delay_alu instid0(VALU_DEP_4)
	v_add_co_u32 v97, vcc_lo, s2, v97
	v_add_co_ci_u32_e32 v98, vcc_lo, s3, v98, vcc_lo
	v_lshlrev_b64 v[103:104], 3, v[146:147]
	v_add_co_u32 v101, vcc_lo, s2, v99
	v_add_co_ci_u32_e32 v102, vcc_lo, s3, v100, vcc_lo
	v_lshlrev_b64 v[99:100], 3, v[148:149]
	s_delay_alu instid0(VALU_DEP_4)
	v_add_co_u32 v103, vcc_lo, s2, v103
	v_add_co_ci_u32_e32 v104, vcc_lo, s3, v104, vcc_lo
	s_clause 0x3
	global_load_b64 v[130:131], v[85:86], off
	global_load_b64 v[132:133], v[87:88], off
	;; [unrolled: 1-line block ×4, first 2 shown]
	v_add_co_u32 v99, vcc_lo, s2, v99
	v_add_co_ci_u32_e32 v100, vcc_lo, s3, v100, vcc_lo
	s_waitcnt vmcnt(11)
	scratch_store_b128 off, v[112:115], off offset:256
	s_clause 0x2
	global_load_b64 v[138:139], v[93:94], off
	global_load_b64 v[112:113], v[95:96], off
	;; [unrolled: 1-line block ×3, first 2 shown]
	s_waitcnt vmcnt(12)
	scratch_store_b128 off, v[116:119], off offset:272
	s_clause 0x2
	global_load_b64 v[116:117], v[101:102], off
	global_load_b64 v[118:119], v[103:104], off
	;; [unrolled: 1-line block ×3, first 2 shown]
	s_cselect_b32 s2, -1, 0
	s_cmpk_eq_i32 s1, 0x84
	s_waitcnt vmcnt(13)
	scratch_store_b128 off, v[120:123], off offset:288
	s_waitcnt vmcnt(11)
	scratch_store_b128 off, v[124:127], off offset:304
	;; [unrolled: 2-line block ×8, first 2 shown]
	s_cbranch_scc1 .LBB51_3
; %bb.2:
	scratch_load_b64 v[105:106], v107, off
	s_waitcnt vmcnt(0)
	v_div_scale_f64 v[108:109], null, v[105:106], v[105:106], 1.0
	v_div_scale_f64 v[114:115], vcc_lo, 1.0, v[105:106], 1.0
	s_delay_alu instid0(VALU_DEP_2) | instskip(SKIP_2) | instid1(VALU_DEP_1)
	v_rcp_f64_e32 v[110:111], v[108:109]
	s_waitcnt_depctr 0xfff
	v_fma_f64 v[112:113], -v[108:109], v[110:111], 1.0
	v_fma_f64 v[110:111], v[110:111], v[112:113], v[110:111]
	s_delay_alu instid0(VALU_DEP_1) | instskip(NEXT) | instid1(VALU_DEP_1)
	v_fma_f64 v[112:113], -v[108:109], v[110:111], 1.0
	v_fma_f64 v[110:111], v[110:111], v[112:113], v[110:111]
	s_delay_alu instid0(VALU_DEP_1) | instskip(NEXT) | instid1(VALU_DEP_1)
	v_mul_f64 v[112:113], v[114:115], v[110:111]
	v_fma_f64 v[108:109], -v[108:109], v[112:113], v[114:115]
	s_delay_alu instid0(VALU_DEP_1) | instskip(NEXT) | instid1(VALU_DEP_1)
	v_div_fmas_f64 v[108:109], v[108:109], v[110:111], v[112:113]
	v_div_fixup_f64 v[105:106], v[108:109], v[105:106], 1.0
	scratch_store_b64 v107, v[105:106], off
	v_xor_b32_e32 v106, 0x80000000, v106
.LBB51_3:
	v_add_nc_u32_e32 v108, 0x1a0, v107
	v_add_nc_u32_e32 v109, 0, v107
	s_cmpk_eq_i32 s0, 0x79
	s_mov_b32 s0, -1
	ds_store_b64 v107, v[105:106]
	s_cbranch_scc1 .LBB51_509
; %bb.4:
	scratch_load_b64 v[105:106], off, off offset:400
	v_cmp_eq_u32_e64 s0, 51, v0
	s_movk_i32 s1, 0x50
	s_movk_i32 s3, 0x60
	;; [unrolled: 1-line block ×20, first 2 shown]
	s_waitcnt vmcnt(0)
	ds_store_b64 v108, v[105:106]
	s_waitcnt lgkmcnt(0)
	s_waitcnt_vscnt null, 0x0
	s_barrier
	buffer_gl0_inv
	s_and_saveexec_b32 s22, s0
	s_cbranch_execz .LBB51_10
; %bb.5:
	s_and_b32 vcc_lo, exec_lo, s2
	s_cbranch_vccz .LBB51_7
; %bb.6:
	scratch_load_b64 v[105:106], v109, off
	ds_load_b64 v[110:111], v108
	s_waitcnt vmcnt(0) lgkmcnt(0)
	v_mul_f64 v[105:106], v[105:106], v[110:111]
	s_cbranch_execz .LBB51_8
	s_branch .LBB51_9
.LBB51_7:
                                        ; implicit-def: $vgpr105_vgpr106
.LBB51_8:
	ds_load_b64 v[105:106], v108
.LBB51_9:
	v_mov_b32_e32 v110, 0
	ds_load_b64 v[110:111], v110 offset:400
	s_waitcnt lgkmcnt(0)
	v_mul_f64 v[105:106], v[105:106], v[110:111]
	scratch_store_b64 off, v[105:106], off offset:400
.LBB51_10:
	s_or_b32 exec_lo, exec_lo, s22
	scratch_load_b64 v[105:106], off, off offset:392
	v_add_nc_u32_e64 v110, 0, 16
	v_add_nc_u32_e64 v111, 0, 32
	;; [unrolled: 1-line block ×24, first 2 shown]
	v_cmp_lt_u32_e64 s1, 49, v0
	s_waitcnt vmcnt(0)
	ds_store_b64 v108, v[105:106]
	s_waitcnt lgkmcnt(0)
	s_waitcnt_vscnt null, 0x0
	s_barrier
	buffer_gl0_inv
	s_and_saveexec_b32 s3, s1
	s_cbranch_execz .LBB51_18
; %bb.11:
	s_and_not1_b32 vcc_lo, exec_lo, s2
	s_cbranch_vccnz .LBB51_13
; %bb.12:
	scratch_load_b64 v[105:106], v109, off
	ds_load_b64 v[134:135], v108
	s_waitcnt vmcnt(0) lgkmcnt(0)
	v_mul_f64 v[105:106], v[105:106], v[134:135]
	s_cbranch_execz .LBB51_14
	s_branch .LBB51_15
.LBB51_13:
                                        ; implicit-def: $vgpr105_vgpr106
.LBB51_14:
	ds_load_b64 v[105:106], v108
.LBB51_15:
	s_and_saveexec_b32 s4, s0
	s_cbranch_execz .LBB51_17
; %bb.16:
	scratch_load_b64 v[134:135], off, off offset:400
	v_mov_b32_e32 v136, 0
	ds_load_b64 v[136:137], v136 offset:816
	s_waitcnt vmcnt(0) lgkmcnt(0)
	v_fma_f64 v[105:106], v[134:135], v[136:137], v[105:106]
.LBB51_17:
	s_or_b32 exec_lo, exec_lo, s4
	v_mov_b32_e32 v134, 0
	ds_load_b64 v[134:135], v134 offset:392
	s_waitcnt lgkmcnt(0)
	v_mul_f64 v[105:106], v[105:106], v[134:135]
	scratch_store_b64 off, v[105:106], off offset:392
.LBB51_18:
	s_or_b32 exec_lo, exec_lo, s3
	scratch_load_b64 v[105:106], off, off offset:384
	v_cmp_lt_u32_e64 s0, 48, v0
	s_waitcnt vmcnt(0)
	ds_store_b64 v108, v[105:106]
	s_waitcnt lgkmcnt(0)
	s_waitcnt_vscnt null, 0x0
	s_barrier
	buffer_gl0_inv
	s_and_saveexec_b32 s3, s0
	s_cbranch_execz .LBB51_28
; %bb.19:
	s_and_not1_b32 vcc_lo, exec_lo, s2
	s_cbranch_vccnz .LBB51_21
; %bb.20:
	scratch_load_b64 v[105:106], v109, off
	ds_load_b64 v[134:135], v108
	s_waitcnt vmcnt(0) lgkmcnt(0)
	v_mul_f64 v[105:106], v[105:106], v[134:135]
	s_cbranch_execz .LBB51_22
	s_branch .LBB51_23
.LBB51_21:
                                        ; implicit-def: $vgpr105_vgpr106
.LBB51_22:
	ds_load_b64 v[105:106], v108
.LBB51_23:
	s_and_saveexec_b32 s4, s1
	s_cbranch_execz .LBB51_27
; %bb.24:
	v_mov_b32_e32 v134, 0
	v_subrev_nc_u32_e32 v135, 49, v0
	s_movk_i32 s5, 0x328
	s_mov_b32 s1, 0
	s_delay_alu instid0(VALU_DEP_2)
	v_add_nc_u32_e32 v134, 0x188, v134
.LBB51_25:                              ; =>This Inner Loop Header: Depth=1
	scratch_load_b64 v[136:137], v134, off
	v_dual_mov_b32 v138, s5 :: v_dual_add_nc_u32 v135, -1, v135
	v_add_nc_u32_e32 v134, 8, v134
	s_add_i32 s5, s5, 8
	ds_load_b64 v[138:139], v138
	v_cmp_eq_u32_e32 vcc_lo, 0, v135
	s_or_b32 s1, vcc_lo, s1
	s_waitcnt vmcnt(0) lgkmcnt(0)
	v_fma_f64 v[105:106], v[136:137], v[138:139], v[105:106]
	s_and_not1_b32 exec_lo, exec_lo, s1
	s_cbranch_execnz .LBB51_25
; %bb.26:
	s_or_b32 exec_lo, exec_lo, s1
.LBB51_27:
	s_delay_alu instid0(SALU_CYCLE_1)
	s_or_b32 exec_lo, exec_lo, s4
	v_mov_b32_e32 v134, 0
	ds_load_b64 v[134:135], v134 offset:384
	s_waitcnt lgkmcnt(0)
	v_mul_f64 v[105:106], v[105:106], v[134:135]
	scratch_store_b64 off, v[105:106], off offset:384
.LBB51_28:
	s_or_b32 exec_lo, exec_lo, s3
	scratch_load_b64 v[105:106], off, off offset:376
	v_cmp_lt_u32_e64 s1, 47, v0
	s_waitcnt vmcnt(0)
	ds_store_b64 v108, v[105:106]
	s_waitcnt lgkmcnt(0)
	s_waitcnt_vscnt null, 0x0
	s_barrier
	buffer_gl0_inv
	s_and_saveexec_b32 s3, s1
	s_cbranch_execz .LBB51_38
; %bb.29:
	s_and_not1_b32 vcc_lo, exec_lo, s2
	s_cbranch_vccnz .LBB51_31
; %bb.30:
	scratch_load_b64 v[105:106], v109, off
	ds_load_b64 v[134:135], v108
	s_waitcnt vmcnt(0) lgkmcnt(0)
	v_mul_f64 v[105:106], v[105:106], v[134:135]
	s_cbranch_execz .LBB51_32
	s_branch .LBB51_33
.LBB51_31:
                                        ; implicit-def: $vgpr105_vgpr106
.LBB51_32:
	ds_load_b64 v[105:106], v108
.LBB51_33:
	s_and_saveexec_b32 s4, s0
	s_cbranch_execz .LBB51_37
; %bb.34:
	v_subrev_nc_u32_e32 v134, 48, v0
	s_movk_i32 s5, 0x320
	s_mov_b32 s0, 0
.LBB51_35:                              ; =>This Inner Loop Header: Depth=1
	scratch_load_b64 v[135:136], v133, off
	v_dual_mov_b32 v137, s5 :: v_dual_add_nc_u32 v134, -1, v134
	v_add_nc_u32_e32 v133, 8, v133
	s_add_i32 s5, s5, 8
	ds_load_b64 v[137:138], v137
	v_cmp_eq_u32_e32 vcc_lo, 0, v134
	s_or_b32 s0, vcc_lo, s0
	s_waitcnt vmcnt(0) lgkmcnt(0)
	v_fma_f64 v[105:106], v[135:136], v[137:138], v[105:106]
	s_and_not1_b32 exec_lo, exec_lo, s0
	s_cbranch_execnz .LBB51_35
; %bb.36:
	s_or_b32 exec_lo, exec_lo, s0
.LBB51_37:
	s_delay_alu instid0(SALU_CYCLE_1)
	s_or_b32 exec_lo, exec_lo, s4
	v_mov_b32_e32 v133, 0
	ds_load_b64 v[133:134], v133 offset:376
	s_waitcnt lgkmcnt(0)
	v_mul_f64 v[105:106], v[105:106], v[133:134]
	scratch_store_b64 off, v[105:106], off offset:376
.LBB51_38:
	s_or_b32 exec_lo, exec_lo, s3
	scratch_load_b64 v[105:106], off, off offset:368
	v_cmp_lt_u32_e64 s0, 46, v0
	s_waitcnt vmcnt(0)
	ds_store_b64 v108, v[105:106]
	s_waitcnt lgkmcnt(0)
	s_waitcnt_vscnt null, 0x0
	s_barrier
	buffer_gl0_inv
	s_and_saveexec_b32 s3, s0
	s_cbranch_execz .LBB51_48
; %bb.39:
	s_and_not1_b32 vcc_lo, exec_lo, s2
	s_cbranch_vccnz .LBB51_41
; %bb.40:
	scratch_load_b64 v[105:106], v109, off
	ds_load_b64 v[133:134], v108
	s_waitcnt vmcnt(0) lgkmcnt(0)
	v_mul_f64 v[105:106], v[105:106], v[133:134]
	s_cbranch_execz .LBB51_42
	s_branch .LBB51_43
.LBB51_41:
                                        ; implicit-def: $vgpr105_vgpr106
.LBB51_42:
	ds_load_b64 v[105:106], v108
.LBB51_43:
	s_and_saveexec_b32 s4, s1
	s_cbranch_execz .LBB51_47
; %bb.44:
	v_mov_b32_e32 v133, 0
	v_subrev_nc_u32_e32 v134, 47, v0
	s_movk_i32 s5, 0x318
	s_mov_b32 s1, 0
	s_delay_alu instid0(VALU_DEP_2)
	v_add_nc_u32_e32 v133, 0x178, v133
.LBB51_45:                              ; =>This Inner Loop Header: Depth=1
	scratch_load_b64 v[135:136], v133, off
	v_dual_mov_b32 v137, s5 :: v_dual_add_nc_u32 v134, -1, v134
	v_add_nc_u32_e32 v133, 8, v133
	s_add_i32 s5, s5, 8
	ds_load_b64 v[137:138], v137
	v_cmp_eq_u32_e32 vcc_lo, 0, v134
	s_or_b32 s1, vcc_lo, s1
	s_waitcnt vmcnt(0) lgkmcnt(0)
	v_fma_f64 v[105:106], v[135:136], v[137:138], v[105:106]
	s_and_not1_b32 exec_lo, exec_lo, s1
	s_cbranch_execnz .LBB51_45
; %bb.46:
	s_or_b32 exec_lo, exec_lo, s1
.LBB51_47:
	s_delay_alu instid0(SALU_CYCLE_1)
	s_or_b32 exec_lo, exec_lo, s4
	v_mov_b32_e32 v133, 0
	ds_load_b64 v[133:134], v133 offset:368
	s_waitcnt lgkmcnt(0)
	v_mul_f64 v[105:106], v[105:106], v[133:134]
	scratch_store_b64 off, v[105:106], off offset:368
.LBB51_48:
	s_or_b32 exec_lo, exec_lo, s3
	scratch_load_b64 v[105:106], off, off offset:360
	v_cmp_lt_u32_e64 s1, 45, v0
	s_waitcnt vmcnt(0)
	ds_store_b64 v108, v[105:106]
	s_waitcnt lgkmcnt(0)
	s_waitcnt_vscnt null, 0x0
	s_barrier
	buffer_gl0_inv
	s_and_saveexec_b32 s3, s1
	s_cbranch_execz .LBB51_58
; %bb.49:
	s_and_not1_b32 vcc_lo, exec_lo, s2
	s_cbranch_vccnz .LBB51_51
; %bb.50:
	scratch_load_b64 v[105:106], v109, off
	ds_load_b64 v[133:134], v108
	s_waitcnt vmcnt(0) lgkmcnt(0)
	v_mul_f64 v[105:106], v[105:106], v[133:134]
	s_cbranch_execz .LBB51_52
	s_branch .LBB51_53
.LBB51_51:
                                        ; implicit-def: $vgpr105_vgpr106
.LBB51_52:
	ds_load_b64 v[105:106], v108
.LBB51_53:
	s_and_saveexec_b32 s4, s0
	s_cbranch_execz .LBB51_57
; %bb.54:
	v_subrev_nc_u32_e32 v133, 46, v0
	s_movk_i32 s5, 0x310
	s_mov_b32 s0, 0
.LBB51_55:                              ; =>This Inner Loop Header: Depth=1
	scratch_load_b64 v[134:135], v132, off
	v_dual_mov_b32 v136, s5 :: v_dual_add_nc_u32 v133, -1, v133
	v_add_nc_u32_e32 v132, 8, v132
	s_add_i32 s5, s5, 8
	ds_load_b64 v[136:137], v136
	v_cmp_eq_u32_e32 vcc_lo, 0, v133
	s_or_b32 s0, vcc_lo, s0
	s_waitcnt vmcnt(0) lgkmcnt(0)
	v_fma_f64 v[105:106], v[134:135], v[136:137], v[105:106]
	s_and_not1_b32 exec_lo, exec_lo, s0
	s_cbranch_execnz .LBB51_55
; %bb.56:
	s_or_b32 exec_lo, exec_lo, s0
.LBB51_57:
	s_delay_alu instid0(SALU_CYCLE_1)
	s_or_b32 exec_lo, exec_lo, s4
	v_mov_b32_e32 v132, 0
	ds_load_b64 v[132:133], v132 offset:360
	s_waitcnt lgkmcnt(0)
	v_mul_f64 v[105:106], v[105:106], v[132:133]
	scratch_store_b64 off, v[105:106], off offset:360
.LBB51_58:
	s_or_b32 exec_lo, exec_lo, s3
	scratch_load_b64 v[105:106], off, off offset:352
	v_cmp_lt_u32_e64 s0, 44, v0
	s_waitcnt vmcnt(0)
	ds_store_b64 v108, v[105:106]
	s_waitcnt lgkmcnt(0)
	s_waitcnt_vscnt null, 0x0
	s_barrier
	buffer_gl0_inv
	s_and_saveexec_b32 s3, s0
	s_cbranch_execz .LBB51_68
; %bb.59:
	s_and_not1_b32 vcc_lo, exec_lo, s2
	s_cbranch_vccnz .LBB51_61
; %bb.60:
	scratch_load_b64 v[105:106], v109, off
	ds_load_b64 v[132:133], v108
	s_waitcnt vmcnt(0) lgkmcnt(0)
	v_mul_f64 v[105:106], v[105:106], v[132:133]
	s_cbranch_execz .LBB51_62
	s_branch .LBB51_63
.LBB51_61:
                                        ; implicit-def: $vgpr105_vgpr106
.LBB51_62:
	ds_load_b64 v[105:106], v108
.LBB51_63:
	s_and_saveexec_b32 s4, s1
	s_cbranch_execz .LBB51_67
; %bb.64:
	v_mov_b32_e32 v132, 0
	v_subrev_nc_u32_e32 v133, 45, v0
	s_movk_i32 s5, 0x308
	s_mov_b32 s1, 0
	s_delay_alu instid0(VALU_DEP_2)
	v_add_nc_u32_e32 v132, 0x168, v132
.LBB51_65:                              ; =>This Inner Loop Header: Depth=1
	scratch_load_b64 v[134:135], v132, off
	v_dual_mov_b32 v136, s5 :: v_dual_add_nc_u32 v133, -1, v133
	v_add_nc_u32_e32 v132, 8, v132
	s_add_i32 s5, s5, 8
	ds_load_b64 v[136:137], v136
	v_cmp_eq_u32_e32 vcc_lo, 0, v133
	s_or_b32 s1, vcc_lo, s1
	s_waitcnt vmcnt(0) lgkmcnt(0)
	v_fma_f64 v[105:106], v[134:135], v[136:137], v[105:106]
	s_and_not1_b32 exec_lo, exec_lo, s1
	s_cbranch_execnz .LBB51_65
; %bb.66:
	s_or_b32 exec_lo, exec_lo, s1
.LBB51_67:
	s_delay_alu instid0(SALU_CYCLE_1)
	s_or_b32 exec_lo, exec_lo, s4
	v_mov_b32_e32 v132, 0
	ds_load_b64 v[132:133], v132 offset:352
	s_waitcnt lgkmcnt(0)
	v_mul_f64 v[105:106], v[105:106], v[132:133]
	scratch_store_b64 off, v[105:106], off offset:352
.LBB51_68:
	s_or_b32 exec_lo, exec_lo, s3
	scratch_load_b64 v[105:106], off, off offset:344
	v_cmp_lt_u32_e64 s1, 43, v0
	s_waitcnt vmcnt(0)
	ds_store_b64 v108, v[105:106]
	s_waitcnt lgkmcnt(0)
	s_waitcnt_vscnt null, 0x0
	s_barrier
	buffer_gl0_inv
	s_and_saveexec_b32 s3, s1
	s_cbranch_execz .LBB51_78
; %bb.69:
	s_and_not1_b32 vcc_lo, exec_lo, s2
	s_cbranch_vccnz .LBB51_71
; %bb.70:
	scratch_load_b64 v[105:106], v109, off
	ds_load_b64 v[132:133], v108
	s_waitcnt vmcnt(0) lgkmcnt(0)
	v_mul_f64 v[105:106], v[105:106], v[132:133]
	s_cbranch_execz .LBB51_72
	s_branch .LBB51_73
.LBB51_71:
                                        ; implicit-def: $vgpr105_vgpr106
.LBB51_72:
	ds_load_b64 v[105:106], v108
.LBB51_73:
	s_and_saveexec_b32 s4, s0
	s_cbranch_execz .LBB51_77
; %bb.74:
	v_subrev_nc_u32_e32 v132, 44, v0
	s_movk_i32 s5, 0x300
	s_mov_b32 s0, 0
.LBB51_75:                              ; =>This Inner Loop Header: Depth=1
	scratch_load_b64 v[133:134], v131, off
	v_dual_mov_b32 v135, s5 :: v_dual_add_nc_u32 v132, -1, v132
	v_add_nc_u32_e32 v131, 8, v131
	s_add_i32 s5, s5, 8
	ds_load_b64 v[135:136], v135
	v_cmp_eq_u32_e32 vcc_lo, 0, v132
	s_or_b32 s0, vcc_lo, s0
	s_waitcnt vmcnt(0) lgkmcnt(0)
	v_fma_f64 v[105:106], v[133:134], v[135:136], v[105:106]
	s_and_not1_b32 exec_lo, exec_lo, s0
	s_cbranch_execnz .LBB51_75
; %bb.76:
	s_or_b32 exec_lo, exec_lo, s0
.LBB51_77:
	s_delay_alu instid0(SALU_CYCLE_1)
	s_or_b32 exec_lo, exec_lo, s4
	v_mov_b32_e32 v131, 0
	ds_load_b64 v[131:132], v131 offset:344
	s_waitcnt lgkmcnt(0)
	v_mul_f64 v[105:106], v[105:106], v[131:132]
	scratch_store_b64 off, v[105:106], off offset:344
.LBB51_78:
	s_or_b32 exec_lo, exec_lo, s3
	scratch_load_b64 v[105:106], off, off offset:336
	v_cmp_lt_u32_e64 s0, 42, v0
	s_waitcnt vmcnt(0)
	ds_store_b64 v108, v[105:106]
	s_waitcnt lgkmcnt(0)
	s_waitcnt_vscnt null, 0x0
	s_barrier
	buffer_gl0_inv
	s_and_saveexec_b32 s3, s0
	s_cbranch_execz .LBB51_88
; %bb.79:
	s_and_not1_b32 vcc_lo, exec_lo, s2
	s_cbranch_vccnz .LBB51_81
; %bb.80:
	scratch_load_b64 v[105:106], v109, off
	ds_load_b64 v[131:132], v108
	s_waitcnt vmcnt(0) lgkmcnt(0)
	v_mul_f64 v[105:106], v[105:106], v[131:132]
	s_cbranch_execz .LBB51_82
	s_branch .LBB51_83
.LBB51_81:
                                        ; implicit-def: $vgpr105_vgpr106
.LBB51_82:
	ds_load_b64 v[105:106], v108
.LBB51_83:
	s_and_saveexec_b32 s4, s1
	s_cbranch_execz .LBB51_87
; %bb.84:
	v_mov_b32_e32 v131, 0
	v_subrev_nc_u32_e32 v132, 43, v0
	s_movk_i32 s5, 0x2f8
	s_mov_b32 s1, 0
	s_delay_alu instid0(VALU_DEP_2)
	v_add_nc_u32_e32 v131, 0x158, v131
.LBB51_85:                              ; =>This Inner Loop Header: Depth=1
	scratch_load_b64 v[133:134], v131, off
	v_dual_mov_b32 v135, s5 :: v_dual_add_nc_u32 v132, -1, v132
	v_add_nc_u32_e32 v131, 8, v131
	s_add_i32 s5, s5, 8
	ds_load_b64 v[135:136], v135
	v_cmp_eq_u32_e32 vcc_lo, 0, v132
	s_or_b32 s1, vcc_lo, s1
	s_waitcnt vmcnt(0) lgkmcnt(0)
	v_fma_f64 v[105:106], v[133:134], v[135:136], v[105:106]
	s_and_not1_b32 exec_lo, exec_lo, s1
	s_cbranch_execnz .LBB51_85
; %bb.86:
	s_or_b32 exec_lo, exec_lo, s1
.LBB51_87:
	s_delay_alu instid0(SALU_CYCLE_1)
	s_or_b32 exec_lo, exec_lo, s4
	v_mov_b32_e32 v131, 0
	ds_load_b64 v[131:132], v131 offset:336
	s_waitcnt lgkmcnt(0)
	v_mul_f64 v[105:106], v[105:106], v[131:132]
	scratch_store_b64 off, v[105:106], off offset:336
.LBB51_88:
	s_or_b32 exec_lo, exec_lo, s3
	scratch_load_b64 v[105:106], off, off offset:328
	v_cmp_lt_u32_e64 s1, 41, v0
	s_waitcnt vmcnt(0)
	ds_store_b64 v108, v[105:106]
	s_waitcnt lgkmcnt(0)
	s_waitcnt_vscnt null, 0x0
	s_barrier
	buffer_gl0_inv
	s_and_saveexec_b32 s3, s1
	s_cbranch_execz .LBB51_98
; %bb.89:
	s_and_not1_b32 vcc_lo, exec_lo, s2
	s_cbranch_vccnz .LBB51_91
; %bb.90:
	scratch_load_b64 v[105:106], v109, off
	ds_load_b64 v[131:132], v108
	s_waitcnt vmcnt(0) lgkmcnt(0)
	v_mul_f64 v[105:106], v[105:106], v[131:132]
	s_cbranch_execz .LBB51_92
	s_branch .LBB51_93
.LBB51_91:
                                        ; implicit-def: $vgpr105_vgpr106
.LBB51_92:
	ds_load_b64 v[105:106], v108
.LBB51_93:
	s_and_saveexec_b32 s4, s0
	s_cbranch_execz .LBB51_97
; %bb.94:
	v_subrev_nc_u32_e32 v131, 42, v0
	s_movk_i32 s5, 0x2f0
	s_mov_b32 s0, 0
.LBB51_95:                              ; =>This Inner Loop Header: Depth=1
	scratch_load_b64 v[132:133], v130, off
	v_dual_mov_b32 v134, s5 :: v_dual_add_nc_u32 v131, -1, v131
	v_add_nc_u32_e32 v130, 8, v130
	s_add_i32 s5, s5, 8
	ds_load_b64 v[134:135], v134
	v_cmp_eq_u32_e32 vcc_lo, 0, v131
	s_or_b32 s0, vcc_lo, s0
	s_waitcnt vmcnt(0) lgkmcnt(0)
	v_fma_f64 v[105:106], v[132:133], v[134:135], v[105:106]
	s_and_not1_b32 exec_lo, exec_lo, s0
	s_cbranch_execnz .LBB51_95
; %bb.96:
	s_or_b32 exec_lo, exec_lo, s0
.LBB51_97:
	s_delay_alu instid0(SALU_CYCLE_1)
	s_or_b32 exec_lo, exec_lo, s4
	v_mov_b32_e32 v130, 0
	ds_load_b64 v[130:131], v130 offset:328
	s_waitcnt lgkmcnt(0)
	v_mul_f64 v[105:106], v[105:106], v[130:131]
	scratch_store_b64 off, v[105:106], off offset:328
.LBB51_98:
	s_or_b32 exec_lo, exec_lo, s3
	scratch_load_b64 v[105:106], off, off offset:320
	v_cmp_lt_u32_e64 s0, 40, v0
	s_waitcnt vmcnt(0)
	ds_store_b64 v108, v[105:106]
	s_waitcnt lgkmcnt(0)
	s_waitcnt_vscnt null, 0x0
	s_barrier
	buffer_gl0_inv
	s_and_saveexec_b32 s3, s0
	s_cbranch_execz .LBB51_108
; %bb.99:
	s_and_not1_b32 vcc_lo, exec_lo, s2
	s_cbranch_vccnz .LBB51_101
; %bb.100:
	scratch_load_b64 v[105:106], v109, off
	ds_load_b64 v[130:131], v108
	s_waitcnt vmcnt(0) lgkmcnt(0)
	v_mul_f64 v[105:106], v[105:106], v[130:131]
	s_cbranch_execz .LBB51_102
	s_branch .LBB51_103
.LBB51_101:
                                        ; implicit-def: $vgpr105_vgpr106
.LBB51_102:
	ds_load_b64 v[105:106], v108
.LBB51_103:
	s_and_saveexec_b32 s4, s1
	s_cbranch_execz .LBB51_107
; %bb.104:
	v_mov_b32_e32 v130, 0
	v_subrev_nc_u32_e32 v131, 41, v0
	s_movk_i32 s5, 0x2e8
	s_mov_b32 s1, 0
	s_delay_alu instid0(VALU_DEP_2)
	v_add_nc_u32_e32 v130, 0x148, v130
.LBB51_105:                             ; =>This Inner Loop Header: Depth=1
	scratch_load_b64 v[132:133], v130, off
	v_dual_mov_b32 v134, s5 :: v_dual_add_nc_u32 v131, -1, v131
	v_add_nc_u32_e32 v130, 8, v130
	s_add_i32 s5, s5, 8
	ds_load_b64 v[134:135], v134
	v_cmp_eq_u32_e32 vcc_lo, 0, v131
	s_or_b32 s1, vcc_lo, s1
	s_waitcnt vmcnt(0) lgkmcnt(0)
	v_fma_f64 v[105:106], v[132:133], v[134:135], v[105:106]
	s_and_not1_b32 exec_lo, exec_lo, s1
	s_cbranch_execnz .LBB51_105
; %bb.106:
	s_or_b32 exec_lo, exec_lo, s1
.LBB51_107:
	s_delay_alu instid0(SALU_CYCLE_1)
	s_or_b32 exec_lo, exec_lo, s4
	v_mov_b32_e32 v130, 0
	ds_load_b64 v[130:131], v130 offset:320
	s_waitcnt lgkmcnt(0)
	v_mul_f64 v[105:106], v[105:106], v[130:131]
	scratch_store_b64 off, v[105:106], off offset:320
.LBB51_108:
	s_or_b32 exec_lo, exec_lo, s3
	scratch_load_b64 v[105:106], off, off offset:312
	v_cmp_lt_u32_e64 s1, 39, v0
	s_waitcnt vmcnt(0)
	ds_store_b64 v108, v[105:106]
	s_waitcnt lgkmcnt(0)
	s_waitcnt_vscnt null, 0x0
	s_barrier
	buffer_gl0_inv
	s_and_saveexec_b32 s3, s1
	s_cbranch_execz .LBB51_118
; %bb.109:
	s_and_not1_b32 vcc_lo, exec_lo, s2
	s_cbranch_vccnz .LBB51_111
; %bb.110:
	scratch_load_b64 v[105:106], v109, off
	ds_load_b64 v[130:131], v108
	s_waitcnt vmcnt(0) lgkmcnt(0)
	v_mul_f64 v[105:106], v[105:106], v[130:131]
	s_cbranch_execz .LBB51_112
	s_branch .LBB51_113
.LBB51_111:
                                        ; implicit-def: $vgpr105_vgpr106
.LBB51_112:
	ds_load_b64 v[105:106], v108
.LBB51_113:
	s_and_saveexec_b32 s4, s0
	s_cbranch_execz .LBB51_117
; %bb.114:
	v_subrev_nc_u32_e32 v130, 40, v0
	s_movk_i32 s5, 0x2e0
	s_mov_b32 s0, 0
.LBB51_115:                             ; =>This Inner Loop Header: Depth=1
	scratch_load_b64 v[131:132], v129, off
	v_dual_mov_b32 v133, s5 :: v_dual_add_nc_u32 v130, -1, v130
	v_add_nc_u32_e32 v129, 8, v129
	s_add_i32 s5, s5, 8
	ds_load_b64 v[133:134], v133
	v_cmp_eq_u32_e32 vcc_lo, 0, v130
	s_or_b32 s0, vcc_lo, s0
	s_waitcnt vmcnt(0) lgkmcnt(0)
	v_fma_f64 v[105:106], v[131:132], v[133:134], v[105:106]
	s_and_not1_b32 exec_lo, exec_lo, s0
	s_cbranch_execnz .LBB51_115
; %bb.116:
	s_or_b32 exec_lo, exec_lo, s0
.LBB51_117:
	s_delay_alu instid0(SALU_CYCLE_1)
	s_or_b32 exec_lo, exec_lo, s4
	v_mov_b32_e32 v129, 0
	ds_load_b64 v[129:130], v129 offset:312
	s_waitcnt lgkmcnt(0)
	v_mul_f64 v[105:106], v[105:106], v[129:130]
	scratch_store_b64 off, v[105:106], off offset:312
.LBB51_118:
	s_or_b32 exec_lo, exec_lo, s3
	scratch_load_b64 v[105:106], off, off offset:304
	v_cmp_lt_u32_e64 s0, 38, v0
	s_waitcnt vmcnt(0)
	ds_store_b64 v108, v[105:106]
	s_waitcnt lgkmcnt(0)
	s_waitcnt_vscnt null, 0x0
	s_barrier
	buffer_gl0_inv
	s_and_saveexec_b32 s3, s0
	s_cbranch_execz .LBB51_128
; %bb.119:
	s_and_not1_b32 vcc_lo, exec_lo, s2
	s_cbranch_vccnz .LBB51_121
; %bb.120:
	scratch_load_b64 v[105:106], v109, off
	ds_load_b64 v[129:130], v108
	s_waitcnt vmcnt(0) lgkmcnt(0)
	v_mul_f64 v[105:106], v[105:106], v[129:130]
	s_cbranch_execz .LBB51_122
	s_branch .LBB51_123
.LBB51_121:
                                        ; implicit-def: $vgpr105_vgpr106
.LBB51_122:
	ds_load_b64 v[105:106], v108
.LBB51_123:
	s_and_saveexec_b32 s4, s1
	s_cbranch_execz .LBB51_127
; %bb.124:
	v_mov_b32_e32 v129, 0
	v_subrev_nc_u32_e32 v130, 39, v0
	s_movk_i32 s5, 0x2d8
	s_mov_b32 s1, 0
	s_delay_alu instid0(VALU_DEP_2)
	v_add_nc_u32_e32 v129, 0x138, v129
.LBB51_125:                             ; =>This Inner Loop Header: Depth=1
	scratch_load_b64 v[131:132], v129, off
	v_dual_mov_b32 v133, s5 :: v_dual_add_nc_u32 v130, -1, v130
	v_add_nc_u32_e32 v129, 8, v129
	s_add_i32 s5, s5, 8
	ds_load_b64 v[133:134], v133
	v_cmp_eq_u32_e32 vcc_lo, 0, v130
	s_or_b32 s1, vcc_lo, s1
	s_waitcnt vmcnt(0) lgkmcnt(0)
	v_fma_f64 v[105:106], v[131:132], v[133:134], v[105:106]
	s_and_not1_b32 exec_lo, exec_lo, s1
	s_cbranch_execnz .LBB51_125
; %bb.126:
	s_or_b32 exec_lo, exec_lo, s1
.LBB51_127:
	s_delay_alu instid0(SALU_CYCLE_1)
	s_or_b32 exec_lo, exec_lo, s4
	v_mov_b32_e32 v129, 0
	ds_load_b64 v[129:130], v129 offset:304
	s_waitcnt lgkmcnt(0)
	v_mul_f64 v[105:106], v[105:106], v[129:130]
	scratch_store_b64 off, v[105:106], off offset:304
.LBB51_128:
	s_or_b32 exec_lo, exec_lo, s3
	scratch_load_b64 v[105:106], off, off offset:296
	v_cmp_lt_u32_e64 s1, 37, v0
	s_waitcnt vmcnt(0)
	ds_store_b64 v108, v[105:106]
	s_waitcnt lgkmcnt(0)
	s_waitcnt_vscnt null, 0x0
	s_barrier
	buffer_gl0_inv
	s_and_saveexec_b32 s3, s1
	s_cbranch_execz .LBB51_138
; %bb.129:
	s_and_not1_b32 vcc_lo, exec_lo, s2
	s_cbranch_vccnz .LBB51_131
; %bb.130:
	scratch_load_b64 v[105:106], v109, off
	ds_load_b64 v[129:130], v108
	s_waitcnt vmcnt(0) lgkmcnt(0)
	v_mul_f64 v[105:106], v[105:106], v[129:130]
	s_cbranch_execz .LBB51_132
	s_branch .LBB51_133
.LBB51_131:
                                        ; implicit-def: $vgpr105_vgpr106
.LBB51_132:
	ds_load_b64 v[105:106], v108
.LBB51_133:
	s_and_saveexec_b32 s4, s0
	s_cbranch_execz .LBB51_137
; %bb.134:
	v_subrev_nc_u32_e32 v129, 38, v0
	s_movk_i32 s5, 0x2d0
	s_mov_b32 s0, 0
.LBB51_135:                             ; =>This Inner Loop Header: Depth=1
	scratch_load_b64 v[130:131], v128, off
	v_dual_mov_b32 v132, s5 :: v_dual_add_nc_u32 v129, -1, v129
	v_add_nc_u32_e32 v128, 8, v128
	s_add_i32 s5, s5, 8
	ds_load_b64 v[132:133], v132
	v_cmp_eq_u32_e32 vcc_lo, 0, v129
	s_or_b32 s0, vcc_lo, s0
	s_waitcnt vmcnt(0) lgkmcnt(0)
	v_fma_f64 v[105:106], v[130:131], v[132:133], v[105:106]
	s_and_not1_b32 exec_lo, exec_lo, s0
	s_cbranch_execnz .LBB51_135
; %bb.136:
	s_or_b32 exec_lo, exec_lo, s0
.LBB51_137:
	s_delay_alu instid0(SALU_CYCLE_1)
	s_or_b32 exec_lo, exec_lo, s4
	v_mov_b32_e32 v128, 0
	ds_load_b64 v[128:129], v128 offset:296
	s_waitcnt lgkmcnt(0)
	v_mul_f64 v[105:106], v[105:106], v[128:129]
	scratch_store_b64 off, v[105:106], off offset:296
.LBB51_138:
	s_or_b32 exec_lo, exec_lo, s3
	scratch_load_b64 v[105:106], off, off offset:288
	v_cmp_lt_u32_e64 s0, 36, v0
	s_waitcnt vmcnt(0)
	ds_store_b64 v108, v[105:106]
	s_waitcnt lgkmcnt(0)
	s_waitcnt_vscnt null, 0x0
	s_barrier
	buffer_gl0_inv
	s_and_saveexec_b32 s3, s0
	s_cbranch_execz .LBB51_148
; %bb.139:
	s_and_not1_b32 vcc_lo, exec_lo, s2
	s_cbranch_vccnz .LBB51_141
; %bb.140:
	scratch_load_b64 v[105:106], v109, off
	ds_load_b64 v[128:129], v108
	s_waitcnt vmcnt(0) lgkmcnt(0)
	v_mul_f64 v[105:106], v[105:106], v[128:129]
	s_cbranch_execz .LBB51_142
	s_branch .LBB51_143
.LBB51_141:
                                        ; implicit-def: $vgpr105_vgpr106
.LBB51_142:
	ds_load_b64 v[105:106], v108
.LBB51_143:
	s_and_saveexec_b32 s4, s1
	s_cbranch_execz .LBB51_147
; %bb.144:
	v_mov_b32_e32 v128, 0
	v_subrev_nc_u32_e32 v129, 37, v0
	s_movk_i32 s5, 0x2c8
	s_mov_b32 s1, 0
	s_delay_alu instid0(VALU_DEP_2)
	v_add_nc_u32_e32 v128, 0x128, v128
.LBB51_145:                             ; =>This Inner Loop Header: Depth=1
	scratch_load_b64 v[130:131], v128, off
	v_dual_mov_b32 v132, s5 :: v_dual_add_nc_u32 v129, -1, v129
	v_add_nc_u32_e32 v128, 8, v128
	s_add_i32 s5, s5, 8
	ds_load_b64 v[132:133], v132
	v_cmp_eq_u32_e32 vcc_lo, 0, v129
	s_or_b32 s1, vcc_lo, s1
	s_waitcnt vmcnt(0) lgkmcnt(0)
	v_fma_f64 v[105:106], v[130:131], v[132:133], v[105:106]
	s_and_not1_b32 exec_lo, exec_lo, s1
	s_cbranch_execnz .LBB51_145
; %bb.146:
	s_or_b32 exec_lo, exec_lo, s1
.LBB51_147:
	s_delay_alu instid0(SALU_CYCLE_1)
	s_or_b32 exec_lo, exec_lo, s4
	v_mov_b32_e32 v128, 0
	ds_load_b64 v[128:129], v128 offset:288
	s_waitcnt lgkmcnt(0)
	v_mul_f64 v[105:106], v[105:106], v[128:129]
	scratch_store_b64 off, v[105:106], off offset:288
.LBB51_148:
	s_or_b32 exec_lo, exec_lo, s3
	scratch_load_b64 v[105:106], off, off offset:280
	v_cmp_lt_u32_e64 s1, 35, v0
	s_waitcnt vmcnt(0)
	ds_store_b64 v108, v[105:106]
	s_waitcnt lgkmcnt(0)
	s_waitcnt_vscnt null, 0x0
	s_barrier
	buffer_gl0_inv
	s_and_saveexec_b32 s3, s1
	s_cbranch_execz .LBB51_158
; %bb.149:
	s_and_not1_b32 vcc_lo, exec_lo, s2
	s_cbranch_vccnz .LBB51_151
; %bb.150:
	scratch_load_b64 v[105:106], v109, off
	ds_load_b64 v[128:129], v108
	s_waitcnt vmcnt(0) lgkmcnt(0)
	v_mul_f64 v[105:106], v[105:106], v[128:129]
	s_cbranch_execz .LBB51_152
	s_branch .LBB51_153
.LBB51_151:
                                        ; implicit-def: $vgpr105_vgpr106
.LBB51_152:
	ds_load_b64 v[105:106], v108
.LBB51_153:
	s_and_saveexec_b32 s4, s0
	s_cbranch_execz .LBB51_157
; %bb.154:
	v_subrev_nc_u32_e32 v128, 36, v0
	s_movk_i32 s5, 0x2c0
	s_mov_b32 s0, 0
.LBB51_155:                             ; =>This Inner Loop Header: Depth=1
	scratch_load_b64 v[129:130], v127, off
	v_dual_mov_b32 v131, s5 :: v_dual_add_nc_u32 v128, -1, v128
	v_add_nc_u32_e32 v127, 8, v127
	s_add_i32 s5, s5, 8
	ds_load_b64 v[131:132], v131
	v_cmp_eq_u32_e32 vcc_lo, 0, v128
	s_or_b32 s0, vcc_lo, s0
	s_waitcnt vmcnt(0) lgkmcnt(0)
	v_fma_f64 v[105:106], v[129:130], v[131:132], v[105:106]
	s_and_not1_b32 exec_lo, exec_lo, s0
	s_cbranch_execnz .LBB51_155
; %bb.156:
	s_or_b32 exec_lo, exec_lo, s0
.LBB51_157:
	s_delay_alu instid0(SALU_CYCLE_1)
	s_or_b32 exec_lo, exec_lo, s4
	v_mov_b32_e32 v127, 0
	ds_load_b64 v[127:128], v127 offset:280
	s_waitcnt lgkmcnt(0)
	v_mul_f64 v[105:106], v[105:106], v[127:128]
	scratch_store_b64 off, v[105:106], off offset:280
.LBB51_158:
	s_or_b32 exec_lo, exec_lo, s3
	scratch_load_b64 v[105:106], off, off offset:272
	v_cmp_lt_u32_e64 s0, 34, v0
	s_waitcnt vmcnt(0)
	ds_store_b64 v108, v[105:106]
	s_waitcnt lgkmcnt(0)
	s_waitcnt_vscnt null, 0x0
	s_barrier
	buffer_gl0_inv
	s_and_saveexec_b32 s3, s0
	s_cbranch_execz .LBB51_168
; %bb.159:
	s_and_not1_b32 vcc_lo, exec_lo, s2
	s_cbranch_vccnz .LBB51_161
; %bb.160:
	scratch_load_b64 v[105:106], v109, off
	ds_load_b64 v[127:128], v108
	s_waitcnt vmcnt(0) lgkmcnt(0)
	v_mul_f64 v[105:106], v[105:106], v[127:128]
	s_cbranch_execz .LBB51_162
	s_branch .LBB51_163
.LBB51_161:
                                        ; implicit-def: $vgpr105_vgpr106
.LBB51_162:
	ds_load_b64 v[105:106], v108
.LBB51_163:
	s_and_saveexec_b32 s4, s1
	s_cbranch_execz .LBB51_167
; %bb.164:
	v_mov_b32_e32 v127, 0
	v_subrev_nc_u32_e32 v128, 35, v0
	s_movk_i32 s5, 0x2b8
	s_mov_b32 s1, 0
	s_delay_alu instid0(VALU_DEP_2)
	v_add_nc_u32_e32 v127, 0x118, v127
.LBB51_165:                             ; =>This Inner Loop Header: Depth=1
	scratch_load_b64 v[129:130], v127, off
	v_dual_mov_b32 v131, s5 :: v_dual_add_nc_u32 v128, -1, v128
	v_add_nc_u32_e32 v127, 8, v127
	s_add_i32 s5, s5, 8
	ds_load_b64 v[131:132], v131
	v_cmp_eq_u32_e32 vcc_lo, 0, v128
	s_or_b32 s1, vcc_lo, s1
	s_waitcnt vmcnt(0) lgkmcnt(0)
	v_fma_f64 v[105:106], v[129:130], v[131:132], v[105:106]
	s_and_not1_b32 exec_lo, exec_lo, s1
	s_cbranch_execnz .LBB51_165
; %bb.166:
	s_or_b32 exec_lo, exec_lo, s1
.LBB51_167:
	s_delay_alu instid0(SALU_CYCLE_1)
	s_or_b32 exec_lo, exec_lo, s4
	v_mov_b32_e32 v127, 0
	ds_load_b64 v[127:128], v127 offset:272
	s_waitcnt lgkmcnt(0)
	v_mul_f64 v[105:106], v[105:106], v[127:128]
	scratch_store_b64 off, v[105:106], off offset:272
.LBB51_168:
	s_or_b32 exec_lo, exec_lo, s3
	scratch_load_b64 v[105:106], off, off offset:264
	v_cmp_lt_u32_e64 s1, 33, v0
	s_waitcnt vmcnt(0)
	ds_store_b64 v108, v[105:106]
	s_waitcnt lgkmcnt(0)
	s_waitcnt_vscnt null, 0x0
	s_barrier
	buffer_gl0_inv
	s_and_saveexec_b32 s3, s1
	s_cbranch_execz .LBB51_178
; %bb.169:
	s_and_not1_b32 vcc_lo, exec_lo, s2
	s_cbranch_vccnz .LBB51_171
; %bb.170:
	scratch_load_b64 v[105:106], v109, off
	ds_load_b64 v[127:128], v108
	s_waitcnt vmcnt(0) lgkmcnt(0)
	v_mul_f64 v[105:106], v[105:106], v[127:128]
	s_cbranch_execz .LBB51_172
	s_branch .LBB51_173
.LBB51_171:
                                        ; implicit-def: $vgpr105_vgpr106
.LBB51_172:
	ds_load_b64 v[105:106], v108
.LBB51_173:
	s_and_saveexec_b32 s4, s0
	s_cbranch_execz .LBB51_177
; %bb.174:
	v_subrev_nc_u32_e32 v127, 34, v0
	s_movk_i32 s5, 0x2b0
	s_mov_b32 s0, 0
.LBB51_175:                             ; =>This Inner Loop Header: Depth=1
	scratch_load_b64 v[128:129], v126, off
	v_dual_mov_b32 v130, s5 :: v_dual_add_nc_u32 v127, -1, v127
	v_add_nc_u32_e32 v126, 8, v126
	s_add_i32 s5, s5, 8
	ds_load_b64 v[130:131], v130
	v_cmp_eq_u32_e32 vcc_lo, 0, v127
	s_or_b32 s0, vcc_lo, s0
	s_waitcnt vmcnt(0) lgkmcnt(0)
	v_fma_f64 v[105:106], v[128:129], v[130:131], v[105:106]
	s_and_not1_b32 exec_lo, exec_lo, s0
	s_cbranch_execnz .LBB51_175
; %bb.176:
	s_or_b32 exec_lo, exec_lo, s0
.LBB51_177:
	s_delay_alu instid0(SALU_CYCLE_1)
	s_or_b32 exec_lo, exec_lo, s4
	v_mov_b32_e32 v126, 0
	ds_load_b64 v[126:127], v126 offset:264
	s_waitcnt lgkmcnt(0)
	v_mul_f64 v[105:106], v[105:106], v[126:127]
	scratch_store_b64 off, v[105:106], off offset:264
.LBB51_178:
	s_or_b32 exec_lo, exec_lo, s3
	scratch_load_b64 v[105:106], off, off offset:256
	v_cmp_lt_u32_e64 s0, 32, v0
	s_waitcnt vmcnt(0)
	ds_store_b64 v108, v[105:106]
	s_waitcnt lgkmcnt(0)
	s_waitcnt_vscnt null, 0x0
	s_barrier
	buffer_gl0_inv
	s_and_saveexec_b32 s3, s0
	s_cbranch_execz .LBB51_188
; %bb.179:
	s_and_not1_b32 vcc_lo, exec_lo, s2
	s_cbranch_vccnz .LBB51_181
; %bb.180:
	scratch_load_b64 v[105:106], v109, off
	ds_load_b64 v[126:127], v108
	s_waitcnt vmcnt(0) lgkmcnt(0)
	v_mul_f64 v[105:106], v[105:106], v[126:127]
	s_cbranch_execz .LBB51_182
	s_branch .LBB51_183
.LBB51_181:
                                        ; implicit-def: $vgpr105_vgpr106
.LBB51_182:
	ds_load_b64 v[105:106], v108
.LBB51_183:
	s_and_saveexec_b32 s4, s1
	s_cbranch_execz .LBB51_187
; %bb.184:
	v_mov_b32_e32 v126, 0
	v_subrev_nc_u32_e32 v127, 33, v0
	s_movk_i32 s5, 0x2a8
	s_mov_b32 s1, 0
	s_delay_alu instid0(VALU_DEP_2)
	v_add_nc_u32_e32 v126, 0x108, v126
.LBB51_185:                             ; =>This Inner Loop Header: Depth=1
	scratch_load_b64 v[128:129], v126, off
	v_dual_mov_b32 v130, s5 :: v_dual_add_nc_u32 v127, -1, v127
	v_add_nc_u32_e32 v126, 8, v126
	s_add_i32 s5, s5, 8
	ds_load_b64 v[130:131], v130
	v_cmp_eq_u32_e32 vcc_lo, 0, v127
	s_or_b32 s1, vcc_lo, s1
	s_waitcnt vmcnt(0) lgkmcnt(0)
	v_fma_f64 v[105:106], v[128:129], v[130:131], v[105:106]
	s_and_not1_b32 exec_lo, exec_lo, s1
	s_cbranch_execnz .LBB51_185
; %bb.186:
	s_or_b32 exec_lo, exec_lo, s1
.LBB51_187:
	s_delay_alu instid0(SALU_CYCLE_1)
	s_or_b32 exec_lo, exec_lo, s4
	v_mov_b32_e32 v126, 0
	ds_load_b64 v[126:127], v126 offset:256
	s_waitcnt lgkmcnt(0)
	v_mul_f64 v[105:106], v[105:106], v[126:127]
	scratch_store_b64 off, v[105:106], off offset:256
.LBB51_188:
	s_or_b32 exec_lo, exec_lo, s3
	scratch_load_b64 v[105:106], off, off offset:248
	v_cmp_lt_u32_e64 s1, 31, v0
	s_waitcnt vmcnt(0)
	ds_store_b64 v108, v[105:106]
	s_waitcnt lgkmcnt(0)
	s_waitcnt_vscnt null, 0x0
	s_barrier
	buffer_gl0_inv
	s_and_saveexec_b32 s3, s1
	s_cbranch_execz .LBB51_198
; %bb.189:
	s_and_not1_b32 vcc_lo, exec_lo, s2
	s_cbranch_vccnz .LBB51_191
; %bb.190:
	scratch_load_b64 v[105:106], v109, off
	ds_load_b64 v[126:127], v108
	s_waitcnt vmcnt(0) lgkmcnt(0)
	v_mul_f64 v[105:106], v[105:106], v[126:127]
	s_cbranch_execz .LBB51_192
	s_branch .LBB51_193
.LBB51_191:
                                        ; implicit-def: $vgpr105_vgpr106
.LBB51_192:
	ds_load_b64 v[105:106], v108
.LBB51_193:
	s_and_saveexec_b32 s4, s0
	s_cbranch_execz .LBB51_197
; %bb.194:
	v_subrev_nc_u32_e32 v126, 32, v0
	s_movk_i32 s5, 0x2a0
	s_mov_b32 s0, 0
.LBB51_195:                             ; =>This Inner Loop Header: Depth=1
	scratch_load_b64 v[127:128], v125, off
	v_dual_mov_b32 v129, s5 :: v_dual_add_nc_u32 v126, -1, v126
	v_add_nc_u32_e32 v125, 8, v125
	s_add_i32 s5, s5, 8
	ds_load_b64 v[129:130], v129
	v_cmp_eq_u32_e32 vcc_lo, 0, v126
	s_or_b32 s0, vcc_lo, s0
	s_waitcnt vmcnt(0) lgkmcnt(0)
	v_fma_f64 v[105:106], v[127:128], v[129:130], v[105:106]
	s_and_not1_b32 exec_lo, exec_lo, s0
	s_cbranch_execnz .LBB51_195
; %bb.196:
	s_or_b32 exec_lo, exec_lo, s0
.LBB51_197:
	s_delay_alu instid0(SALU_CYCLE_1)
	s_or_b32 exec_lo, exec_lo, s4
	v_mov_b32_e32 v125, 0
	ds_load_b64 v[125:126], v125 offset:248
	s_waitcnt lgkmcnt(0)
	v_mul_f64 v[105:106], v[105:106], v[125:126]
	scratch_store_b64 off, v[105:106], off offset:248
.LBB51_198:
	s_or_b32 exec_lo, exec_lo, s3
	scratch_load_b64 v[105:106], off, off offset:240
	v_cmp_lt_u32_e64 s0, 30, v0
	s_waitcnt vmcnt(0)
	ds_store_b64 v108, v[105:106]
	s_waitcnt lgkmcnt(0)
	s_waitcnt_vscnt null, 0x0
	s_barrier
	buffer_gl0_inv
	s_and_saveexec_b32 s3, s0
	s_cbranch_execz .LBB51_208
; %bb.199:
	s_and_not1_b32 vcc_lo, exec_lo, s2
	s_cbranch_vccnz .LBB51_201
; %bb.200:
	scratch_load_b64 v[105:106], v109, off
	ds_load_b64 v[125:126], v108
	s_waitcnt vmcnt(0) lgkmcnt(0)
	v_mul_f64 v[105:106], v[105:106], v[125:126]
	s_cbranch_execz .LBB51_202
	s_branch .LBB51_203
.LBB51_201:
                                        ; implicit-def: $vgpr105_vgpr106
.LBB51_202:
	ds_load_b64 v[105:106], v108
.LBB51_203:
	s_and_saveexec_b32 s4, s1
	s_cbranch_execz .LBB51_207
; %bb.204:
	v_mov_b32_e32 v125, 0
	v_subrev_nc_u32_e32 v126, 31, v0
	s_movk_i32 s5, 0x298
	s_mov_b32 s1, 0
	s_delay_alu instid0(VALU_DEP_2)
	v_add_nc_u32_e32 v125, 0xf8, v125
.LBB51_205:                             ; =>This Inner Loop Header: Depth=1
	scratch_load_b64 v[127:128], v125, off
	v_dual_mov_b32 v129, s5 :: v_dual_add_nc_u32 v126, -1, v126
	v_add_nc_u32_e32 v125, 8, v125
	s_add_i32 s5, s5, 8
	ds_load_b64 v[129:130], v129
	v_cmp_eq_u32_e32 vcc_lo, 0, v126
	s_or_b32 s1, vcc_lo, s1
	s_waitcnt vmcnt(0) lgkmcnt(0)
	v_fma_f64 v[105:106], v[127:128], v[129:130], v[105:106]
	s_and_not1_b32 exec_lo, exec_lo, s1
	s_cbranch_execnz .LBB51_205
; %bb.206:
	s_or_b32 exec_lo, exec_lo, s1
.LBB51_207:
	s_delay_alu instid0(SALU_CYCLE_1)
	s_or_b32 exec_lo, exec_lo, s4
	v_mov_b32_e32 v125, 0
	ds_load_b64 v[125:126], v125 offset:240
	s_waitcnt lgkmcnt(0)
	v_mul_f64 v[105:106], v[105:106], v[125:126]
	scratch_store_b64 off, v[105:106], off offset:240
.LBB51_208:
	s_or_b32 exec_lo, exec_lo, s3
	scratch_load_b64 v[105:106], off, off offset:232
	v_cmp_lt_u32_e64 s1, 29, v0
	s_waitcnt vmcnt(0)
	ds_store_b64 v108, v[105:106]
	s_waitcnt lgkmcnt(0)
	s_waitcnt_vscnt null, 0x0
	s_barrier
	buffer_gl0_inv
	s_and_saveexec_b32 s3, s1
	s_cbranch_execz .LBB51_218
; %bb.209:
	s_and_not1_b32 vcc_lo, exec_lo, s2
	s_cbranch_vccnz .LBB51_211
; %bb.210:
	scratch_load_b64 v[105:106], v109, off
	ds_load_b64 v[125:126], v108
	s_waitcnt vmcnt(0) lgkmcnt(0)
	v_mul_f64 v[105:106], v[105:106], v[125:126]
	s_cbranch_execz .LBB51_212
	s_branch .LBB51_213
.LBB51_211:
                                        ; implicit-def: $vgpr105_vgpr106
.LBB51_212:
	ds_load_b64 v[105:106], v108
.LBB51_213:
	s_and_saveexec_b32 s4, s0
	s_cbranch_execz .LBB51_217
; %bb.214:
	v_subrev_nc_u32_e32 v125, 30, v0
	s_movk_i32 s5, 0x290
	s_mov_b32 s0, 0
.LBB51_215:                             ; =>This Inner Loop Header: Depth=1
	scratch_load_b64 v[126:127], v124, off
	v_dual_mov_b32 v128, s5 :: v_dual_add_nc_u32 v125, -1, v125
	v_add_nc_u32_e32 v124, 8, v124
	s_add_i32 s5, s5, 8
	ds_load_b64 v[128:129], v128
	v_cmp_eq_u32_e32 vcc_lo, 0, v125
	s_or_b32 s0, vcc_lo, s0
	s_waitcnt vmcnt(0) lgkmcnt(0)
	v_fma_f64 v[105:106], v[126:127], v[128:129], v[105:106]
	s_and_not1_b32 exec_lo, exec_lo, s0
	s_cbranch_execnz .LBB51_215
; %bb.216:
	s_or_b32 exec_lo, exec_lo, s0
.LBB51_217:
	s_delay_alu instid0(SALU_CYCLE_1)
	s_or_b32 exec_lo, exec_lo, s4
	v_mov_b32_e32 v124, 0
	ds_load_b64 v[124:125], v124 offset:232
	s_waitcnt lgkmcnt(0)
	v_mul_f64 v[105:106], v[105:106], v[124:125]
	scratch_store_b64 off, v[105:106], off offset:232
.LBB51_218:
	s_or_b32 exec_lo, exec_lo, s3
	scratch_load_b64 v[105:106], off, off offset:224
	v_cmp_lt_u32_e64 s0, 28, v0
	s_waitcnt vmcnt(0)
	ds_store_b64 v108, v[105:106]
	s_waitcnt lgkmcnt(0)
	s_waitcnt_vscnt null, 0x0
	s_barrier
	buffer_gl0_inv
	s_and_saveexec_b32 s3, s0
	s_cbranch_execz .LBB51_228
; %bb.219:
	s_and_not1_b32 vcc_lo, exec_lo, s2
	s_cbranch_vccnz .LBB51_221
; %bb.220:
	scratch_load_b64 v[105:106], v109, off
	ds_load_b64 v[124:125], v108
	s_waitcnt vmcnt(0) lgkmcnt(0)
	v_mul_f64 v[105:106], v[105:106], v[124:125]
	s_cbranch_execz .LBB51_222
	s_branch .LBB51_223
.LBB51_221:
                                        ; implicit-def: $vgpr105_vgpr106
.LBB51_222:
	ds_load_b64 v[105:106], v108
.LBB51_223:
	s_and_saveexec_b32 s4, s1
	s_cbranch_execz .LBB51_227
; %bb.224:
	v_mov_b32_e32 v124, 0
	v_subrev_nc_u32_e32 v125, 29, v0
	s_movk_i32 s5, 0x288
	s_mov_b32 s1, 0
	s_delay_alu instid0(VALU_DEP_2)
	v_add_nc_u32_e32 v124, 0xe8, v124
.LBB51_225:                             ; =>This Inner Loop Header: Depth=1
	scratch_load_b64 v[126:127], v124, off
	v_dual_mov_b32 v128, s5 :: v_dual_add_nc_u32 v125, -1, v125
	v_add_nc_u32_e32 v124, 8, v124
	s_add_i32 s5, s5, 8
	ds_load_b64 v[128:129], v128
	v_cmp_eq_u32_e32 vcc_lo, 0, v125
	s_or_b32 s1, vcc_lo, s1
	s_waitcnt vmcnt(0) lgkmcnt(0)
	v_fma_f64 v[105:106], v[126:127], v[128:129], v[105:106]
	s_and_not1_b32 exec_lo, exec_lo, s1
	s_cbranch_execnz .LBB51_225
; %bb.226:
	s_or_b32 exec_lo, exec_lo, s1
.LBB51_227:
	s_delay_alu instid0(SALU_CYCLE_1)
	s_or_b32 exec_lo, exec_lo, s4
	v_mov_b32_e32 v124, 0
	ds_load_b64 v[124:125], v124 offset:224
	s_waitcnt lgkmcnt(0)
	v_mul_f64 v[105:106], v[105:106], v[124:125]
	scratch_store_b64 off, v[105:106], off offset:224
.LBB51_228:
	s_or_b32 exec_lo, exec_lo, s3
	scratch_load_b64 v[105:106], off, off offset:216
	v_cmp_lt_u32_e64 s1, 27, v0
	s_waitcnt vmcnt(0)
	ds_store_b64 v108, v[105:106]
	s_waitcnt lgkmcnt(0)
	s_waitcnt_vscnt null, 0x0
	s_barrier
	buffer_gl0_inv
	s_and_saveexec_b32 s3, s1
	s_cbranch_execz .LBB51_238
; %bb.229:
	s_and_not1_b32 vcc_lo, exec_lo, s2
	s_cbranch_vccnz .LBB51_231
; %bb.230:
	scratch_load_b64 v[105:106], v109, off
	ds_load_b64 v[124:125], v108
	s_waitcnt vmcnt(0) lgkmcnt(0)
	v_mul_f64 v[105:106], v[105:106], v[124:125]
	s_cbranch_execz .LBB51_232
	s_branch .LBB51_233
.LBB51_231:
                                        ; implicit-def: $vgpr105_vgpr106
.LBB51_232:
	ds_load_b64 v[105:106], v108
.LBB51_233:
	s_and_saveexec_b32 s4, s0
	s_cbranch_execz .LBB51_237
; %bb.234:
	v_subrev_nc_u32_e32 v124, 28, v0
	s_movk_i32 s5, 0x280
	s_mov_b32 s0, 0
.LBB51_235:                             ; =>This Inner Loop Header: Depth=1
	scratch_load_b64 v[125:126], v123, off
	v_dual_mov_b32 v127, s5 :: v_dual_add_nc_u32 v124, -1, v124
	v_add_nc_u32_e32 v123, 8, v123
	s_add_i32 s5, s5, 8
	ds_load_b64 v[127:128], v127
	v_cmp_eq_u32_e32 vcc_lo, 0, v124
	s_or_b32 s0, vcc_lo, s0
	s_waitcnt vmcnt(0) lgkmcnt(0)
	v_fma_f64 v[105:106], v[125:126], v[127:128], v[105:106]
	s_and_not1_b32 exec_lo, exec_lo, s0
	s_cbranch_execnz .LBB51_235
; %bb.236:
	s_or_b32 exec_lo, exec_lo, s0
.LBB51_237:
	s_delay_alu instid0(SALU_CYCLE_1)
	s_or_b32 exec_lo, exec_lo, s4
	v_mov_b32_e32 v123, 0
	ds_load_b64 v[123:124], v123 offset:216
	s_waitcnt lgkmcnt(0)
	v_mul_f64 v[105:106], v[105:106], v[123:124]
	scratch_store_b64 off, v[105:106], off offset:216
.LBB51_238:
	s_or_b32 exec_lo, exec_lo, s3
	scratch_load_b64 v[105:106], off, off offset:208
	v_cmp_lt_u32_e64 s0, 26, v0
	s_waitcnt vmcnt(0)
	ds_store_b64 v108, v[105:106]
	s_waitcnt lgkmcnt(0)
	s_waitcnt_vscnt null, 0x0
	s_barrier
	buffer_gl0_inv
	s_and_saveexec_b32 s3, s0
	s_cbranch_execz .LBB51_248
; %bb.239:
	s_and_not1_b32 vcc_lo, exec_lo, s2
	s_cbranch_vccnz .LBB51_241
; %bb.240:
	scratch_load_b64 v[105:106], v109, off
	ds_load_b64 v[123:124], v108
	s_waitcnt vmcnt(0) lgkmcnt(0)
	v_mul_f64 v[105:106], v[105:106], v[123:124]
	s_cbranch_execz .LBB51_242
	s_branch .LBB51_243
.LBB51_241:
                                        ; implicit-def: $vgpr105_vgpr106
.LBB51_242:
	ds_load_b64 v[105:106], v108
.LBB51_243:
	s_and_saveexec_b32 s4, s1
	s_cbranch_execz .LBB51_247
; %bb.244:
	v_mov_b32_e32 v123, 0
	v_subrev_nc_u32_e32 v124, 27, v0
	s_movk_i32 s5, 0x278
	s_mov_b32 s1, 0
	s_delay_alu instid0(VALU_DEP_2)
	v_add_nc_u32_e32 v123, 0xd8, v123
.LBB51_245:                             ; =>This Inner Loop Header: Depth=1
	scratch_load_b64 v[125:126], v123, off
	v_dual_mov_b32 v127, s5 :: v_dual_add_nc_u32 v124, -1, v124
	v_add_nc_u32_e32 v123, 8, v123
	s_add_i32 s5, s5, 8
	ds_load_b64 v[127:128], v127
	v_cmp_eq_u32_e32 vcc_lo, 0, v124
	s_or_b32 s1, vcc_lo, s1
	s_waitcnt vmcnt(0) lgkmcnt(0)
	v_fma_f64 v[105:106], v[125:126], v[127:128], v[105:106]
	s_and_not1_b32 exec_lo, exec_lo, s1
	s_cbranch_execnz .LBB51_245
; %bb.246:
	s_or_b32 exec_lo, exec_lo, s1
.LBB51_247:
	s_delay_alu instid0(SALU_CYCLE_1)
	s_or_b32 exec_lo, exec_lo, s4
	v_mov_b32_e32 v123, 0
	ds_load_b64 v[123:124], v123 offset:208
	s_waitcnt lgkmcnt(0)
	v_mul_f64 v[105:106], v[105:106], v[123:124]
	scratch_store_b64 off, v[105:106], off offset:208
.LBB51_248:
	s_or_b32 exec_lo, exec_lo, s3
	scratch_load_b64 v[105:106], off, off offset:200
	v_cmp_lt_u32_e64 s1, 25, v0
	s_waitcnt vmcnt(0)
	ds_store_b64 v108, v[105:106]
	s_waitcnt lgkmcnt(0)
	s_waitcnt_vscnt null, 0x0
	s_barrier
	buffer_gl0_inv
	s_and_saveexec_b32 s3, s1
	s_cbranch_execz .LBB51_258
; %bb.249:
	s_and_not1_b32 vcc_lo, exec_lo, s2
	s_cbranch_vccnz .LBB51_251
; %bb.250:
	scratch_load_b64 v[105:106], v109, off
	ds_load_b64 v[123:124], v108
	s_waitcnt vmcnt(0) lgkmcnt(0)
	v_mul_f64 v[105:106], v[105:106], v[123:124]
	s_cbranch_execz .LBB51_252
	s_branch .LBB51_253
.LBB51_251:
                                        ; implicit-def: $vgpr105_vgpr106
.LBB51_252:
	ds_load_b64 v[105:106], v108
.LBB51_253:
	s_and_saveexec_b32 s4, s0
	s_cbranch_execz .LBB51_257
; %bb.254:
	v_subrev_nc_u32_e32 v123, 26, v0
	s_movk_i32 s5, 0x270
	s_mov_b32 s0, 0
.LBB51_255:                             ; =>This Inner Loop Header: Depth=1
	scratch_load_b64 v[124:125], v122, off
	v_dual_mov_b32 v126, s5 :: v_dual_add_nc_u32 v123, -1, v123
	v_add_nc_u32_e32 v122, 8, v122
	s_add_i32 s5, s5, 8
	ds_load_b64 v[126:127], v126
	v_cmp_eq_u32_e32 vcc_lo, 0, v123
	s_or_b32 s0, vcc_lo, s0
	s_waitcnt vmcnt(0) lgkmcnt(0)
	v_fma_f64 v[105:106], v[124:125], v[126:127], v[105:106]
	s_and_not1_b32 exec_lo, exec_lo, s0
	s_cbranch_execnz .LBB51_255
; %bb.256:
	s_or_b32 exec_lo, exec_lo, s0
.LBB51_257:
	s_delay_alu instid0(SALU_CYCLE_1)
	s_or_b32 exec_lo, exec_lo, s4
	v_mov_b32_e32 v122, 0
	ds_load_b64 v[122:123], v122 offset:200
	s_waitcnt lgkmcnt(0)
	v_mul_f64 v[105:106], v[105:106], v[122:123]
	scratch_store_b64 off, v[105:106], off offset:200
.LBB51_258:
	s_or_b32 exec_lo, exec_lo, s3
	scratch_load_b64 v[105:106], off, off offset:192
	v_cmp_lt_u32_e64 s0, 24, v0
	s_waitcnt vmcnt(0)
	ds_store_b64 v108, v[105:106]
	s_waitcnt lgkmcnt(0)
	s_waitcnt_vscnt null, 0x0
	s_barrier
	buffer_gl0_inv
	s_and_saveexec_b32 s3, s0
	s_cbranch_execz .LBB51_268
; %bb.259:
	s_and_not1_b32 vcc_lo, exec_lo, s2
	s_cbranch_vccnz .LBB51_261
; %bb.260:
	scratch_load_b64 v[105:106], v109, off
	ds_load_b64 v[122:123], v108
	s_waitcnt vmcnt(0) lgkmcnt(0)
	v_mul_f64 v[105:106], v[105:106], v[122:123]
	s_cbranch_execz .LBB51_262
	s_branch .LBB51_263
.LBB51_261:
                                        ; implicit-def: $vgpr105_vgpr106
.LBB51_262:
	ds_load_b64 v[105:106], v108
.LBB51_263:
	s_and_saveexec_b32 s4, s1
	s_cbranch_execz .LBB51_267
; %bb.264:
	v_mov_b32_e32 v122, 0
	v_subrev_nc_u32_e32 v123, 25, v0
	s_movk_i32 s5, 0x268
	s_mov_b32 s1, 0
	s_delay_alu instid0(VALU_DEP_2)
	v_add_nc_u32_e32 v122, 0xc8, v122
.LBB51_265:                             ; =>This Inner Loop Header: Depth=1
	scratch_load_b64 v[124:125], v122, off
	v_dual_mov_b32 v126, s5 :: v_dual_add_nc_u32 v123, -1, v123
	v_add_nc_u32_e32 v122, 8, v122
	s_add_i32 s5, s5, 8
	ds_load_b64 v[126:127], v126
	v_cmp_eq_u32_e32 vcc_lo, 0, v123
	s_or_b32 s1, vcc_lo, s1
	s_waitcnt vmcnt(0) lgkmcnt(0)
	v_fma_f64 v[105:106], v[124:125], v[126:127], v[105:106]
	s_and_not1_b32 exec_lo, exec_lo, s1
	s_cbranch_execnz .LBB51_265
; %bb.266:
	s_or_b32 exec_lo, exec_lo, s1
.LBB51_267:
	s_delay_alu instid0(SALU_CYCLE_1)
	s_or_b32 exec_lo, exec_lo, s4
	v_mov_b32_e32 v122, 0
	ds_load_b64 v[122:123], v122 offset:192
	s_waitcnt lgkmcnt(0)
	v_mul_f64 v[105:106], v[105:106], v[122:123]
	scratch_store_b64 off, v[105:106], off offset:192
.LBB51_268:
	s_or_b32 exec_lo, exec_lo, s3
	scratch_load_b64 v[105:106], off, off offset:184
	v_cmp_lt_u32_e64 s1, 23, v0
	s_waitcnt vmcnt(0)
	ds_store_b64 v108, v[105:106]
	s_waitcnt lgkmcnt(0)
	s_waitcnt_vscnt null, 0x0
	s_barrier
	buffer_gl0_inv
	s_and_saveexec_b32 s3, s1
	s_cbranch_execz .LBB51_278
; %bb.269:
	s_and_not1_b32 vcc_lo, exec_lo, s2
	s_cbranch_vccnz .LBB51_271
; %bb.270:
	scratch_load_b64 v[105:106], v109, off
	ds_load_b64 v[122:123], v108
	s_waitcnt vmcnt(0) lgkmcnt(0)
	v_mul_f64 v[105:106], v[105:106], v[122:123]
	s_cbranch_execz .LBB51_272
	s_branch .LBB51_273
.LBB51_271:
                                        ; implicit-def: $vgpr105_vgpr106
.LBB51_272:
	ds_load_b64 v[105:106], v108
.LBB51_273:
	s_and_saveexec_b32 s4, s0
	s_cbranch_execz .LBB51_277
; %bb.274:
	v_subrev_nc_u32_e32 v122, 24, v0
	s_movk_i32 s5, 0x260
	s_mov_b32 s0, 0
.LBB51_275:                             ; =>This Inner Loop Header: Depth=1
	scratch_load_b64 v[123:124], v121, off
	v_dual_mov_b32 v125, s5 :: v_dual_add_nc_u32 v122, -1, v122
	v_add_nc_u32_e32 v121, 8, v121
	s_add_i32 s5, s5, 8
	ds_load_b64 v[125:126], v125
	v_cmp_eq_u32_e32 vcc_lo, 0, v122
	s_or_b32 s0, vcc_lo, s0
	s_waitcnt vmcnt(0) lgkmcnt(0)
	v_fma_f64 v[105:106], v[123:124], v[125:126], v[105:106]
	s_and_not1_b32 exec_lo, exec_lo, s0
	s_cbranch_execnz .LBB51_275
; %bb.276:
	s_or_b32 exec_lo, exec_lo, s0
.LBB51_277:
	s_delay_alu instid0(SALU_CYCLE_1)
	s_or_b32 exec_lo, exec_lo, s4
	v_mov_b32_e32 v121, 0
	ds_load_b64 v[121:122], v121 offset:184
	s_waitcnt lgkmcnt(0)
	v_mul_f64 v[105:106], v[105:106], v[121:122]
	scratch_store_b64 off, v[105:106], off offset:184
.LBB51_278:
	s_or_b32 exec_lo, exec_lo, s3
	scratch_load_b64 v[105:106], off, off offset:176
	v_cmp_lt_u32_e64 s0, 22, v0
	s_waitcnt vmcnt(0)
	ds_store_b64 v108, v[105:106]
	s_waitcnt lgkmcnt(0)
	s_waitcnt_vscnt null, 0x0
	s_barrier
	buffer_gl0_inv
	s_and_saveexec_b32 s3, s0
	s_cbranch_execz .LBB51_288
; %bb.279:
	s_and_not1_b32 vcc_lo, exec_lo, s2
	s_cbranch_vccnz .LBB51_281
; %bb.280:
	scratch_load_b64 v[105:106], v109, off
	ds_load_b64 v[121:122], v108
	s_waitcnt vmcnt(0) lgkmcnt(0)
	v_mul_f64 v[105:106], v[105:106], v[121:122]
	s_cbranch_execz .LBB51_282
	s_branch .LBB51_283
.LBB51_281:
                                        ; implicit-def: $vgpr105_vgpr106
.LBB51_282:
	ds_load_b64 v[105:106], v108
.LBB51_283:
	s_and_saveexec_b32 s4, s1
	s_cbranch_execz .LBB51_287
; %bb.284:
	v_mov_b32_e32 v121, 0
	v_subrev_nc_u32_e32 v122, 23, v0
	s_movk_i32 s5, 0x258
	s_mov_b32 s1, 0
	s_delay_alu instid0(VALU_DEP_2)
	v_add_nc_u32_e32 v121, 0xb8, v121
.LBB51_285:                             ; =>This Inner Loop Header: Depth=1
	scratch_load_b64 v[123:124], v121, off
	v_dual_mov_b32 v125, s5 :: v_dual_add_nc_u32 v122, -1, v122
	v_add_nc_u32_e32 v121, 8, v121
	s_add_i32 s5, s5, 8
	ds_load_b64 v[125:126], v125
	v_cmp_eq_u32_e32 vcc_lo, 0, v122
	s_or_b32 s1, vcc_lo, s1
	s_waitcnt vmcnt(0) lgkmcnt(0)
	v_fma_f64 v[105:106], v[123:124], v[125:126], v[105:106]
	s_and_not1_b32 exec_lo, exec_lo, s1
	s_cbranch_execnz .LBB51_285
; %bb.286:
	s_or_b32 exec_lo, exec_lo, s1
.LBB51_287:
	s_delay_alu instid0(SALU_CYCLE_1)
	s_or_b32 exec_lo, exec_lo, s4
	v_mov_b32_e32 v121, 0
	ds_load_b64 v[121:122], v121 offset:176
	s_waitcnt lgkmcnt(0)
	v_mul_f64 v[105:106], v[105:106], v[121:122]
	scratch_store_b64 off, v[105:106], off offset:176
.LBB51_288:
	s_or_b32 exec_lo, exec_lo, s3
	scratch_load_b64 v[105:106], off, off offset:168
	v_cmp_lt_u32_e64 s1, 21, v0
	s_waitcnt vmcnt(0)
	ds_store_b64 v108, v[105:106]
	s_waitcnt lgkmcnt(0)
	s_waitcnt_vscnt null, 0x0
	s_barrier
	buffer_gl0_inv
	s_and_saveexec_b32 s3, s1
	s_cbranch_execz .LBB51_298
; %bb.289:
	s_and_not1_b32 vcc_lo, exec_lo, s2
	s_cbranch_vccnz .LBB51_291
; %bb.290:
	scratch_load_b64 v[105:106], v109, off
	ds_load_b64 v[121:122], v108
	s_waitcnt vmcnt(0) lgkmcnt(0)
	v_mul_f64 v[105:106], v[105:106], v[121:122]
	s_cbranch_execz .LBB51_292
	s_branch .LBB51_293
.LBB51_291:
                                        ; implicit-def: $vgpr105_vgpr106
.LBB51_292:
	ds_load_b64 v[105:106], v108
.LBB51_293:
	s_and_saveexec_b32 s4, s0
	s_cbranch_execz .LBB51_297
; %bb.294:
	v_subrev_nc_u32_e32 v121, 22, v0
	s_movk_i32 s5, 0x250
	s_mov_b32 s0, 0
.LBB51_295:                             ; =>This Inner Loop Header: Depth=1
	scratch_load_b64 v[122:123], v120, off
	v_dual_mov_b32 v124, s5 :: v_dual_add_nc_u32 v121, -1, v121
	v_add_nc_u32_e32 v120, 8, v120
	s_add_i32 s5, s5, 8
	ds_load_b64 v[124:125], v124
	v_cmp_eq_u32_e32 vcc_lo, 0, v121
	s_or_b32 s0, vcc_lo, s0
	s_waitcnt vmcnt(0) lgkmcnt(0)
	v_fma_f64 v[105:106], v[122:123], v[124:125], v[105:106]
	s_and_not1_b32 exec_lo, exec_lo, s0
	s_cbranch_execnz .LBB51_295
; %bb.296:
	s_or_b32 exec_lo, exec_lo, s0
.LBB51_297:
	s_delay_alu instid0(SALU_CYCLE_1)
	s_or_b32 exec_lo, exec_lo, s4
	v_mov_b32_e32 v120, 0
	ds_load_b64 v[120:121], v120 offset:168
	s_waitcnt lgkmcnt(0)
	v_mul_f64 v[105:106], v[105:106], v[120:121]
	scratch_store_b64 off, v[105:106], off offset:168
.LBB51_298:
	s_or_b32 exec_lo, exec_lo, s3
	scratch_load_b64 v[105:106], off, off offset:160
	v_cmp_lt_u32_e64 s0, 20, v0
	s_waitcnt vmcnt(0)
	ds_store_b64 v108, v[105:106]
	s_waitcnt lgkmcnt(0)
	s_waitcnt_vscnt null, 0x0
	s_barrier
	buffer_gl0_inv
	s_and_saveexec_b32 s3, s0
	s_cbranch_execz .LBB51_308
; %bb.299:
	s_and_not1_b32 vcc_lo, exec_lo, s2
	s_cbranch_vccnz .LBB51_301
; %bb.300:
	scratch_load_b64 v[105:106], v109, off
	ds_load_b64 v[120:121], v108
	s_waitcnt vmcnt(0) lgkmcnt(0)
	v_mul_f64 v[105:106], v[105:106], v[120:121]
	s_cbranch_execz .LBB51_302
	s_branch .LBB51_303
.LBB51_301:
                                        ; implicit-def: $vgpr105_vgpr106
.LBB51_302:
	ds_load_b64 v[105:106], v108
.LBB51_303:
	s_and_saveexec_b32 s4, s1
	s_cbranch_execz .LBB51_307
; %bb.304:
	v_mov_b32_e32 v120, 0
	v_subrev_nc_u32_e32 v121, 21, v0
	s_movk_i32 s5, 0x248
	s_mov_b32 s1, 0
	s_delay_alu instid0(VALU_DEP_2)
	v_add_nc_u32_e32 v120, 0xa8, v120
.LBB51_305:                             ; =>This Inner Loop Header: Depth=1
	scratch_load_b64 v[122:123], v120, off
	v_dual_mov_b32 v124, s5 :: v_dual_add_nc_u32 v121, -1, v121
	v_add_nc_u32_e32 v120, 8, v120
	s_add_i32 s5, s5, 8
	ds_load_b64 v[124:125], v124
	v_cmp_eq_u32_e32 vcc_lo, 0, v121
	s_or_b32 s1, vcc_lo, s1
	s_waitcnt vmcnt(0) lgkmcnt(0)
	v_fma_f64 v[105:106], v[122:123], v[124:125], v[105:106]
	s_and_not1_b32 exec_lo, exec_lo, s1
	s_cbranch_execnz .LBB51_305
; %bb.306:
	s_or_b32 exec_lo, exec_lo, s1
.LBB51_307:
	s_delay_alu instid0(SALU_CYCLE_1)
	s_or_b32 exec_lo, exec_lo, s4
	v_mov_b32_e32 v120, 0
	ds_load_b64 v[120:121], v120 offset:160
	s_waitcnt lgkmcnt(0)
	v_mul_f64 v[105:106], v[105:106], v[120:121]
	scratch_store_b64 off, v[105:106], off offset:160
.LBB51_308:
	s_or_b32 exec_lo, exec_lo, s3
	scratch_load_b64 v[105:106], off, off offset:152
	v_cmp_lt_u32_e64 s1, 19, v0
	s_waitcnt vmcnt(0)
	ds_store_b64 v108, v[105:106]
	s_waitcnt lgkmcnt(0)
	s_waitcnt_vscnt null, 0x0
	s_barrier
	buffer_gl0_inv
	s_and_saveexec_b32 s3, s1
	s_cbranch_execz .LBB51_318
; %bb.309:
	s_and_not1_b32 vcc_lo, exec_lo, s2
	s_cbranch_vccnz .LBB51_311
; %bb.310:
	scratch_load_b64 v[105:106], v109, off
	ds_load_b64 v[120:121], v108
	s_waitcnt vmcnt(0) lgkmcnt(0)
	v_mul_f64 v[105:106], v[105:106], v[120:121]
	s_cbranch_execz .LBB51_312
	s_branch .LBB51_313
.LBB51_311:
                                        ; implicit-def: $vgpr105_vgpr106
.LBB51_312:
	ds_load_b64 v[105:106], v108
.LBB51_313:
	s_and_saveexec_b32 s4, s0
	s_cbranch_execz .LBB51_317
; %bb.314:
	v_subrev_nc_u32_e32 v120, 20, v0
	s_movk_i32 s5, 0x240
	s_mov_b32 s0, 0
.LBB51_315:                             ; =>This Inner Loop Header: Depth=1
	scratch_load_b64 v[121:122], v119, off
	v_dual_mov_b32 v123, s5 :: v_dual_add_nc_u32 v120, -1, v120
	v_add_nc_u32_e32 v119, 8, v119
	s_add_i32 s5, s5, 8
	ds_load_b64 v[123:124], v123
	v_cmp_eq_u32_e32 vcc_lo, 0, v120
	s_or_b32 s0, vcc_lo, s0
	s_waitcnt vmcnt(0) lgkmcnt(0)
	v_fma_f64 v[105:106], v[121:122], v[123:124], v[105:106]
	s_and_not1_b32 exec_lo, exec_lo, s0
	s_cbranch_execnz .LBB51_315
; %bb.316:
	s_or_b32 exec_lo, exec_lo, s0
.LBB51_317:
	s_delay_alu instid0(SALU_CYCLE_1)
	s_or_b32 exec_lo, exec_lo, s4
	v_mov_b32_e32 v119, 0
	ds_load_b64 v[119:120], v119 offset:152
	s_waitcnt lgkmcnt(0)
	v_mul_f64 v[105:106], v[105:106], v[119:120]
	scratch_store_b64 off, v[105:106], off offset:152
.LBB51_318:
	s_or_b32 exec_lo, exec_lo, s3
	scratch_load_b64 v[105:106], off, off offset:144
	v_cmp_lt_u32_e64 s0, 18, v0
	s_waitcnt vmcnt(0)
	ds_store_b64 v108, v[105:106]
	s_waitcnt lgkmcnt(0)
	s_waitcnt_vscnt null, 0x0
	s_barrier
	buffer_gl0_inv
	s_and_saveexec_b32 s3, s0
	s_cbranch_execz .LBB51_328
; %bb.319:
	s_and_not1_b32 vcc_lo, exec_lo, s2
	s_cbranch_vccnz .LBB51_321
; %bb.320:
	scratch_load_b64 v[105:106], v109, off
	ds_load_b64 v[119:120], v108
	s_waitcnt vmcnt(0) lgkmcnt(0)
	v_mul_f64 v[105:106], v[105:106], v[119:120]
	s_cbranch_execz .LBB51_322
	s_branch .LBB51_323
.LBB51_321:
                                        ; implicit-def: $vgpr105_vgpr106
.LBB51_322:
	ds_load_b64 v[105:106], v108
.LBB51_323:
	s_and_saveexec_b32 s4, s1
	s_cbranch_execz .LBB51_327
; %bb.324:
	v_mov_b32_e32 v119, 0
	v_subrev_nc_u32_e32 v120, 19, v0
	s_movk_i32 s5, 0x238
	s_mov_b32 s1, 0
	s_delay_alu instid0(VALU_DEP_2)
	v_add_nc_u32_e32 v119, 0x98, v119
.LBB51_325:                             ; =>This Inner Loop Header: Depth=1
	scratch_load_b64 v[121:122], v119, off
	v_dual_mov_b32 v123, s5 :: v_dual_add_nc_u32 v120, -1, v120
	v_add_nc_u32_e32 v119, 8, v119
	s_add_i32 s5, s5, 8
	ds_load_b64 v[123:124], v123
	v_cmp_eq_u32_e32 vcc_lo, 0, v120
	s_or_b32 s1, vcc_lo, s1
	s_waitcnt vmcnt(0) lgkmcnt(0)
	v_fma_f64 v[105:106], v[121:122], v[123:124], v[105:106]
	s_and_not1_b32 exec_lo, exec_lo, s1
	s_cbranch_execnz .LBB51_325
; %bb.326:
	s_or_b32 exec_lo, exec_lo, s1
.LBB51_327:
	s_delay_alu instid0(SALU_CYCLE_1)
	s_or_b32 exec_lo, exec_lo, s4
	v_mov_b32_e32 v119, 0
	ds_load_b64 v[119:120], v119 offset:144
	s_waitcnt lgkmcnt(0)
	v_mul_f64 v[105:106], v[105:106], v[119:120]
	scratch_store_b64 off, v[105:106], off offset:144
.LBB51_328:
	s_or_b32 exec_lo, exec_lo, s3
	scratch_load_b64 v[105:106], off, off offset:136
	v_cmp_lt_u32_e64 s1, 17, v0
	s_waitcnt vmcnt(0)
	ds_store_b64 v108, v[105:106]
	s_waitcnt lgkmcnt(0)
	s_waitcnt_vscnt null, 0x0
	s_barrier
	buffer_gl0_inv
	s_and_saveexec_b32 s3, s1
	s_cbranch_execz .LBB51_338
; %bb.329:
	s_and_not1_b32 vcc_lo, exec_lo, s2
	s_cbranch_vccnz .LBB51_331
; %bb.330:
	scratch_load_b64 v[105:106], v109, off
	ds_load_b64 v[119:120], v108
	s_waitcnt vmcnt(0) lgkmcnt(0)
	v_mul_f64 v[105:106], v[105:106], v[119:120]
	s_cbranch_execz .LBB51_332
	s_branch .LBB51_333
.LBB51_331:
                                        ; implicit-def: $vgpr105_vgpr106
.LBB51_332:
	ds_load_b64 v[105:106], v108
.LBB51_333:
	s_and_saveexec_b32 s4, s0
	s_cbranch_execz .LBB51_337
; %bb.334:
	v_subrev_nc_u32_e32 v119, 18, v0
	s_movk_i32 s5, 0x230
	s_mov_b32 s0, 0
.LBB51_335:                             ; =>This Inner Loop Header: Depth=1
	scratch_load_b64 v[120:121], v118, off
	v_dual_mov_b32 v122, s5 :: v_dual_add_nc_u32 v119, -1, v119
	v_add_nc_u32_e32 v118, 8, v118
	s_add_i32 s5, s5, 8
	ds_load_b64 v[122:123], v122
	v_cmp_eq_u32_e32 vcc_lo, 0, v119
	s_or_b32 s0, vcc_lo, s0
	s_waitcnt vmcnt(0) lgkmcnt(0)
	v_fma_f64 v[105:106], v[120:121], v[122:123], v[105:106]
	s_and_not1_b32 exec_lo, exec_lo, s0
	s_cbranch_execnz .LBB51_335
; %bb.336:
	s_or_b32 exec_lo, exec_lo, s0
.LBB51_337:
	s_delay_alu instid0(SALU_CYCLE_1)
	s_or_b32 exec_lo, exec_lo, s4
	v_mov_b32_e32 v118, 0
	ds_load_b64 v[118:119], v118 offset:136
	s_waitcnt lgkmcnt(0)
	v_mul_f64 v[105:106], v[105:106], v[118:119]
	scratch_store_b64 off, v[105:106], off offset:136
.LBB51_338:
	s_or_b32 exec_lo, exec_lo, s3
	scratch_load_b64 v[105:106], off, off offset:128
	v_cmp_lt_u32_e64 s0, 16, v0
	s_waitcnt vmcnt(0)
	ds_store_b64 v108, v[105:106]
	s_waitcnt lgkmcnt(0)
	s_waitcnt_vscnt null, 0x0
	s_barrier
	buffer_gl0_inv
	s_and_saveexec_b32 s3, s0
	s_cbranch_execz .LBB51_348
; %bb.339:
	s_and_not1_b32 vcc_lo, exec_lo, s2
	s_cbranch_vccnz .LBB51_341
; %bb.340:
	scratch_load_b64 v[105:106], v109, off
	ds_load_b64 v[118:119], v108
	s_waitcnt vmcnt(0) lgkmcnt(0)
	v_mul_f64 v[105:106], v[105:106], v[118:119]
	s_cbranch_execz .LBB51_342
	s_branch .LBB51_343
.LBB51_341:
                                        ; implicit-def: $vgpr105_vgpr106
.LBB51_342:
	ds_load_b64 v[105:106], v108
.LBB51_343:
	s_and_saveexec_b32 s4, s1
	s_cbranch_execz .LBB51_347
; %bb.344:
	v_mov_b32_e32 v118, 0
	v_subrev_nc_u32_e32 v119, 17, v0
	s_movk_i32 s5, 0x228
	s_mov_b32 s1, 0
	s_delay_alu instid0(VALU_DEP_2)
	v_add_nc_u32_e32 v118, 0x88, v118
.LBB51_345:                             ; =>This Inner Loop Header: Depth=1
	scratch_load_b64 v[120:121], v118, off
	v_dual_mov_b32 v122, s5 :: v_dual_add_nc_u32 v119, -1, v119
	v_add_nc_u32_e32 v118, 8, v118
	s_add_i32 s5, s5, 8
	ds_load_b64 v[122:123], v122
	v_cmp_eq_u32_e32 vcc_lo, 0, v119
	s_or_b32 s1, vcc_lo, s1
	s_waitcnt vmcnt(0) lgkmcnt(0)
	v_fma_f64 v[105:106], v[120:121], v[122:123], v[105:106]
	s_and_not1_b32 exec_lo, exec_lo, s1
	s_cbranch_execnz .LBB51_345
; %bb.346:
	s_or_b32 exec_lo, exec_lo, s1
.LBB51_347:
	s_delay_alu instid0(SALU_CYCLE_1)
	s_or_b32 exec_lo, exec_lo, s4
	v_mov_b32_e32 v118, 0
	ds_load_b64 v[118:119], v118 offset:128
	s_waitcnt lgkmcnt(0)
	v_mul_f64 v[105:106], v[105:106], v[118:119]
	scratch_store_b64 off, v[105:106], off offset:128
.LBB51_348:
	s_or_b32 exec_lo, exec_lo, s3
	scratch_load_b64 v[105:106], off, off offset:120
	v_cmp_lt_u32_e64 s1, 15, v0
	s_waitcnt vmcnt(0)
	ds_store_b64 v108, v[105:106]
	s_waitcnt lgkmcnt(0)
	s_waitcnt_vscnt null, 0x0
	s_barrier
	buffer_gl0_inv
	s_and_saveexec_b32 s3, s1
	s_cbranch_execz .LBB51_358
; %bb.349:
	s_and_not1_b32 vcc_lo, exec_lo, s2
	s_cbranch_vccnz .LBB51_351
; %bb.350:
	scratch_load_b64 v[105:106], v109, off
	ds_load_b64 v[118:119], v108
	s_waitcnt vmcnt(0) lgkmcnt(0)
	v_mul_f64 v[105:106], v[105:106], v[118:119]
	s_cbranch_execz .LBB51_352
	s_branch .LBB51_353
.LBB51_351:
                                        ; implicit-def: $vgpr105_vgpr106
.LBB51_352:
	ds_load_b64 v[105:106], v108
.LBB51_353:
	s_and_saveexec_b32 s4, s0
	s_cbranch_execz .LBB51_357
; %bb.354:
	v_add_nc_u32_e32 v118, -16, v0
	s_movk_i32 s5, 0x220
	s_mov_b32 s0, 0
.LBB51_355:                             ; =>This Inner Loop Header: Depth=1
	scratch_load_b64 v[119:120], v117, off
	v_dual_mov_b32 v121, s5 :: v_dual_add_nc_u32 v118, -1, v118
	v_add_nc_u32_e32 v117, 8, v117
	s_add_i32 s5, s5, 8
	ds_load_b64 v[121:122], v121
	v_cmp_eq_u32_e32 vcc_lo, 0, v118
	s_or_b32 s0, vcc_lo, s0
	s_waitcnt vmcnt(0) lgkmcnt(0)
	v_fma_f64 v[105:106], v[119:120], v[121:122], v[105:106]
	s_and_not1_b32 exec_lo, exec_lo, s0
	s_cbranch_execnz .LBB51_355
; %bb.356:
	s_or_b32 exec_lo, exec_lo, s0
.LBB51_357:
	s_delay_alu instid0(SALU_CYCLE_1)
	s_or_b32 exec_lo, exec_lo, s4
	v_mov_b32_e32 v117, 0
	ds_load_b64 v[117:118], v117 offset:120
	s_waitcnt lgkmcnt(0)
	v_mul_f64 v[105:106], v[105:106], v[117:118]
	scratch_store_b64 off, v[105:106], off offset:120
.LBB51_358:
	s_or_b32 exec_lo, exec_lo, s3
	scratch_load_b64 v[105:106], off, off offset:112
	v_cmp_lt_u32_e64 s0, 14, v0
	s_waitcnt vmcnt(0)
	ds_store_b64 v108, v[105:106]
	s_waitcnt lgkmcnt(0)
	s_waitcnt_vscnt null, 0x0
	s_barrier
	buffer_gl0_inv
	s_and_saveexec_b32 s3, s0
	s_cbranch_execz .LBB51_368
; %bb.359:
	s_and_not1_b32 vcc_lo, exec_lo, s2
	s_cbranch_vccnz .LBB51_361
; %bb.360:
	scratch_load_b64 v[105:106], v109, off
	ds_load_b64 v[117:118], v108
	s_waitcnt vmcnt(0) lgkmcnt(0)
	v_mul_f64 v[105:106], v[105:106], v[117:118]
	s_cbranch_execz .LBB51_362
	s_branch .LBB51_363
.LBB51_361:
                                        ; implicit-def: $vgpr105_vgpr106
.LBB51_362:
	ds_load_b64 v[105:106], v108
.LBB51_363:
	s_and_saveexec_b32 s4, s1
	s_cbranch_execz .LBB51_367
; %bb.364:
	v_dual_mov_b32 v117, 0 :: v_dual_add_nc_u32 v118, -15, v0
	s_movk_i32 s5, 0x218
	s_mov_b32 s1, 0
	s_delay_alu instid0(VALU_DEP_1)
	v_add_nc_u32_e32 v117, 0x78, v117
.LBB51_365:                             ; =>This Inner Loop Header: Depth=1
	scratch_load_b64 v[119:120], v117, off
	v_dual_mov_b32 v121, s5 :: v_dual_add_nc_u32 v118, -1, v118
	v_add_nc_u32_e32 v117, 8, v117
	s_add_i32 s5, s5, 8
	ds_load_b64 v[121:122], v121
	v_cmp_eq_u32_e32 vcc_lo, 0, v118
	s_or_b32 s1, vcc_lo, s1
	s_waitcnt vmcnt(0) lgkmcnt(0)
	v_fma_f64 v[105:106], v[119:120], v[121:122], v[105:106]
	s_and_not1_b32 exec_lo, exec_lo, s1
	s_cbranch_execnz .LBB51_365
; %bb.366:
	s_or_b32 exec_lo, exec_lo, s1
.LBB51_367:
	s_delay_alu instid0(SALU_CYCLE_1)
	s_or_b32 exec_lo, exec_lo, s4
	v_mov_b32_e32 v117, 0
	ds_load_b64 v[117:118], v117 offset:112
	s_waitcnt lgkmcnt(0)
	v_mul_f64 v[105:106], v[105:106], v[117:118]
	scratch_store_b64 off, v[105:106], off offset:112
.LBB51_368:
	s_or_b32 exec_lo, exec_lo, s3
	scratch_load_b64 v[105:106], off, off offset:104
	v_cmp_lt_u32_e64 s1, 13, v0
	s_waitcnt vmcnt(0)
	ds_store_b64 v108, v[105:106]
	s_waitcnt lgkmcnt(0)
	s_waitcnt_vscnt null, 0x0
	s_barrier
	buffer_gl0_inv
	s_and_saveexec_b32 s3, s1
	s_cbranch_execz .LBB51_378
; %bb.369:
	s_and_not1_b32 vcc_lo, exec_lo, s2
	s_cbranch_vccnz .LBB51_371
; %bb.370:
	scratch_load_b64 v[105:106], v109, off
	ds_load_b64 v[117:118], v108
	s_waitcnt vmcnt(0) lgkmcnt(0)
	v_mul_f64 v[105:106], v[105:106], v[117:118]
	s_cbranch_execz .LBB51_372
	s_branch .LBB51_373
.LBB51_371:
                                        ; implicit-def: $vgpr105_vgpr106
.LBB51_372:
	ds_load_b64 v[105:106], v108
.LBB51_373:
	s_and_saveexec_b32 s4, s0
	s_cbranch_execz .LBB51_377
; %bb.374:
	v_add_nc_u32_e32 v117, -14, v0
	s_movk_i32 s5, 0x210
	s_mov_b32 s0, 0
.LBB51_375:                             ; =>This Inner Loop Header: Depth=1
	scratch_load_b64 v[118:119], v116, off
	v_dual_mov_b32 v120, s5 :: v_dual_add_nc_u32 v117, -1, v117
	v_add_nc_u32_e32 v116, 8, v116
	s_add_i32 s5, s5, 8
	ds_load_b64 v[120:121], v120
	v_cmp_eq_u32_e32 vcc_lo, 0, v117
	s_or_b32 s0, vcc_lo, s0
	s_waitcnt vmcnt(0) lgkmcnt(0)
	v_fma_f64 v[105:106], v[118:119], v[120:121], v[105:106]
	s_and_not1_b32 exec_lo, exec_lo, s0
	s_cbranch_execnz .LBB51_375
; %bb.376:
	s_or_b32 exec_lo, exec_lo, s0
.LBB51_377:
	s_delay_alu instid0(SALU_CYCLE_1)
	s_or_b32 exec_lo, exec_lo, s4
	v_mov_b32_e32 v116, 0
	ds_load_b64 v[116:117], v116 offset:104
	s_waitcnt lgkmcnt(0)
	v_mul_f64 v[105:106], v[105:106], v[116:117]
	scratch_store_b64 off, v[105:106], off offset:104
.LBB51_378:
	s_or_b32 exec_lo, exec_lo, s3
	scratch_load_b64 v[105:106], off, off offset:96
	v_cmp_lt_u32_e64 s0, 12, v0
	s_waitcnt vmcnt(0)
	ds_store_b64 v108, v[105:106]
	s_waitcnt lgkmcnt(0)
	s_waitcnt_vscnt null, 0x0
	s_barrier
	buffer_gl0_inv
	s_and_saveexec_b32 s3, s0
	s_cbranch_execz .LBB51_388
; %bb.379:
	s_and_not1_b32 vcc_lo, exec_lo, s2
	s_cbranch_vccnz .LBB51_381
; %bb.380:
	scratch_load_b64 v[105:106], v109, off
	ds_load_b64 v[116:117], v108
	s_waitcnt vmcnt(0) lgkmcnt(0)
	v_mul_f64 v[105:106], v[105:106], v[116:117]
	s_cbranch_execz .LBB51_382
	s_branch .LBB51_383
.LBB51_381:
                                        ; implicit-def: $vgpr105_vgpr106
.LBB51_382:
	ds_load_b64 v[105:106], v108
.LBB51_383:
	s_and_saveexec_b32 s4, s1
	s_cbranch_execz .LBB51_387
; %bb.384:
	v_dual_mov_b32 v116, 0 :: v_dual_add_nc_u32 v117, -13, v0
	s_movk_i32 s5, 0x208
	s_mov_b32 s1, 0
	s_delay_alu instid0(VALU_DEP_1)
	v_add_nc_u32_e32 v116, 0x68, v116
.LBB51_385:                             ; =>This Inner Loop Header: Depth=1
	scratch_load_b64 v[118:119], v116, off
	v_dual_mov_b32 v120, s5 :: v_dual_add_nc_u32 v117, -1, v117
	v_add_nc_u32_e32 v116, 8, v116
	s_add_i32 s5, s5, 8
	ds_load_b64 v[120:121], v120
	v_cmp_eq_u32_e32 vcc_lo, 0, v117
	s_or_b32 s1, vcc_lo, s1
	s_waitcnt vmcnt(0) lgkmcnt(0)
	v_fma_f64 v[105:106], v[118:119], v[120:121], v[105:106]
	s_and_not1_b32 exec_lo, exec_lo, s1
	s_cbranch_execnz .LBB51_385
; %bb.386:
	s_or_b32 exec_lo, exec_lo, s1
.LBB51_387:
	s_delay_alu instid0(SALU_CYCLE_1)
	s_or_b32 exec_lo, exec_lo, s4
	v_mov_b32_e32 v116, 0
	ds_load_b64 v[116:117], v116 offset:96
	s_waitcnt lgkmcnt(0)
	v_mul_f64 v[105:106], v[105:106], v[116:117]
	scratch_store_b64 off, v[105:106], off offset:96
.LBB51_388:
	s_or_b32 exec_lo, exec_lo, s3
	scratch_load_b64 v[105:106], off, off offset:88
	v_cmp_lt_u32_e64 s1, 11, v0
	s_waitcnt vmcnt(0)
	ds_store_b64 v108, v[105:106]
	s_waitcnt lgkmcnt(0)
	s_waitcnt_vscnt null, 0x0
	s_barrier
	buffer_gl0_inv
	s_and_saveexec_b32 s3, s1
	s_cbranch_execz .LBB51_398
; %bb.389:
	s_and_not1_b32 vcc_lo, exec_lo, s2
	s_cbranch_vccnz .LBB51_391
; %bb.390:
	scratch_load_b64 v[105:106], v109, off
	ds_load_b64 v[116:117], v108
	s_waitcnt vmcnt(0) lgkmcnt(0)
	v_mul_f64 v[105:106], v[105:106], v[116:117]
	s_cbranch_execz .LBB51_392
	s_branch .LBB51_393
.LBB51_391:
                                        ; implicit-def: $vgpr105_vgpr106
.LBB51_392:
	ds_load_b64 v[105:106], v108
.LBB51_393:
	s_and_saveexec_b32 s4, s0
	s_cbranch_execz .LBB51_397
; %bb.394:
	v_add_nc_u32_e32 v116, -12, v0
	s_movk_i32 s5, 0x200
	s_mov_b32 s0, 0
.LBB51_395:                             ; =>This Inner Loop Header: Depth=1
	scratch_load_b64 v[117:118], v115, off
	v_dual_mov_b32 v119, s5 :: v_dual_add_nc_u32 v116, -1, v116
	v_add_nc_u32_e32 v115, 8, v115
	s_add_i32 s5, s5, 8
	ds_load_b64 v[119:120], v119
	v_cmp_eq_u32_e32 vcc_lo, 0, v116
	s_or_b32 s0, vcc_lo, s0
	s_waitcnt vmcnt(0) lgkmcnt(0)
	v_fma_f64 v[105:106], v[117:118], v[119:120], v[105:106]
	s_and_not1_b32 exec_lo, exec_lo, s0
	s_cbranch_execnz .LBB51_395
; %bb.396:
	s_or_b32 exec_lo, exec_lo, s0
.LBB51_397:
	s_delay_alu instid0(SALU_CYCLE_1)
	s_or_b32 exec_lo, exec_lo, s4
	v_mov_b32_e32 v115, 0
	ds_load_b64 v[115:116], v115 offset:88
	s_waitcnt lgkmcnt(0)
	v_mul_f64 v[105:106], v[105:106], v[115:116]
	scratch_store_b64 off, v[105:106], off offset:88
.LBB51_398:
	s_or_b32 exec_lo, exec_lo, s3
	scratch_load_b64 v[105:106], off, off offset:80
	v_cmp_lt_u32_e64 s0, 10, v0
	s_waitcnt vmcnt(0)
	ds_store_b64 v108, v[105:106]
	s_waitcnt lgkmcnt(0)
	s_waitcnt_vscnt null, 0x0
	s_barrier
	buffer_gl0_inv
	s_and_saveexec_b32 s3, s0
	s_cbranch_execz .LBB51_408
; %bb.399:
	s_and_not1_b32 vcc_lo, exec_lo, s2
	s_cbranch_vccnz .LBB51_401
; %bb.400:
	scratch_load_b64 v[105:106], v109, off
	ds_load_b64 v[115:116], v108
	s_waitcnt vmcnt(0) lgkmcnt(0)
	v_mul_f64 v[105:106], v[105:106], v[115:116]
	s_cbranch_execz .LBB51_402
	s_branch .LBB51_403
.LBB51_401:
                                        ; implicit-def: $vgpr105_vgpr106
.LBB51_402:
	ds_load_b64 v[105:106], v108
.LBB51_403:
	s_and_saveexec_b32 s4, s1
	s_cbranch_execz .LBB51_407
; %bb.404:
	v_dual_mov_b32 v115, 0 :: v_dual_add_nc_u32 v116, -11, v0
	s_movk_i32 s5, 0x1f8
	s_mov_b32 s1, 0
	s_delay_alu instid0(VALU_DEP_1)
	v_add_nc_u32_e32 v115, 0x58, v115
.LBB51_405:                             ; =>This Inner Loop Header: Depth=1
	scratch_load_b64 v[117:118], v115, off
	v_dual_mov_b32 v119, s5 :: v_dual_add_nc_u32 v116, -1, v116
	v_add_nc_u32_e32 v115, 8, v115
	s_add_i32 s5, s5, 8
	ds_load_b64 v[119:120], v119
	v_cmp_eq_u32_e32 vcc_lo, 0, v116
	s_or_b32 s1, vcc_lo, s1
	s_waitcnt vmcnt(0) lgkmcnt(0)
	v_fma_f64 v[105:106], v[117:118], v[119:120], v[105:106]
	s_and_not1_b32 exec_lo, exec_lo, s1
	s_cbranch_execnz .LBB51_405
; %bb.406:
	s_or_b32 exec_lo, exec_lo, s1
.LBB51_407:
	s_delay_alu instid0(SALU_CYCLE_1)
	s_or_b32 exec_lo, exec_lo, s4
	v_mov_b32_e32 v115, 0
	ds_load_b64 v[115:116], v115 offset:80
	s_waitcnt lgkmcnt(0)
	v_mul_f64 v[105:106], v[105:106], v[115:116]
	scratch_store_b64 off, v[105:106], off offset:80
.LBB51_408:
	s_or_b32 exec_lo, exec_lo, s3
	scratch_load_b64 v[105:106], off, off offset:72
	v_cmp_lt_u32_e64 s1, 9, v0
	s_waitcnt vmcnt(0)
	ds_store_b64 v108, v[105:106]
	s_waitcnt lgkmcnt(0)
	s_waitcnt_vscnt null, 0x0
	s_barrier
	buffer_gl0_inv
	s_and_saveexec_b32 s3, s1
	s_cbranch_execz .LBB51_418
; %bb.409:
	s_and_not1_b32 vcc_lo, exec_lo, s2
	s_cbranch_vccnz .LBB51_411
; %bb.410:
	scratch_load_b64 v[105:106], v109, off
	ds_load_b64 v[115:116], v108
	s_waitcnt vmcnt(0) lgkmcnt(0)
	v_mul_f64 v[105:106], v[105:106], v[115:116]
	s_cbranch_execz .LBB51_412
	s_branch .LBB51_413
.LBB51_411:
                                        ; implicit-def: $vgpr105_vgpr106
.LBB51_412:
	ds_load_b64 v[105:106], v108
.LBB51_413:
	s_and_saveexec_b32 s4, s0
	s_cbranch_execz .LBB51_417
; %bb.414:
	v_add_nc_u32_e32 v115, -10, v0
	s_movk_i32 s5, 0x1f0
	s_mov_b32 s0, 0
.LBB51_415:                             ; =>This Inner Loop Header: Depth=1
	scratch_load_b64 v[116:117], v114, off
	v_dual_mov_b32 v118, s5 :: v_dual_add_nc_u32 v115, -1, v115
	v_add_nc_u32_e32 v114, 8, v114
	s_add_i32 s5, s5, 8
	ds_load_b64 v[118:119], v118
	v_cmp_eq_u32_e32 vcc_lo, 0, v115
	s_or_b32 s0, vcc_lo, s0
	s_waitcnt vmcnt(0) lgkmcnt(0)
	v_fma_f64 v[105:106], v[116:117], v[118:119], v[105:106]
	s_and_not1_b32 exec_lo, exec_lo, s0
	s_cbranch_execnz .LBB51_415
; %bb.416:
	s_or_b32 exec_lo, exec_lo, s0
.LBB51_417:
	s_delay_alu instid0(SALU_CYCLE_1)
	s_or_b32 exec_lo, exec_lo, s4
	v_mov_b32_e32 v114, 0
	ds_load_b64 v[114:115], v114 offset:72
	s_waitcnt lgkmcnt(0)
	v_mul_f64 v[105:106], v[105:106], v[114:115]
	scratch_store_b64 off, v[105:106], off offset:72
.LBB51_418:
	s_or_b32 exec_lo, exec_lo, s3
	scratch_load_b64 v[105:106], off, off offset:64
	v_cmp_lt_u32_e64 s0, 8, v0
	s_waitcnt vmcnt(0)
	ds_store_b64 v108, v[105:106]
	s_waitcnt lgkmcnt(0)
	s_waitcnt_vscnt null, 0x0
	s_barrier
	buffer_gl0_inv
	s_and_saveexec_b32 s3, s0
	s_cbranch_execz .LBB51_428
; %bb.419:
	s_and_not1_b32 vcc_lo, exec_lo, s2
	s_cbranch_vccnz .LBB51_421
; %bb.420:
	scratch_load_b64 v[105:106], v109, off
	ds_load_b64 v[114:115], v108
	s_waitcnt vmcnt(0) lgkmcnt(0)
	v_mul_f64 v[105:106], v[105:106], v[114:115]
	s_cbranch_execz .LBB51_422
	s_branch .LBB51_423
.LBB51_421:
                                        ; implicit-def: $vgpr105_vgpr106
.LBB51_422:
	ds_load_b64 v[105:106], v108
.LBB51_423:
	s_and_saveexec_b32 s4, s1
	s_cbranch_execz .LBB51_427
; %bb.424:
	v_dual_mov_b32 v114, 0 :: v_dual_add_nc_u32 v115, -9, v0
	s_movk_i32 s5, 0x1e8
	s_mov_b32 s1, 0
	s_delay_alu instid0(VALU_DEP_1)
	v_add_nc_u32_e32 v114, 0x48, v114
.LBB51_425:                             ; =>This Inner Loop Header: Depth=1
	scratch_load_b64 v[116:117], v114, off
	v_dual_mov_b32 v118, s5 :: v_dual_add_nc_u32 v115, -1, v115
	v_add_nc_u32_e32 v114, 8, v114
	s_add_i32 s5, s5, 8
	ds_load_b64 v[118:119], v118
	v_cmp_eq_u32_e32 vcc_lo, 0, v115
	s_or_b32 s1, vcc_lo, s1
	s_waitcnt vmcnt(0) lgkmcnt(0)
	v_fma_f64 v[105:106], v[116:117], v[118:119], v[105:106]
	s_and_not1_b32 exec_lo, exec_lo, s1
	s_cbranch_execnz .LBB51_425
; %bb.426:
	s_or_b32 exec_lo, exec_lo, s1
.LBB51_427:
	s_delay_alu instid0(SALU_CYCLE_1)
	s_or_b32 exec_lo, exec_lo, s4
	v_mov_b32_e32 v114, 0
	ds_load_b64 v[114:115], v114 offset:64
	s_waitcnt lgkmcnt(0)
	v_mul_f64 v[105:106], v[105:106], v[114:115]
	scratch_store_b64 off, v[105:106], off offset:64
.LBB51_428:
	s_or_b32 exec_lo, exec_lo, s3
	scratch_load_b64 v[105:106], off, off offset:56
	v_cmp_lt_u32_e64 s1, 7, v0
	s_waitcnt vmcnt(0)
	ds_store_b64 v108, v[105:106]
	s_waitcnt lgkmcnt(0)
	s_waitcnt_vscnt null, 0x0
	s_barrier
	buffer_gl0_inv
	s_and_saveexec_b32 s3, s1
	s_cbranch_execz .LBB51_438
; %bb.429:
	s_and_not1_b32 vcc_lo, exec_lo, s2
	s_cbranch_vccnz .LBB51_431
; %bb.430:
	scratch_load_b64 v[105:106], v109, off
	ds_load_b64 v[114:115], v108
	s_waitcnt vmcnt(0) lgkmcnt(0)
	v_mul_f64 v[105:106], v[105:106], v[114:115]
	s_cbranch_execz .LBB51_432
	s_branch .LBB51_433
.LBB51_431:
                                        ; implicit-def: $vgpr105_vgpr106
.LBB51_432:
	ds_load_b64 v[105:106], v108
.LBB51_433:
	s_and_saveexec_b32 s4, s0
	s_cbranch_execz .LBB51_437
; %bb.434:
	v_add_nc_u32_e32 v114, -8, v0
	s_movk_i32 s5, 0x1e0
	s_mov_b32 s0, 0
.LBB51_435:                             ; =>This Inner Loop Header: Depth=1
	scratch_load_b64 v[115:116], v113, off
	v_dual_mov_b32 v117, s5 :: v_dual_add_nc_u32 v114, -1, v114
	v_add_nc_u32_e32 v113, 8, v113
	s_add_i32 s5, s5, 8
	ds_load_b64 v[117:118], v117
	v_cmp_eq_u32_e32 vcc_lo, 0, v114
	s_or_b32 s0, vcc_lo, s0
	s_waitcnt vmcnt(0) lgkmcnt(0)
	v_fma_f64 v[105:106], v[115:116], v[117:118], v[105:106]
	s_and_not1_b32 exec_lo, exec_lo, s0
	s_cbranch_execnz .LBB51_435
; %bb.436:
	s_or_b32 exec_lo, exec_lo, s0
.LBB51_437:
	s_delay_alu instid0(SALU_CYCLE_1)
	s_or_b32 exec_lo, exec_lo, s4
	v_mov_b32_e32 v113, 0
	ds_load_b64 v[113:114], v113 offset:56
	s_waitcnt lgkmcnt(0)
	v_mul_f64 v[105:106], v[105:106], v[113:114]
	scratch_store_b64 off, v[105:106], off offset:56
.LBB51_438:
	s_or_b32 exec_lo, exec_lo, s3
	scratch_load_b64 v[105:106], off, off offset:48
	v_cmp_lt_u32_e64 s0, 6, v0
	s_waitcnt vmcnt(0)
	ds_store_b64 v108, v[105:106]
	s_waitcnt lgkmcnt(0)
	s_waitcnt_vscnt null, 0x0
	s_barrier
	buffer_gl0_inv
	s_and_saveexec_b32 s3, s0
	s_cbranch_execz .LBB51_448
; %bb.439:
	s_and_not1_b32 vcc_lo, exec_lo, s2
	s_cbranch_vccnz .LBB51_441
; %bb.440:
	scratch_load_b64 v[105:106], v109, off
	ds_load_b64 v[113:114], v108
	s_waitcnt vmcnt(0) lgkmcnt(0)
	v_mul_f64 v[105:106], v[105:106], v[113:114]
	s_cbranch_execz .LBB51_442
	s_branch .LBB51_443
.LBB51_441:
                                        ; implicit-def: $vgpr105_vgpr106
.LBB51_442:
	ds_load_b64 v[105:106], v108
.LBB51_443:
	s_and_saveexec_b32 s4, s1
	s_cbranch_execz .LBB51_447
; %bb.444:
	v_add_nc_u32_e64 v113, 0, 56
	v_add_nc_u32_e32 v114, -7, v0
	s_movk_i32 s5, 0x1d8
	s_mov_b32 s1, 0
.LBB51_445:                             ; =>This Inner Loop Header: Depth=1
	scratch_load_b64 v[115:116], v113, off
	v_dual_mov_b32 v117, s5 :: v_dual_add_nc_u32 v114, -1, v114
	v_add_nc_u32_e32 v113, 8, v113
	s_add_i32 s5, s5, 8
	ds_load_b64 v[117:118], v117
	v_cmp_eq_u32_e32 vcc_lo, 0, v114
	s_or_b32 s1, vcc_lo, s1
	s_waitcnt vmcnt(0) lgkmcnt(0)
	v_fma_f64 v[105:106], v[115:116], v[117:118], v[105:106]
	s_and_not1_b32 exec_lo, exec_lo, s1
	s_cbranch_execnz .LBB51_445
; %bb.446:
	s_or_b32 exec_lo, exec_lo, s1
.LBB51_447:
	s_delay_alu instid0(SALU_CYCLE_1)
	s_or_b32 exec_lo, exec_lo, s4
	v_mov_b32_e32 v113, 0
	ds_load_b64 v[113:114], v113 offset:48
	s_waitcnt lgkmcnt(0)
	v_mul_f64 v[105:106], v[105:106], v[113:114]
	scratch_store_b64 off, v[105:106], off offset:48
.LBB51_448:
	s_or_b32 exec_lo, exec_lo, s3
	scratch_load_b64 v[105:106], off, off offset:40
	v_cmp_lt_u32_e64 s1, 5, v0
	s_waitcnt vmcnt(0)
	ds_store_b64 v108, v[105:106]
	s_waitcnt lgkmcnt(0)
	s_waitcnt_vscnt null, 0x0
	s_barrier
	buffer_gl0_inv
	s_and_saveexec_b32 s3, s1
	s_cbranch_execz .LBB51_458
; %bb.449:
	s_and_not1_b32 vcc_lo, exec_lo, s2
	s_cbranch_vccnz .LBB51_451
; %bb.450:
	scratch_load_b64 v[105:106], v109, off
	ds_load_b64 v[113:114], v108
	s_waitcnt vmcnt(0) lgkmcnt(0)
	v_mul_f64 v[105:106], v[105:106], v[113:114]
	s_cbranch_execz .LBB51_452
	s_branch .LBB51_453
.LBB51_451:
                                        ; implicit-def: $vgpr105_vgpr106
.LBB51_452:
	ds_load_b64 v[105:106], v108
.LBB51_453:
	s_and_saveexec_b32 s4, s0
	s_cbranch_execz .LBB51_457
; %bb.454:
	v_add_nc_u32_e32 v113, -6, v0
	s_movk_i32 s5, 0x1d0
	s_mov_b32 s0, 0
.LBB51_455:                             ; =>This Inner Loop Header: Depth=1
	scratch_load_b64 v[114:115], v112, off
	v_dual_mov_b32 v116, s5 :: v_dual_add_nc_u32 v113, -1, v113
	v_add_nc_u32_e32 v112, 8, v112
	s_add_i32 s5, s5, 8
	ds_load_b64 v[116:117], v116
	v_cmp_eq_u32_e32 vcc_lo, 0, v113
	s_or_b32 s0, vcc_lo, s0
	s_waitcnt vmcnt(0) lgkmcnt(0)
	v_fma_f64 v[105:106], v[114:115], v[116:117], v[105:106]
	s_and_not1_b32 exec_lo, exec_lo, s0
	s_cbranch_execnz .LBB51_455
; %bb.456:
	s_or_b32 exec_lo, exec_lo, s0
.LBB51_457:
	s_delay_alu instid0(SALU_CYCLE_1)
	s_or_b32 exec_lo, exec_lo, s4
	v_mov_b32_e32 v112, 0
	ds_load_b64 v[112:113], v112 offset:40
	s_waitcnt lgkmcnt(0)
	v_mul_f64 v[105:106], v[105:106], v[112:113]
	scratch_store_b64 off, v[105:106], off offset:40
.LBB51_458:
	s_or_b32 exec_lo, exec_lo, s3
	scratch_load_b64 v[105:106], off, off offset:32
	v_cmp_lt_u32_e64 s0, 4, v0
	s_waitcnt vmcnt(0)
	ds_store_b64 v108, v[105:106]
	s_waitcnt lgkmcnt(0)
	s_waitcnt_vscnt null, 0x0
	s_barrier
	buffer_gl0_inv
	s_and_saveexec_b32 s3, s0
	s_cbranch_execz .LBB51_468
; %bb.459:
	s_and_not1_b32 vcc_lo, exec_lo, s2
	s_cbranch_vccnz .LBB51_461
; %bb.460:
	scratch_load_b64 v[105:106], v109, off
	ds_load_b64 v[112:113], v108
	s_waitcnt vmcnt(0) lgkmcnt(0)
	v_mul_f64 v[105:106], v[105:106], v[112:113]
	s_cbranch_execz .LBB51_462
	s_branch .LBB51_463
.LBB51_461:
                                        ; implicit-def: $vgpr105_vgpr106
.LBB51_462:
	ds_load_b64 v[105:106], v108
.LBB51_463:
	s_and_saveexec_b32 s4, s1
	s_cbranch_execz .LBB51_467
; %bb.464:
	v_add_nc_u32_e64 v112, 0, 40
	v_add_nc_u32_e32 v113, -5, v0
	s_movk_i32 s5, 0x1c8
	s_mov_b32 s1, 0
.LBB51_465:                             ; =>This Inner Loop Header: Depth=1
	scratch_load_b64 v[114:115], v112, off
	v_dual_mov_b32 v116, s5 :: v_dual_add_nc_u32 v113, -1, v113
	v_add_nc_u32_e32 v112, 8, v112
	s_add_i32 s5, s5, 8
	ds_load_b64 v[116:117], v116
	v_cmp_eq_u32_e32 vcc_lo, 0, v113
	s_or_b32 s1, vcc_lo, s1
	s_waitcnt vmcnt(0) lgkmcnt(0)
	v_fma_f64 v[105:106], v[114:115], v[116:117], v[105:106]
	s_and_not1_b32 exec_lo, exec_lo, s1
	s_cbranch_execnz .LBB51_465
; %bb.466:
	s_or_b32 exec_lo, exec_lo, s1
.LBB51_467:
	s_delay_alu instid0(SALU_CYCLE_1)
	s_or_b32 exec_lo, exec_lo, s4
	v_mov_b32_e32 v112, 0
	ds_load_b64 v[112:113], v112 offset:32
	s_waitcnt lgkmcnt(0)
	v_mul_f64 v[105:106], v[105:106], v[112:113]
	scratch_store_b64 off, v[105:106], off offset:32
.LBB51_468:
	s_or_b32 exec_lo, exec_lo, s3
	scratch_load_b64 v[105:106], off, off offset:24
	v_cmp_lt_u32_e64 s1, 3, v0
	s_waitcnt vmcnt(0)
	ds_store_b64 v108, v[105:106]
	s_waitcnt lgkmcnt(0)
	s_waitcnt_vscnt null, 0x0
	s_barrier
	buffer_gl0_inv
	s_and_saveexec_b32 s3, s1
	s_cbranch_execz .LBB51_478
; %bb.469:
	s_and_not1_b32 vcc_lo, exec_lo, s2
	s_cbranch_vccnz .LBB51_471
; %bb.470:
	scratch_load_b64 v[105:106], v109, off
	ds_load_b64 v[112:113], v108
	s_waitcnt vmcnt(0) lgkmcnt(0)
	v_mul_f64 v[105:106], v[105:106], v[112:113]
	s_cbranch_execz .LBB51_472
	s_branch .LBB51_473
.LBB51_471:
                                        ; implicit-def: $vgpr105_vgpr106
.LBB51_472:
	ds_load_b64 v[105:106], v108
.LBB51_473:
	s_and_saveexec_b32 s4, s0
	s_cbranch_execz .LBB51_477
; %bb.474:
	v_add_nc_u32_e32 v112, -4, v0
	s_movk_i32 s5, 0x1c0
	s_mov_b32 s0, 0
.LBB51_475:                             ; =>This Inner Loop Header: Depth=1
	scratch_load_b64 v[113:114], v111, off
	v_dual_mov_b32 v115, s5 :: v_dual_add_nc_u32 v112, -1, v112
	v_add_nc_u32_e32 v111, 8, v111
	s_add_i32 s5, s5, 8
	ds_load_b64 v[115:116], v115
	v_cmp_eq_u32_e32 vcc_lo, 0, v112
	s_or_b32 s0, vcc_lo, s0
	s_waitcnt vmcnt(0) lgkmcnt(0)
	v_fma_f64 v[105:106], v[113:114], v[115:116], v[105:106]
	s_and_not1_b32 exec_lo, exec_lo, s0
	s_cbranch_execnz .LBB51_475
; %bb.476:
	s_or_b32 exec_lo, exec_lo, s0
.LBB51_477:
	s_delay_alu instid0(SALU_CYCLE_1)
	s_or_b32 exec_lo, exec_lo, s4
	v_mov_b32_e32 v111, 0
	ds_load_b64 v[111:112], v111 offset:24
	s_waitcnt lgkmcnt(0)
	v_mul_f64 v[105:106], v[105:106], v[111:112]
	scratch_store_b64 off, v[105:106], off offset:24
.LBB51_478:
	s_or_b32 exec_lo, exec_lo, s3
	scratch_load_b64 v[105:106], off, off offset:16
	v_cmp_lt_u32_e64 s0, 2, v0
	s_waitcnt vmcnt(0)
	ds_store_b64 v108, v[105:106]
	s_waitcnt lgkmcnt(0)
	s_waitcnt_vscnt null, 0x0
	s_barrier
	buffer_gl0_inv
	s_and_saveexec_b32 s3, s0
	s_cbranch_execz .LBB51_488
; %bb.479:
	s_and_not1_b32 vcc_lo, exec_lo, s2
	s_cbranch_vccnz .LBB51_481
; %bb.480:
	scratch_load_b64 v[105:106], v109, off
	ds_load_b64 v[111:112], v108
	s_waitcnt vmcnt(0) lgkmcnt(0)
	v_mul_f64 v[105:106], v[105:106], v[111:112]
	s_cbranch_execz .LBB51_482
	s_branch .LBB51_483
.LBB51_481:
                                        ; implicit-def: $vgpr105_vgpr106
.LBB51_482:
	ds_load_b64 v[105:106], v108
.LBB51_483:
	s_and_saveexec_b32 s4, s1
	s_cbranch_execz .LBB51_487
; %bb.484:
	v_add_nc_u32_e64 v111, 0, 24
	v_add_nc_u32_e32 v112, -3, v0
	s_movk_i32 s5, 0x1b8
	s_mov_b32 s1, 0
.LBB51_485:                             ; =>This Inner Loop Header: Depth=1
	scratch_load_b64 v[113:114], v111, off
	v_dual_mov_b32 v115, s5 :: v_dual_add_nc_u32 v112, -1, v112
	v_add_nc_u32_e32 v111, 8, v111
	s_add_i32 s5, s5, 8
	ds_load_b64 v[115:116], v115
	v_cmp_eq_u32_e32 vcc_lo, 0, v112
	s_or_b32 s1, vcc_lo, s1
	s_waitcnt vmcnt(0) lgkmcnt(0)
	v_fma_f64 v[105:106], v[113:114], v[115:116], v[105:106]
	s_and_not1_b32 exec_lo, exec_lo, s1
	s_cbranch_execnz .LBB51_485
; %bb.486:
	s_or_b32 exec_lo, exec_lo, s1
.LBB51_487:
	s_delay_alu instid0(SALU_CYCLE_1)
	s_or_b32 exec_lo, exec_lo, s4
	v_mov_b32_e32 v111, 0
	ds_load_b64 v[111:112], v111 offset:16
	s_waitcnt lgkmcnt(0)
	v_mul_f64 v[105:106], v[105:106], v[111:112]
	scratch_store_b64 off, v[105:106], off offset:16
.LBB51_488:
	s_or_b32 exec_lo, exec_lo, s3
	scratch_load_b64 v[105:106], off, off offset:8
	v_cmp_lt_u32_e64 s1, 1, v0
	s_waitcnt vmcnt(0)
	ds_store_b64 v108, v[105:106]
	s_waitcnt lgkmcnt(0)
	s_waitcnt_vscnt null, 0x0
	s_barrier
	buffer_gl0_inv
	s_and_saveexec_b32 s3, s1
	s_cbranch_execz .LBB51_498
; %bb.489:
	s_and_not1_b32 vcc_lo, exec_lo, s2
	s_cbranch_vccnz .LBB51_491
; %bb.490:
	scratch_load_b64 v[105:106], v109, off
	ds_load_b64 v[111:112], v108
	s_waitcnt vmcnt(0) lgkmcnt(0)
	v_mul_f64 v[105:106], v[105:106], v[111:112]
	s_cbranch_execz .LBB51_492
	s_branch .LBB51_493
.LBB51_491:
                                        ; implicit-def: $vgpr105_vgpr106
.LBB51_492:
	ds_load_b64 v[105:106], v108
.LBB51_493:
	s_and_saveexec_b32 s4, s0
	s_cbranch_execz .LBB51_497
; %bb.494:
	v_add_nc_u32_e32 v111, -2, v0
	s_movk_i32 s5, 0x1b0
	s_mov_b32 s0, 0
.LBB51_495:                             ; =>This Inner Loop Header: Depth=1
	scratch_load_b64 v[112:113], v110, off
	v_dual_mov_b32 v114, s5 :: v_dual_add_nc_u32 v111, -1, v111
	v_add_nc_u32_e32 v110, 8, v110
	s_add_i32 s5, s5, 8
	ds_load_b64 v[114:115], v114
	v_cmp_eq_u32_e32 vcc_lo, 0, v111
	s_or_b32 s0, vcc_lo, s0
	s_waitcnt vmcnt(0) lgkmcnt(0)
	v_fma_f64 v[105:106], v[112:113], v[114:115], v[105:106]
	s_and_not1_b32 exec_lo, exec_lo, s0
	s_cbranch_execnz .LBB51_495
; %bb.496:
	s_or_b32 exec_lo, exec_lo, s0
.LBB51_497:
	s_delay_alu instid0(SALU_CYCLE_1)
	s_or_b32 exec_lo, exec_lo, s4
	v_mov_b32_e32 v110, 0
	ds_load_b64 v[110:111], v110 offset:8
	s_waitcnt lgkmcnt(0)
	v_mul_f64 v[105:106], v[105:106], v[110:111]
	scratch_store_b64 off, v[105:106], off offset:8
.LBB51_498:
	s_or_b32 exec_lo, exec_lo, s3
	scratch_load_b64 v[105:106], off, off
	s_mov_b32 s0, 0
	s_mov_b32 s3, exec_lo
	s_waitcnt vmcnt(0)
	ds_store_b64 v108, v[105:106]
	s_waitcnt lgkmcnt(0)
	s_waitcnt_vscnt null, 0x0
	s_barrier
	buffer_gl0_inv
	v_cmpx_ne_u32_e32 0, v0
	s_cbranch_execz .LBB51_508
; %bb.499:
	s_and_not1_b32 vcc_lo, exec_lo, s2
	s_cbranch_vccnz .LBB51_501
; %bb.500:
	scratch_load_b64 v[105:106], v109, off
	ds_load_b64 v[110:111], v108
	s_waitcnt vmcnt(0) lgkmcnt(0)
	v_mul_f64 v[105:106], v[105:106], v[110:111]
	s_cbranch_execz .LBB51_502
	s_branch .LBB51_503
.LBB51_501:
                                        ; implicit-def: $vgpr105_vgpr106
.LBB51_502:
	ds_load_b64 v[105:106], v108
.LBB51_503:
	s_and_saveexec_b32 s4, s1
	s_cbranch_execz .LBB51_507
; %bb.504:
	v_or_b32_e64 v110, 0, 8
	v_add_nc_u32_e32 v111, -1, v0
	s_movk_i32 s5, 0x1a8
	s_mov_b32 s1, 0
.LBB51_505:                             ; =>This Inner Loop Header: Depth=1
	scratch_load_b64 v[112:113], v110, off
	v_dual_mov_b32 v114, s5 :: v_dual_add_nc_u32 v111, -1, v111
	v_add_nc_u32_e32 v110, 8, v110
	s_add_i32 s5, s5, 8
	ds_load_b64 v[114:115], v114
	v_cmp_eq_u32_e32 vcc_lo, 0, v111
	s_or_b32 s1, vcc_lo, s1
	s_waitcnt vmcnt(0) lgkmcnt(0)
	v_fma_f64 v[105:106], v[112:113], v[114:115], v[105:106]
	s_and_not1_b32 exec_lo, exec_lo, s1
	s_cbranch_execnz .LBB51_505
; %bb.506:
	s_or_b32 exec_lo, exec_lo, s1
.LBB51_507:
	s_delay_alu instid0(SALU_CYCLE_1)
	s_or_b32 exec_lo, exec_lo, s4
	v_mov_b32_e32 v110, 0
	ds_load_b64 v[110:111], v110
	s_waitcnt lgkmcnt(0)
	v_mul_f64 v[105:106], v[105:106], v[110:111]
	scratch_store_b64 off, v[105:106], off
.LBB51_508:
	s_or_b32 exec_lo, exec_lo, s3
.LBB51_509:
	s_delay_alu instid0(SALU_CYCLE_1)
	s_and_b32 vcc_lo, exec_lo, s0
	s_cbranch_vccz .LBB51_1015
; %bb.510:
	scratch_load_b64 v[105:106], off, off offset:8
	v_cmp_eq_u32_e64 s0, 0, v0
	s_waitcnt vmcnt(0)
	ds_store_b64 v108, v[105:106]
	s_waitcnt lgkmcnt(0)
	s_waitcnt_vscnt null, 0x0
	s_barrier
	buffer_gl0_inv
	s_and_saveexec_b32 s1, s0
	s_cbranch_execz .LBB51_516
; %bb.511:
	s_and_b32 vcc_lo, exec_lo, s2
	s_cbranch_vccz .LBB51_513
; %bb.512:
	scratch_load_b64 v[105:106], v109, off
	ds_load_b64 v[110:111], v108
	s_waitcnt vmcnt(0) lgkmcnt(0)
	v_mul_f64 v[105:106], v[105:106], v[110:111]
	s_cbranch_execz .LBB51_514
	s_branch .LBB51_515
.LBB51_513:
                                        ; implicit-def: $vgpr105_vgpr106
.LBB51_514:
	ds_load_b64 v[105:106], v108
.LBB51_515:
	v_mov_b32_e32 v110, 0
	ds_load_b64 v[110:111], v110 offset:8
	s_waitcnt lgkmcnt(0)
	v_mul_f64 v[105:106], v[105:106], v[110:111]
	scratch_store_b64 off, v[105:106], off offset:8
.LBB51_516:
	s_or_b32 exec_lo, exec_lo, s1
	scratch_load_b64 v[105:106], off, off offset:16
	v_cndmask_b32_e64 v110, 0, 1, s2
	s_mov_b32 s1, exec_lo
	s_waitcnt vmcnt(0)
	ds_store_b64 v108, v[105:106]
	s_waitcnt lgkmcnt(0)
	s_waitcnt_vscnt null, 0x0
	s_barrier
	buffer_gl0_inv
	v_cmpx_gt_u32_e32 2, v0
	s_cbranch_execz .LBB51_524
; %bb.517:
	s_and_not1_b32 vcc_lo, exec_lo, s2
	s_cbranch_vccnz .LBB51_519
; %bb.518:
	scratch_load_b64 v[105:106], v109, off
	ds_load_b64 v[111:112], v108
	s_waitcnt vmcnt(0) lgkmcnt(0)
	v_mul_f64 v[105:106], v[105:106], v[111:112]
	s_cbranch_execz .LBB51_520
	s_branch .LBB51_521
.LBB51_519:
                                        ; implicit-def: $vgpr105_vgpr106
.LBB51_520:
	ds_load_b64 v[105:106], v108
.LBB51_521:
	s_and_saveexec_b32 s2, s0
	s_cbranch_execz .LBB51_523
; %bb.522:
	scratch_load_b64 v[111:112], v109, off offset:8
	ds_load_b64 v[113:114], v108 offset:8
	s_waitcnt vmcnt(0) lgkmcnt(0)
	v_fma_f64 v[105:106], v[111:112], v[113:114], v[105:106]
.LBB51_523:
	s_or_b32 exec_lo, exec_lo, s2
	v_mov_b32_e32 v111, 0
	ds_load_b64 v[111:112], v111 offset:16
	s_waitcnt lgkmcnt(0)
	v_mul_f64 v[105:106], v[105:106], v[111:112]
	scratch_store_b64 off, v[105:106], off offset:16
.LBB51_524:
	s_or_b32 exec_lo, exec_lo, s1
	scratch_load_b64 v[105:106], off, off offset:24
	s_mov_b32 s1, exec_lo
	s_waitcnt vmcnt(0)
	ds_store_b64 v108, v[105:106]
	s_waitcnt lgkmcnt(0)
	s_waitcnt_vscnt null, 0x0
	s_barrier
	buffer_gl0_inv
	v_cmpx_gt_u32_e32 3, v0
	s_cbranch_execz .LBB51_534
; %bb.525:
	v_cmp_ne_u32_e32 vcc_lo, 1, v110
	s_cbranch_vccnz .LBB51_527
; %bb.526:
	scratch_load_b64 v[105:106], v109, off
	ds_load_b64 v[111:112], v108
	s_waitcnt vmcnt(0) lgkmcnt(0)
	v_mul_f64 v[105:106], v[105:106], v[111:112]
	s_cbranch_execz .LBB51_528
	s_branch .LBB51_529
.LBB51_527:
                                        ; implicit-def: $vgpr105_vgpr106
.LBB51_528:
	ds_load_b64 v[105:106], v108
.LBB51_529:
	s_mov_b32 s2, exec_lo
	v_cmpx_ne_u32_e32 2, v0
	s_cbranch_execz .LBB51_533
; %bb.530:
	scratch_load_b64 v[111:112], v109, off offset:8
	ds_load_b64 v[113:114], v108 offset:8
	s_waitcnt vmcnt(0) lgkmcnt(0)
	v_fma_f64 v[105:106], v[111:112], v[113:114], v[105:106]
	s_and_saveexec_b32 s3, s0
	s_cbranch_execz .LBB51_532
; %bb.531:
	scratch_load_b64 v[111:112], off, off offset:16
	v_mov_b32_e32 v113, 0
	ds_load_b64 v[113:114], v113 offset:432
	s_waitcnt vmcnt(0) lgkmcnt(0)
	v_fma_f64 v[105:106], v[111:112], v[113:114], v[105:106]
.LBB51_532:
	s_or_b32 exec_lo, exec_lo, s3
.LBB51_533:
	s_delay_alu instid0(SALU_CYCLE_1)
	s_or_b32 exec_lo, exec_lo, s2
	v_mov_b32_e32 v111, 0
	ds_load_b64 v[111:112], v111 offset:24
	s_waitcnt lgkmcnt(0)
	v_mul_f64 v[105:106], v[105:106], v[111:112]
	scratch_store_b64 off, v[105:106], off offset:24
.LBB51_534:
	s_or_b32 exec_lo, exec_lo, s1
	scratch_load_b64 v[105:106], off, off offset:32
	s_mov_b32 s0, exec_lo
	s_waitcnt vmcnt(0)
	ds_store_b64 v108, v[105:106]
	s_waitcnt lgkmcnt(0)
	s_waitcnt_vscnt null, 0x0
	s_barrier
	buffer_gl0_inv
	v_cmpx_gt_u32_e32 4, v0
	s_cbranch_execz .LBB51_544
; %bb.535:
	v_cmp_ne_u32_e32 vcc_lo, 1, v110
	s_cbranch_vccnz .LBB51_537
; %bb.536:
	scratch_load_b64 v[105:106], v109, off
	ds_load_b64 v[111:112], v108
	s_waitcnt vmcnt(0) lgkmcnt(0)
	v_mul_f64 v[105:106], v[105:106], v[111:112]
	s_cbranch_execz .LBB51_538
	s_branch .LBB51_539
.LBB51_537:
                                        ; implicit-def: $vgpr105_vgpr106
.LBB51_538:
	ds_load_b64 v[105:106], v108
.LBB51_539:
	s_mov_b32 s1, exec_lo
	v_cmpx_ne_u32_e32 3, v0
	s_cbranch_execz .LBB51_543
; %bb.540:
	v_add_nc_u32_e32 v111, 0x1a8, v107
	v_add3_u32 v112, 0, v107, 8
	v_mov_b32_e32 v113, v0
	s_mov_b32 s2, 0
.LBB51_541:                             ; =>This Inner Loop Header: Depth=1
	scratch_load_b64 v[114:115], v112, off
	ds_load_b64 v[116:117], v111
	v_add_nc_u32_e32 v113, 1, v113
	v_add_nc_u32_e32 v111, 8, v111
	v_add_nc_u32_e32 v112, 8, v112
	s_delay_alu instid0(VALU_DEP_3)
	v_cmp_lt_u32_e32 vcc_lo, 2, v113
	s_or_b32 s2, vcc_lo, s2
	s_waitcnt vmcnt(0) lgkmcnt(0)
	v_fma_f64 v[105:106], v[114:115], v[116:117], v[105:106]
	s_and_not1_b32 exec_lo, exec_lo, s2
	s_cbranch_execnz .LBB51_541
; %bb.542:
	s_or_b32 exec_lo, exec_lo, s2
.LBB51_543:
	s_delay_alu instid0(SALU_CYCLE_1)
	s_or_b32 exec_lo, exec_lo, s1
	v_mov_b32_e32 v111, 0
	ds_load_b64 v[111:112], v111 offset:32
	s_waitcnt lgkmcnt(0)
	v_mul_f64 v[105:106], v[105:106], v[111:112]
	scratch_store_b64 off, v[105:106], off offset:32
.LBB51_544:
	s_or_b32 exec_lo, exec_lo, s0
	scratch_load_b64 v[105:106], off, off offset:40
	s_mov_b32 s0, exec_lo
	s_waitcnt vmcnt(0)
	ds_store_b64 v108, v[105:106]
	s_waitcnt lgkmcnt(0)
	s_waitcnt_vscnt null, 0x0
	s_barrier
	buffer_gl0_inv
	v_cmpx_gt_u32_e32 5, v0
	s_cbranch_execz .LBB51_554
; %bb.545:
	v_cmp_ne_u32_e32 vcc_lo, 1, v110
	s_cbranch_vccnz .LBB51_547
; %bb.546:
	scratch_load_b64 v[105:106], v109, off
	ds_load_b64 v[111:112], v108
	s_waitcnt vmcnt(0) lgkmcnt(0)
	v_mul_f64 v[105:106], v[105:106], v[111:112]
	s_cbranch_execz .LBB51_548
	s_branch .LBB51_549
.LBB51_547:
                                        ; implicit-def: $vgpr105_vgpr106
.LBB51_548:
	ds_load_b64 v[105:106], v108
.LBB51_549:
	s_mov_b32 s1, exec_lo
	v_cmpx_ne_u32_e32 4, v0
	s_cbranch_execz .LBB51_553
; %bb.550:
	v_add_nc_u32_e32 v111, 0x1a8, v107
	v_add3_u32 v112, 0, v107, 8
	v_mov_b32_e32 v113, v0
	s_mov_b32 s2, 0
.LBB51_551:                             ; =>This Inner Loop Header: Depth=1
	scratch_load_b64 v[114:115], v112, off
	ds_load_b64 v[116:117], v111
	v_add_nc_u32_e32 v113, 1, v113
	v_add_nc_u32_e32 v111, 8, v111
	v_add_nc_u32_e32 v112, 8, v112
	s_delay_alu instid0(VALU_DEP_3)
	v_cmp_lt_u32_e32 vcc_lo, 3, v113
	s_or_b32 s2, vcc_lo, s2
	s_waitcnt vmcnt(0) lgkmcnt(0)
	v_fma_f64 v[105:106], v[114:115], v[116:117], v[105:106]
	s_and_not1_b32 exec_lo, exec_lo, s2
	s_cbranch_execnz .LBB51_551
; %bb.552:
	s_or_b32 exec_lo, exec_lo, s2
.LBB51_553:
	s_delay_alu instid0(SALU_CYCLE_1)
	s_or_b32 exec_lo, exec_lo, s1
	v_mov_b32_e32 v111, 0
	ds_load_b64 v[111:112], v111 offset:40
	s_waitcnt lgkmcnt(0)
	v_mul_f64 v[105:106], v[105:106], v[111:112]
	scratch_store_b64 off, v[105:106], off offset:40
.LBB51_554:
	;; [unrolled: 58-line block ×46, first 2 shown]
	s_or_b32 exec_lo, exec_lo, s0
	scratch_load_b64 v[105:106], off, off offset:400
	v_cmp_gt_u32_e64 s0, 50, v0
	s_waitcnt vmcnt(0)
	ds_store_b64 v108, v[105:106]
	s_waitcnt lgkmcnt(0)
	s_waitcnt_vscnt null, 0x0
	s_barrier
	buffer_gl0_inv
	s_and_saveexec_b32 s1, s0
	s_cbranch_execz .LBB51_1004
; %bb.995:
	v_cmp_ne_u32_e32 vcc_lo, 1, v110
	s_cbranch_vccnz .LBB51_997
; %bb.996:
	scratch_load_b64 v[105:106], v109, off
	ds_load_b64 v[111:112], v108
	s_waitcnt vmcnt(0) lgkmcnt(0)
	v_mul_f64 v[105:106], v[105:106], v[111:112]
	s_cbranch_execz .LBB51_998
	s_branch .LBB51_999
.LBB51_997:
                                        ; implicit-def: $vgpr105_vgpr106
.LBB51_998:
	ds_load_b64 v[105:106], v108
.LBB51_999:
	s_mov_b32 s2, exec_lo
	v_cmpx_ne_u32_e32 49, v0
	s_cbranch_execz .LBB51_1003
; %bb.1000:
	v_add_nc_u32_e32 v111, 0x1a8, v107
	v_add3_u32 v112, 0, v107, 8
	v_mov_b32_e32 v113, v0
	s_mov_b32 s3, 0
.LBB51_1001:                            ; =>This Inner Loop Header: Depth=1
	scratch_load_b64 v[114:115], v112, off
	ds_load_b64 v[116:117], v111
	v_add_nc_u32_e32 v113, 1, v113
	v_add_nc_u32_e32 v111, 8, v111
	;; [unrolled: 1-line block ×3, first 2 shown]
	s_delay_alu instid0(VALU_DEP_3)
	v_cmp_lt_u32_e32 vcc_lo, 48, v113
	s_or_b32 s3, vcc_lo, s3
	s_waitcnt vmcnt(0) lgkmcnt(0)
	v_fma_f64 v[105:106], v[114:115], v[116:117], v[105:106]
	s_and_not1_b32 exec_lo, exec_lo, s3
	s_cbranch_execnz .LBB51_1001
; %bb.1002:
	s_or_b32 exec_lo, exec_lo, s3
.LBB51_1003:
	s_delay_alu instid0(SALU_CYCLE_1)
	s_or_b32 exec_lo, exec_lo, s2
	v_mov_b32_e32 v111, 0
	ds_load_b64 v[111:112], v111 offset:400
	s_waitcnt lgkmcnt(0)
	v_mul_f64 v[105:106], v[105:106], v[111:112]
	scratch_store_b64 off, v[105:106], off offset:400
.LBB51_1004:
	s_or_b32 exec_lo, exec_lo, s1
	scratch_load_b64 v[105:106], off, off offset:408
	s_mov_b32 s1, exec_lo
	s_waitcnt vmcnt(0)
	ds_store_b64 v108, v[105:106]
	s_waitcnt lgkmcnt(0)
	s_waitcnt_vscnt null, 0x0
	s_barrier
	buffer_gl0_inv
	v_cmpx_ne_u32_e32 51, v0
	s_cbranch_execz .LBB51_1014
; %bb.1005:
	v_cmp_ne_u32_e32 vcc_lo, 1, v110
	s_cbranch_vccnz .LBB51_1007
; %bb.1006:
	scratch_load_b64 v[105:106], v109, off
	ds_load_b64 v[109:110], v108
	s_waitcnt vmcnt(0) lgkmcnt(0)
	v_mul_f64 v[105:106], v[105:106], v[109:110]
	s_cbranch_execz .LBB51_1008
	s_branch .LBB51_1009
.LBB51_1007:
                                        ; implicit-def: $vgpr105_vgpr106
.LBB51_1008:
	ds_load_b64 v[105:106], v108
.LBB51_1009:
	s_and_saveexec_b32 s2, s0
	s_cbranch_execz .LBB51_1013
; %bb.1010:
	v_add_nc_u32_e32 v108, 0x1a8, v107
	v_add3_u32 v107, 0, v107, 8
	s_mov_b32 s0, 0
.LBB51_1011:                            ; =>This Inner Loop Header: Depth=1
	scratch_load_b64 v[109:110], v107, off
	ds_load_b64 v[111:112], v108
	v_add_nc_u32_e32 v0, 1, v0
	v_add_nc_u32_e32 v108, 8, v108
	;; [unrolled: 1-line block ×3, first 2 shown]
	s_delay_alu instid0(VALU_DEP_3)
	v_cmp_lt_u32_e32 vcc_lo, 49, v0
	s_or_b32 s0, vcc_lo, s0
	s_waitcnt vmcnt(0) lgkmcnt(0)
	v_fma_f64 v[105:106], v[109:110], v[111:112], v[105:106]
	s_and_not1_b32 exec_lo, exec_lo, s0
	s_cbranch_execnz .LBB51_1011
; %bb.1012:
	s_or_b32 exec_lo, exec_lo, s0
.LBB51_1013:
	s_delay_alu instid0(SALU_CYCLE_1)
	s_or_b32 exec_lo, exec_lo, s2
	v_mov_b32_e32 v0, 0
	ds_load_b64 v[107:108], v0 offset:408
	s_waitcnt lgkmcnt(0)
	v_mul_f64 v[105:106], v[105:106], v[107:108]
	scratch_store_b64 off, v[105:106], off offset:408
.LBB51_1014:
	s_or_b32 exec_lo, exec_lo, s1
.LBB51_1015:
	s_clause 0x8
	scratch_load_b128 v[105:108], off, off
	scratch_load_b128 v[109:112], off, off offset:16
	scratch_load_b128 v[113:116], off, off offset:32
	;; [unrolled: 1-line block ×8, first 2 shown]
	s_waitcnt vmcnt(8)
	s_clause 0x1
	global_store_b64 v[19:20], v[105:106], off
	global_store_b64 v[31:32], v[107:108], off
	s_clause 0x1
	scratch_load_b128 v[105:108], off, off offset:144
	scratch_load_b128 v[141:144], off, off offset:160
	s_waitcnt vmcnt(9)
	s_clause 0x1
	global_store_b64 v[13:14], v[109:110], off
	global_store_b64 v[5:6], v[111:112], off
	scratch_load_b128 v[109:112], off, off offset:176
	s_waitcnt vmcnt(9)
	global_store_b64 v[15:16], v[113:114], off
	scratch_load_b128 v[13:16], off, off offset:192
	global_store_b64 v[7:8], v[115:116], off
	s_clause 0x1
	scratch_load_b128 v[5:8], off, off offset:208
	scratch_load_b128 v[113:116], off, off offset:224
	s_waitcnt vmcnt(11)
	s_clause 0x1
	global_store_b64 v[11:12], v[117:118], off
	global_store_b64 v[3:4], v[119:120], off
	s_clause 0x1
	scratch_load_b128 v[117:120], off, off offset:240
	scratch_load_b128 v[145:148], off, off offset:256
	s_waitcnt vmcnt(12)
	s_clause 0x1
	global_store_b64 v[45:46], v[121:122], off
	global_store_b64 v[39:40], v[123:124], off
	scratch_load_b128 v[121:124], off, off offset:272
	s_waitcnt vmcnt(12)
	global_store_b64 v[33:34], v[125:126], off
	scratch_load_b128 v[31:34], off, off offset:288
	global_store_b64 v[37:38], v[127:128], off
	s_clause 0x1
	scratch_load_b128 v[37:40], off, off offset:304
	scratch_load_b128 v[125:128], off, off offset:320
	s_waitcnt vmcnt(14)
	s_clause 0x1
	global_store_b64 v[35:36], v[129:130], off
	global_store_b64 v[27:28], v[131:132], off
	scratch_load_b128 v[129:132], off, off offset:336
	s_waitcnt vmcnt(14)
	global_store_b64 v[29:30], v[133:134], off
	scratch_load_b128 v[27:30], off, off offset:352
	global_store_b64 v[25:26], v[135:136], off
	scratch_load_b128 v[133:136], off, off offset:368
	s_waitcnt vmcnt(15)
	global_store_b64 v[17:18], v[137:138], off
	scratch_load_b128 v[17:20], off, off offset:384
	global_store_b64 v[9:10], v[139:140], off
	scratch_load_b128 v[9:12], off, off offset:400
	s_waitcnt vmcnt(16)
	s_clause 0x1
	global_store_b64 v[21:22], v[105:106], off
	global_store_b64 v[23:24], v[107:108], off
	s_waitcnt vmcnt(15)
	s_clause 0x1
	global_store_b64 v[41:42], v[141:142], off
	global_store_b64 v[43:44], v[143:144], off
	;; [unrolled: 4-line block ×17, first 2 shown]
.LBB51_1016:
	s_endpgm
	.section	.rodata,"a",@progbits
	.p2align	6, 0x0
	.amdhsa_kernel _ZN9rocsolver6v33100L18trti2_kernel_smallILi52EdPdEEv13rocblas_fill_17rocblas_diagonal_T1_iil
		.amdhsa_group_segment_fixed_size 832
		.amdhsa_private_segment_fixed_size 432
		.amdhsa_kernarg_size 32
		.amdhsa_user_sgpr_count 15
		.amdhsa_user_sgpr_dispatch_ptr 0
		.amdhsa_user_sgpr_queue_ptr 0
		.amdhsa_user_sgpr_kernarg_segment_ptr 1
		.amdhsa_user_sgpr_dispatch_id 0
		.amdhsa_user_sgpr_private_segment_size 0
		.amdhsa_wavefront_size32 1
		.amdhsa_uses_dynamic_stack 0
		.amdhsa_enable_private_segment 1
		.amdhsa_system_sgpr_workgroup_id_x 1
		.amdhsa_system_sgpr_workgroup_id_y 0
		.amdhsa_system_sgpr_workgroup_id_z 0
		.amdhsa_system_sgpr_workgroup_info 0
		.amdhsa_system_vgpr_workitem_id 0
		.amdhsa_next_free_vgpr 150
		.amdhsa_next_free_sgpr 23
		.amdhsa_reserve_vcc 1
		.amdhsa_float_round_mode_32 0
		.amdhsa_float_round_mode_16_64 0
		.amdhsa_float_denorm_mode_32 3
		.amdhsa_float_denorm_mode_16_64 3
		.amdhsa_dx10_clamp 1
		.amdhsa_ieee_mode 1
		.amdhsa_fp16_overflow 0
		.amdhsa_workgroup_processor_mode 1
		.amdhsa_memory_ordered 1
		.amdhsa_forward_progress 0
		.amdhsa_shared_vgpr_count 0
		.amdhsa_exception_fp_ieee_invalid_op 0
		.amdhsa_exception_fp_denorm_src 0
		.amdhsa_exception_fp_ieee_div_zero 0
		.amdhsa_exception_fp_ieee_overflow 0
		.amdhsa_exception_fp_ieee_underflow 0
		.amdhsa_exception_fp_ieee_inexact 0
		.amdhsa_exception_int_div_zero 0
	.end_amdhsa_kernel
	.section	.text._ZN9rocsolver6v33100L18trti2_kernel_smallILi52EdPdEEv13rocblas_fill_17rocblas_diagonal_T1_iil,"axG",@progbits,_ZN9rocsolver6v33100L18trti2_kernel_smallILi52EdPdEEv13rocblas_fill_17rocblas_diagonal_T1_iil,comdat
.Lfunc_end51:
	.size	_ZN9rocsolver6v33100L18trti2_kernel_smallILi52EdPdEEv13rocblas_fill_17rocblas_diagonal_T1_iil, .Lfunc_end51-_ZN9rocsolver6v33100L18trti2_kernel_smallILi52EdPdEEv13rocblas_fill_17rocblas_diagonal_T1_iil
                                        ; -- End function
	.section	.AMDGPU.csdata,"",@progbits
; Kernel info:
; codeLenInByte = 28504
; NumSgprs: 25
; NumVgprs: 150
; ScratchSize: 432
; MemoryBound: 0
; FloatMode: 240
; IeeeMode: 1
; LDSByteSize: 832 bytes/workgroup (compile time only)
; SGPRBlocks: 3
; VGPRBlocks: 18
; NumSGPRsForWavesPerEU: 25
; NumVGPRsForWavesPerEU: 150
; Occupancy: 9
; WaveLimiterHint : 0
; COMPUTE_PGM_RSRC2:SCRATCH_EN: 1
; COMPUTE_PGM_RSRC2:USER_SGPR: 15
; COMPUTE_PGM_RSRC2:TRAP_HANDLER: 0
; COMPUTE_PGM_RSRC2:TGID_X_EN: 1
; COMPUTE_PGM_RSRC2:TGID_Y_EN: 0
; COMPUTE_PGM_RSRC2:TGID_Z_EN: 0
; COMPUTE_PGM_RSRC2:TIDIG_COMP_CNT: 0
	.section	.text._ZN9rocsolver6v33100L18trti2_kernel_smallILi53EdPdEEv13rocblas_fill_17rocblas_diagonal_T1_iil,"axG",@progbits,_ZN9rocsolver6v33100L18trti2_kernel_smallILi53EdPdEEv13rocblas_fill_17rocblas_diagonal_T1_iil,comdat
	.globl	_ZN9rocsolver6v33100L18trti2_kernel_smallILi53EdPdEEv13rocblas_fill_17rocblas_diagonal_T1_iil ; -- Begin function _ZN9rocsolver6v33100L18trti2_kernel_smallILi53EdPdEEv13rocblas_fill_17rocblas_diagonal_T1_iil
	.p2align	8
	.type	_ZN9rocsolver6v33100L18trti2_kernel_smallILi53EdPdEEv13rocblas_fill_17rocblas_diagonal_T1_iil,@function
_ZN9rocsolver6v33100L18trti2_kernel_smallILi53EdPdEEv13rocblas_fill_17rocblas_diagonal_T1_iil: ; @_ZN9rocsolver6v33100L18trti2_kernel_smallILi53EdPdEEv13rocblas_fill_17rocblas_diagonal_T1_iil
; %bb.0:
	s_mov_b32 s2, exec_lo
	v_cmpx_gt_u32_e32 53, v0
	s_cbranch_execz .LBB52_1036
; %bb.1:
	s_load_b256 s[0:7], s[0:1], 0x0
	s_ashr_i32 s8, s15, 31
	v_lshlrev_b32_e32 v109, 3, v0
	s_waitcnt lgkmcnt(0)
	s_mul_i32 s7, s15, s7
	s_mul_hi_u32 s10, s15, s6
	v_add3_u32 v1, s5, s5, v0
	s_mul_i32 s11, s8, s6
	s_ashr_i32 s9, s4, 31
	s_mov_b32 s8, s4
	s_add_i32 s4, s10, s7
	s_mul_i32 s6, s15, s6
	s_add_i32 s7, s4, s11
	v_add_nc_u32_e32 v3, s5, v1
	s_lshl_b64 s[6:7], s[6:7], 3
	v_ashrrev_i32_e32 v2, 31, v1
	s_add_u32 s4, s2, s6
	s_addc_u32 s6, s3, s7
	s_lshl_b64 s[2:3], s[8:9], 3
	v_add_nc_u32_e32 v7, s5, v3
	s_add_u32 s2, s4, s2
	v_ashrrev_i32_e32 v4, 31, v3
	s_addc_u32 s3, s6, s3
	v_add_co_u32 v15, s4, s2, v109
	s_mov_b32 s10, s5
	s_ashr_i32 s11, s5, 31
	v_lshlrev_b64 v[5:6], 3, v[1:2]
	v_add_co_ci_u32_e64 v16, null, s3, 0, s4
	s_lshl_b64 s[6:7], s[10:11], 3
	v_add_nc_u32_e32 v9, s5, v7
	v_lshlrev_b64 v[3:4], 3, v[3:4]
	v_ashrrev_i32_e32 v8, 31, v7
	v_add_co_u32 v19, vcc_lo, v15, s6
	v_add_co_ci_u32_e32 v20, vcc_lo, s7, v16, vcc_lo
	v_add_co_u32 v13, vcc_lo, s2, v5
	v_ashrrev_i32_e32 v10, 31, v9
	v_add_co_ci_u32_e32 v14, vcc_lo, s3, v6, vcc_lo
	v_lshlrev_b64 v[5:6], 3, v[7:8]
	v_add_co_u32 v17, vcc_lo, s2, v3
	v_add_co_ci_u32_e32 v18, vcc_lo, s3, v4, vcc_lo
	v_lshlrev_b64 v[3:4], 3, v[9:10]
	s_delay_alu instid0(VALU_DEP_4)
	v_add_co_u32 v21, vcc_lo, s2, v5
	v_add_co_ci_u32_e32 v22, vcc_lo, s3, v6, vcc_lo
	global_load_b64 v[1:2], v109, s[2:3]
	v_add_co_u32 v23, vcc_lo, s2, v3
	v_add_co_ci_u32_e32 v24, vcc_lo, s3, v4, vcc_lo
	v_add_nc_u32_e32 v25, s5, v9
	s_clause 0x4
	global_load_b64 v[3:4], v[19:20], off
	global_load_b64 v[5:6], v[13:14], off
	;; [unrolled: 1-line block ×5, first 2 shown]
	s_cmpk_lg_i32 s1, 0x84
	v_add_nc_u32_e32 v27, s5, v25
	v_ashrrev_i32_e32 v26, 31, v25
	s_delay_alu instid0(VALU_DEP_2) | instskip(SKIP_1) | instid1(VALU_DEP_3)
	v_add_nc_u32_e32 v29, s5, v27
	v_ashrrev_i32_e32 v28, 31, v27
	v_lshlrev_b64 v[25:26], 3, v[25:26]
	s_delay_alu instid0(VALU_DEP_3) | instskip(SKIP_1) | instid1(VALU_DEP_4)
	v_add_nc_u32_e32 v31, s5, v29
	v_ashrrev_i32_e32 v30, 31, v29
	v_lshlrev_b64 v[27:28], 3, v[27:28]
	s_delay_alu instid0(VALU_DEP_4) | instskip(NEXT) | instid1(VALU_DEP_4)
	v_add_co_u32 v25, vcc_lo, s2, v25
	v_add_nc_u32_e32 v33, s5, v31
	v_ashrrev_i32_e32 v32, 31, v31
	v_lshlrev_b64 v[29:30], 3, v[29:30]
	v_add_co_ci_u32_e32 v26, vcc_lo, s3, v26, vcc_lo
	s_delay_alu instid0(VALU_DEP_4) | instskip(SKIP_3) | instid1(VALU_DEP_4)
	v_add_nc_u32_e32 v35, s5, v33
	v_ashrrev_i32_e32 v34, 31, v33
	v_add_co_u32 v27, vcc_lo, s2, v27
	v_lshlrev_b64 v[31:32], 3, v[31:32]
	v_add_nc_u32_e32 v37, s5, v35
	v_add_co_ci_u32_e32 v28, vcc_lo, s3, v28, vcc_lo
	v_add_co_u32 v29, vcc_lo, s2, v29
	v_lshlrev_b64 v[33:34], 3, v[33:34]
	v_ashrrev_i32_e32 v36, 31, v35
	v_add_co_ci_u32_e32 v30, vcc_lo, s3, v30, vcc_lo
	v_add_co_u32 v31, vcc_lo, s2, v31
	v_ashrrev_i32_e32 v38, 31, v37
	v_add_nc_u32_e32 v39, s5, v37
	v_add_co_ci_u32_e32 v32, vcc_lo, s3, v32, vcc_lo
	v_lshlrev_b64 v[35:36], 3, v[35:36]
	v_add_co_u32 v75, vcc_lo, s2, v33
	v_add_co_ci_u32_e32 v76, vcc_lo, s3, v34, vcc_lo
	v_lshlrev_b64 v[33:34], 3, v[37:38]
	v_ashrrev_i32_e32 v40, 31, v39
	v_add_nc_u32_e32 v37, s5, v39
	v_add_co_u32 v69, vcc_lo, s2, v35
	v_add_co_ci_u32_e32 v70, vcc_lo, s3, v36, vcc_lo
	s_delay_alu instid0(VALU_DEP_4) | instskip(NEXT) | instid1(VALU_DEP_4)
	v_lshlrev_b64 v[35:36], 3, v[39:40]
	v_ashrrev_i32_e32 v38, 31, v37
	v_add_nc_u32_e32 v39, s5, v37
	v_add_co_u32 v63, vcc_lo, s2, v33
	v_add_co_ci_u32_e32 v64, vcc_lo, s3, v34, vcc_lo
	s_delay_alu instid0(VALU_DEP_4) | instskip(NEXT) | instid1(VALU_DEP_4)
	;; [unrolled: 6-line block ×4, first 2 shown]
	v_lshlrev_b64 v[33:34], 3, v[37:38]
	v_add_nc_u32_e32 v37, s5, v39
	v_ashrrev_i32_e32 v40, 31, v39
	v_add_co_u32 v51, vcc_lo, s2, v35
	v_add_co_ci_u32_e32 v52, vcc_lo, s3, v36, vcc_lo
	s_delay_alu instid0(VALU_DEP_4)
	v_ashrrev_i32_e32 v38, 31, v37
	v_add_nc_u32_e32 v41, s5, v37
	v_lshlrev_b64 v[35:36], 3, v[39:40]
	v_add_co_u32 v45, vcc_lo, s2, v33
	v_add_co_ci_u32_e32 v46, vcc_lo, s3, v34, vcc_lo
	v_lshlrev_b64 v[33:34], 3, v[37:38]
	v_ashrrev_i32_e32 v42, 31, v41
	v_add_nc_u32_e32 v37, s5, v41
	v_add_co_u32 v39, vcc_lo, s2, v35
	v_add_co_ci_u32_e32 v40, vcc_lo, s3, v36, vcc_lo
	s_delay_alu instid0(VALU_DEP_4) | instskip(NEXT) | instid1(VALU_DEP_4)
	v_lshlrev_b64 v[35:36], 3, v[41:42]
	v_add_nc_u32_e32 v41, s5, v37
	v_ashrrev_i32_e32 v38, 31, v37
	v_add_co_u32 v33, vcc_lo, s2, v33
	v_add_co_ci_u32_e32 v34, vcc_lo, s3, v34, vcc_lo
	s_delay_alu instid0(VALU_DEP_4) | instskip(SKIP_3) | instid1(VALU_DEP_4)
	v_add_nc_u32_e32 v43, s5, v41
	v_ashrrev_i32_e32 v42, 31, v41
	v_lshlrev_b64 v[37:38], 3, v[37:38]
	v_add_co_u32 v35, vcc_lo, s2, v35
	v_add_nc_u32_e32 v47, s5, v43
	v_ashrrev_i32_e32 v44, 31, v43
	v_lshlrev_b64 v[41:42], 3, v[41:42]
	v_add_co_ci_u32_e32 v36, vcc_lo, s3, v36, vcc_lo
	s_delay_alu instid0(VALU_DEP_4) | instskip(SKIP_3) | instid1(VALU_DEP_4)
	v_add_nc_u32_e32 v49, s5, v47
	v_ashrrev_i32_e32 v48, 31, v47
	v_add_co_u32 v37, vcc_lo, s2, v37
	v_lshlrev_b64 v[43:44], 3, v[43:44]
	v_add_nc_u32_e32 v53, s5, v49
	v_ashrrev_i32_e32 v50, 31, v49
	v_add_co_ci_u32_e32 v38, vcc_lo, s3, v38, vcc_lo
	v_add_co_u32 v41, vcc_lo, s2, v41
	s_delay_alu instid0(VALU_DEP_4) | instskip(SKIP_3) | instid1(VALU_DEP_4)
	v_add_nc_u32_e32 v57, s5, v53
	v_lshlrev_b64 v[47:48], 3, v[47:48]
	v_ashrrev_i32_e32 v54, 31, v53
	v_add_co_ci_u32_e32 v42, vcc_lo, s3, v42, vcc_lo
	v_add_nc_u32_e32 v61, s5, v57
	v_add_co_u32 v43, vcc_lo, s2, v43
	v_lshlrev_b64 v[49:50], 3, v[49:50]
	v_ashrrev_i32_e32 v58, 31, v57
	s_delay_alu instid0(VALU_DEP_4) | instskip(SKIP_2) | instid1(VALU_DEP_3)
	v_add_nc_u32_e32 v65, s5, v61
	v_add_co_ci_u32_e32 v44, vcc_lo, s3, v44, vcc_lo
	v_add_co_u32 v47, vcc_lo, s2, v47
	v_add_nc_u32_e32 v67, s5, v65
	v_lshlrev_b64 v[53:54], 3, v[53:54]
	v_ashrrev_i32_e32 v62, 31, v61
	v_add_co_ci_u32_e32 v48, vcc_lo, s3, v48, vcc_lo
	s_delay_alu instid0(VALU_DEP_4) | instskip(SKIP_3) | instid1(VALU_DEP_4)
	v_add_nc_u32_e32 v71, s5, v67
	v_add_co_u32 v49, vcc_lo, s2, v49
	v_lshlrev_b64 v[57:58], 3, v[57:58]
	v_ashrrev_i32_e32 v66, 31, v65
	v_add_nc_u32_e32 v73, s5, v71
	v_add_co_ci_u32_e32 v50, vcc_lo, s3, v50, vcc_lo
	v_add_co_u32 v53, vcc_lo, s2, v53
	s_delay_alu instid0(VALU_DEP_3) | instskip(SKIP_3) | instid1(VALU_DEP_4)
	v_add_nc_u32_e32 v77, s5, v73
	v_lshlrev_b64 v[61:62], 3, v[61:62]
	v_ashrrev_i32_e32 v68, 31, v67
	v_add_co_ci_u32_e32 v54, vcc_lo, s3, v54, vcc_lo
	v_add_nc_u32_e32 v79, s5, v77
	v_add_co_u32 v57, vcc_lo, s2, v57
	v_lshlrev_b64 v[65:66], 3, v[65:66]
	v_ashrrev_i32_e32 v72, 31, v71
	s_delay_alu instid0(VALU_DEP_4) | instskip(SKIP_2) | instid1(VALU_DEP_3)
	v_add_nc_u32_e32 v81, s5, v79
	v_add_co_ci_u32_e32 v58, vcc_lo, s3, v58, vcc_lo
	v_add_co_u32 v61, vcc_lo, s2, v61
	v_add_nc_u32_e32 v83, s5, v81
	v_lshlrev_b64 v[67:68], 3, v[67:68]
	v_ashrrev_i32_e32 v74, 31, v73
	v_add_co_ci_u32_e32 v62, vcc_lo, s3, v62, vcc_lo
	s_delay_alu instid0(VALU_DEP_4) | instskip(SKIP_3) | instid1(VALU_DEP_4)
	v_add_nc_u32_e32 v85, s5, v83
	v_add_co_u32 v65, vcc_lo, s2, v65
	v_lshlrev_b64 v[71:72], 3, v[71:72]
	v_ashrrev_i32_e32 v78, 31, v77
	v_add_nc_u32_e32 v87, s5, v85
	v_add_co_ci_u32_e32 v66, vcc_lo, s3, v66, vcc_lo
	v_add_co_u32 v67, vcc_lo, s2, v67
	s_delay_alu instid0(VALU_DEP_3) | instskip(SKIP_3) | instid1(VALU_DEP_4)
	v_add_nc_u32_e32 v89, s5, v87
	v_lshlrev_b64 v[73:74], 3, v[73:74]
	v_ashrrev_i32_e32 v80, 31, v79
	v_add_co_ci_u32_e32 v68, vcc_lo, s3, v68, vcc_lo
	v_add_nc_u32_e32 v91, s5, v89
	v_add_co_u32 v71, vcc_lo, s2, v71
	v_lshlrev_b64 v[77:78], 3, v[77:78]
	v_ashrrev_i32_e32 v82, 31, v81
	s_delay_alu instid0(VALU_DEP_4) | instskip(SKIP_2) | instid1(VALU_DEP_3)
	v_add_nc_u32_e32 v93, s5, v91
	v_add_co_ci_u32_e32 v72, vcc_lo, s3, v72, vcc_lo
	v_add_co_u32 v73, vcc_lo, s2, v73
	v_add_nc_u32_e32 v95, s5, v93
	v_lshlrev_b64 v[79:80], 3, v[79:80]
	v_ashrrev_i32_e32 v84, 31, v83
	v_add_co_ci_u32_e32 v74, vcc_lo, s3, v74, vcc_lo
	v_add_co_u32 v77, vcc_lo, s2, v77
	v_lshlrev_b64 v[81:82], 3, v[81:82]
	v_add_nc_u32_e32 v97, s5, v95
	v_ashrrev_i32_e32 v86, 31, v85
	v_add_co_ci_u32_e32 v78, vcc_lo, s3, v78, vcc_lo
	v_add_co_u32 v79, vcc_lo, s2, v79
	v_lshlrev_b64 v[83:84], 3, v[83:84]
	v_ashrrev_i32_e32 v88, 31, v87
	v_add_co_ci_u32_e32 v80, vcc_lo, s3, v80, vcc_lo
	v_add_nc_u32_e32 v99, s5, v97
	v_add_co_u32 v81, vcc_lo, s2, v81
	v_lshlrev_b64 v[85:86], 3, v[85:86]
	v_ashrrev_i32_e32 v90, 31, v89
	v_add_co_ci_u32_e32 v82, vcc_lo, s3, v82, vcc_lo
	v_add_co_u32 v83, vcc_lo, s2, v83
	v_lshlrev_b64 v[87:88], 3, v[87:88]
	v_ashrrev_i32_e32 v92, 31, v91
	v_add_nc_u32_e32 v101, s5, v99
	v_add_co_ci_u32_e32 v84, vcc_lo, s3, v84, vcc_lo
	v_add_co_u32 v85, vcc_lo, s2, v85
	v_lshlrev_b64 v[89:90], 3, v[89:90]
	v_ashrrev_i32_e32 v94, 31, v93
	v_add_co_ci_u32_e32 v86, vcc_lo, s3, v86, vcc_lo
	v_add_co_u32 v87, vcc_lo, s2, v87
	v_lshlrev_b64 v[91:92], 3, v[91:92]
	v_add_nc_u32_e32 v103, s5, v101
	v_ashrrev_i32_e32 v96, 31, v95
	v_add_co_ci_u32_e32 v88, vcc_lo, s3, v88, vcc_lo
	v_add_co_u32 v89, vcc_lo, s2, v89
	v_lshlrev_b64 v[93:94], 3, v[93:94]
	v_ashrrev_i32_e32 v98, 31, v97
	v_add_co_ci_u32_e32 v90, vcc_lo, s3, v90, vcc_lo
	v_add_nc_u32_e32 v105, s5, v103
	v_add_co_u32 v91, vcc_lo, s2, v91
	v_lshlrev_b64 v[95:96], 3, v[95:96]
	v_ashrrev_i32_e32 v100, 31, v99
	v_add_co_ci_u32_e32 v92, vcc_lo, s3, v92, vcc_lo
	v_add_co_u32 v93, vcc_lo, s2, v93
	v_lshlrev_b64 v[97:98], 3, v[97:98]
	v_ashrrev_i32_e32 v102, 31, v101
	v_add_nc_u32_e32 v107, s5, v105
	v_add_co_ci_u32_e32 v94, vcc_lo, s3, v94, vcc_lo
	v_add_co_u32 v95, vcc_lo, s2, v95
	v_lshlrev_b64 v[99:100], 3, v[99:100]
	v_ashrrev_i32_e32 v104, 31, v103
	v_add_co_ci_u32_e32 v96, vcc_lo, s3, v96, vcc_lo
	v_add_co_u32 v97, vcc_lo, s2, v97
	v_lshlrev_b64 v[101:102], 3, v[101:102]
	v_add_nc_u32_e32 v134, s5, v107
	v_ashrrev_i32_e32 v106, 31, v105
	v_add_co_ci_u32_e32 v98, vcc_lo, s3, v98, vcc_lo
	v_add_co_u32 v99, vcc_lo, s2, v99
	v_lshlrev_b64 v[103:104], 3, v[103:104]
	v_ashrrev_i32_e32 v108, 31, v107
	v_add_co_ci_u32_e32 v100, vcc_lo, s3, v100, vcc_lo
	v_add_nc_u32_e32 v136, s5, v134
	v_add_co_u32 v101, vcc_lo, s2, v101
	v_lshlrev_b64 v[105:106], 3, v[105:106]
	v_ashrrev_i32_e32 v135, 31, v134
	v_add_co_ci_u32_e32 v102, vcc_lo, s3, v102, vcc_lo
	v_add_co_u32 v103, vcc_lo, s2, v103
	v_lshlrev_b64 v[107:108], 3, v[107:108]
	v_add_nc_u32_e32 v138, s5, v136
	v_add_co_ci_u32_e32 v104, vcc_lo, s3, v104, vcc_lo
	v_add_co_u32 v105, vcc_lo, s2, v105
	v_lshlrev_b64 v[134:135], 3, v[134:135]
	v_add_co_ci_u32_e32 v106, vcc_lo, s3, v106, vcc_lo
	v_ashrrev_i32_e32 v137, 31, v136
	v_add_co_u32 v107, vcc_lo, s2, v107
	v_ashrrev_i32_e32 v139, 31, v138
	s_clause 0x2
	global_load_b64 v[110:111], v[25:26], off
	global_load_b64 v[112:113], v[27:28], off
	;; [unrolled: 1-line block ×3, first 2 shown]
	v_add_co_ci_u32_e32 v108, vcc_lo, s3, v108, vcc_lo
	s_clause 0x8
	global_load_b64 v[116:117], v[31:32], off
	global_load_b64 v[118:119], v[75:76], off
	;; [unrolled: 1-line block ×9, first 2 shown]
	s_waitcnt vmcnt(16)
	scratch_store_b128 off, v[1:4], off
	s_waitcnt vmcnt(14)
	scratch_store_b128 off, v[5:8], off offset:16
	s_waitcnt vmcnt(12)
	scratch_store_b128 off, v[9:12], off offset:32
	v_add_co_u32 v1, vcc_lo, s2, v134
	v_lshlrev_b64 v[3:4], 3, v[136:137]
	v_add_nc_u32_e32 v5, s5, v138
	v_add_co_ci_u32_e32 v2, vcc_lo, s3, v135, vcc_lo
	v_lshlrev_b64 v[7:8], 3, v[138:139]
	s_clause 0x3
	global_load_b64 v[134:135], v[33:34], off
	global_load_b64 v[136:137], v[35:36], off
	;; [unrolled: 1-line block ×4, first 2 shown]
	v_add_nc_u32_e32 v9, s5, v5
	v_ashrrev_i32_e32 v6, 31, v5
	v_add_co_u32 v3, vcc_lo, s2, v3
	s_waitcnt vmcnt(14)
	scratch_store_b128 off, v[110:113], off offset:48
	s_waitcnt vmcnt(12)
	scratch_store_b128 off, v[114:117], off offset:64
	s_clause 0x2
	global_load_b64 v[110:111], v[43:44], off
	global_load_b64 v[112:113], v[47:48], off
	;; [unrolled: 1-line block ×3, first 2 shown]
	s_waitcnt vmcnt(13)
	scratch_store_b128 off, v[118:121], off offset:80
	s_waitcnt vmcnt(11)
	scratch_store_b128 off, v[122:125], off offset:96
	s_clause 0x4
	global_load_b64 v[116:117], v[53:54], off
	global_load_b64 v[118:119], v[57:58], off
	;; [unrolled: 1-line block ×5, first 2 shown]
	s_waitcnt vmcnt(14)
	scratch_store_b128 off, v[126:129], off offset:112
	s_waitcnt vmcnt(12)
	scratch_store_b128 off, v[130:133], off offset:128
	s_clause 0x3
	global_load_b64 v[126:127], v[71:72], off
	global_load_b64 v[128:129], v[73:74], off
	;; [unrolled: 1-line block ×4, first 2 shown]
	s_waitcnt vmcnt(14)
	scratch_store_b128 off, v[134:137], off offset:144
	s_waitcnt vmcnt(12)
	scratch_store_b128 off, v[138:141], off offset:160
	s_clause 0x3
	global_load_b64 v[134:135], v[81:82], off
	global_load_b64 v[136:137], v[83:84], off
	;; [unrolled: 1-line block ×4, first 2 shown]
	v_ashrrev_i32_e32 v10, 31, v9
	v_lshlrev_b64 v[11:12], 3, v[5:6]
	v_add_co_ci_u32_e32 v4, vcc_lo, s3, v4, vcc_lo
	v_add_co_u32 v5, vcc_lo, s2, v7
	s_delay_alu instid0(VALU_DEP_4) | instskip(SKIP_3) | instid1(VALU_DEP_4)
	v_lshlrev_b64 v[9:10], 3, v[9:10]
	v_add_co_ci_u32_e32 v6, vcc_lo, s3, v8, vcc_lo
	v_add_co_u32 v7, vcc_lo, s2, v11
	v_add_co_ci_u32_e32 v8, vcc_lo, s3, v12, vcc_lo
	v_add_co_u32 v9, vcc_lo, s2, v9
	s_waitcnt vmcnt(14)
	scratch_store_b128 off, v[110:113], off offset:176
	s_waitcnt vmcnt(12)
	scratch_store_b128 off, v[114:117], off offset:192
	s_clause 0x2
	global_load_b64 v[110:111], v[89:90], off
	global_load_b64 v[112:113], v[91:92], off
	;; [unrolled: 1-line block ×3, first 2 shown]
	s_waitcnt vmcnt(13)
	scratch_store_b128 off, v[118:121], off offset:208
	s_waitcnt vmcnt(11)
	scratch_store_b128 off, v[122:125], off offset:224
	v_add_co_ci_u32_e32 v10, vcc_lo, s3, v10, vcc_lo
	s_clause 0x3
	global_load_b64 v[116:117], v[95:96], off
	global_load_b64 v[118:119], v[97:98], off
	;; [unrolled: 1-line block ×4, first 2 shown]
	s_waitcnt vmcnt(13)
	scratch_store_b128 off, v[126:129], off offset:240
	s_waitcnt vmcnt(11)
	scratch_store_b128 off, v[130:133], off offset:256
	s_clause 0x3
	global_load_b64 v[124:125], v[103:104], off
	global_load_b64 v[126:127], v[105:106], off
	;; [unrolled: 1-line block ×4, first 2 shown]
	s_waitcnt vmcnt(13)
	scratch_store_b128 off, v[134:137], off offset:272
	s_waitcnt vmcnt(11)
	scratch_store_b128 off, v[138:141], off offset:288
	s_clause 0x3
	global_load_b64 v[132:133], v[3:4], off
	global_load_b64 v[134:135], v[5:6], off
	;; [unrolled: 1-line block ×4, first 2 shown]
	v_mov_b32_e32 v11, 0
	v_mov_b32_e32 v12, 0xbff00000
	s_cselect_b32 s3, -1, 0
	s_cmpk_eq_i32 s1, 0x84
	s_waitcnt vmcnt(13)
	scratch_store_b128 off, v[110:113], off offset:304
	s_waitcnt vmcnt(11)
	scratch_store_b128 off, v[114:117], off offset:320
	;; [unrolled: 2-line block ×7, first 2 shown]
	s_waitcnt vmcnt(0)
	scratch_store_b64 off, v[138:139], off offset:416
	s_cbranch_scc1 .LBB52_3
; %bb.2:
	scratch_load_b64 v[11:12], v109, off
	s_waitcnt vmcnt(0)
	v_div_scale_f64 v[110:111], null, v[11:12], v[11:12], 1.0
	v_div_scale_f64 v[116:117], vcc_lo, 1.0, v[11:12], 1.0
	s_delay_alu instid0(VALU_DEP_2) | instskip(SKIP_2) | instid1(VALU_DEP_1)
	v_rcp_f64_e32 v[112:113], v[110:111]
	s_waitcnt_depctr 0xfff
	v_fma_f64 v[114:115], -v[110:111], v[112:113], 1.0
	v_fma_f64 v[112:113], v[112:113], v[114:115], v[112:113]
	s_delay_alu instid0(VALU_DEP_1) | instskip(NEXT) | instid1(VALU_DEP_1)
	v_fma_f64 v[114:115], -v[110:111], v[112:113], 1.0
	v_fma_f64 v[112:113], v[112:113], v[114:115], v[112:113]
	s_delay_alu instid0(VALU_DEP_1) | instskip(NEXT) | instid1(VALU_DEP_1)
	v_mul_f64 v[114:115], v[116:117], v[112:113]
	v_fma_f64 v[110:111], -v[110:111], v[114:115], v[116:117]
	s_delay_alu instid0(VALU_DEP_1) | instskip(NEXT) | instid1(VALU_DEP_1)
	v_div_fmas_f64 v[110:111], v[110:111], v[112:113], v[114:115]
	v_div_fixup_f64 v[11:12], v[110:111], v[11:12], 1.0
	scratch_store_b64 v109, v[11:12], off
	v_xor_b32_e32 v12, 0x80000000, v12
.LBB52_3:
	v_add_nc_u32_e32 v110, 0x1b0, v109
	v_add_nc_u32_e32 v111, 0, v109
	s_cmpk_eq_i32 s0, 0x79
	s_mov_b32 s0, -1
	ds_store_b64 v109, v[11:12]
	s_cbranch_scc1 .LBB52_519
; %bb.4:
	scratch_load_b64 v[11:12], off, off offset:408
	v_cmp_eq_u32_e64 s0, 52, v0
	s_movk_i32 s1, 0x50
	s_movk_i32 s2, 0x60
	;; [unrolled: 1-line block ×21, first 2 shown]
	s_waitcnt vmcnt(0)
	ds_store_b64 v110, v[11:12]
	s_waitcnt lgkmcnt(0)
	s_waitcnt_vscnt null, 0x0
	s_barrier
	buffer_gl0_inv
	s_and_saveexec_b32 s23, s0
	s_cbranch_execz .LBB52_10
; %bb.5:
	s_and_b32 vcc_lo, exec_lo, s3
	s_cbranch_vccz .LBB52_7
; %bb.6:
	scratch_load_b64 v[11:12], v111, off
	ds_load_b64 v[112:113], v110
	s_waitcnt vmcnt(0) lgkmcnt(0)
	v_mul_f64 v[11:12], v[11:12], v[112:113]
	s_cbranch_execz .LBB52_8
	s_branch .LBB52_9
.LBB52_7:
                                        ; implicit-def: $vgpr11_vgpr12
.LBB52_8:
	ds_load_b64 v[11:12], v110
.LBB52_9:
	v_mov_b32_e32 v112, 0
	ds_load_b64 v[112:113], v112 offset:408
	s_waitcnt lgkmcnt(0)
	v_mul_f64 v[11:12], v[11:12], v[112:113]
	scratch_store_b64 off, v[11:12], off offset:408
.LBB52_10:
	s_or_b32 exec_lo, exec_lo, s23
	scratch_load_b64 v[11:12], off, off offset:400
	v_add_nc_u32_e64 v112, 0, 16
	v_add_nc_u32_e64 v113, 0, 32
	;; [unrolled: 1-line block ×25, first 2 shown]
	v_cmp_lt_u32_e64 s2, 50, v0
	s_waitcnt vmcnt(0)
	ds_store_b64 v110, v[11:12]
	s_waitcnt lgkmcnt(0)
	s_waitcnt_vscnt null, 0x0
	s_barrier
	buffer_gl0_inv
	s_and_saveexec_b32 s1, s2
	s_cbranch_execz .LBB52_18
; %bb.11:
	s_and_not1_b32 vcc_lo, exec_lo, s3
	s_cbranch_vccnz .LBB52_13
; %bb.12:
	scratch_load_b64 v[11:12], v111, off
	ds_load_b64 v[137:138], v110
	s_waitcnt vmcnt(0) lgkmcnt(0)
	v_mul_f64 v[11:12], v[11:12], v[137:138]
	s_cbranch_execz .LBB52_14
	s_branch .LBB52_15
.LBB52_13:
                                        ; implicit-def: $vgpr11_vgpr12
.LBB52_14:
	ds_load_b64 v[11:12], v110
.LBB52_15:
	s_and_saveexec_b32 s4, s0
	s_cbranch_execz .LBB52_17
; %bb.16:
	scratch_load_b64 v[137:138], off, off offset:408
	v_mov_b32_e32 v139, 0
	ds_load_b64 v[139:140], v139 offset:840
	s_waitcnt vmcnt(0) lgkmcnt(0)
	v_fma_f64 v[11:12], v[137:138], v[139:140], v[11:12]
.LBB52_17:
	s_or_b32 exec_lo, exec_lo, s4
	v_mov_b32_e32 v137, 0
	ds_load_b64 v[137:138], v137 offset:400
	s_waitcnt lgkmcnt(0)
	v_mul_f64 v[11:12], v[11:12], v[137:138]
	scratch_store_b64 off, v[11:12], off offset:400
.LBB52_18:
	s_or_b32 exec_lo, exec_lo, s1
	scratch_load_b64 v[11:12], off, off offset:392
	v_cmp_lt_u32_e64 s1, 49, v0
	s_waitcnt vmcnt(0)
	ds_store_b64 v110, v[11:12]
	s_waitcnt lgkmcnt(0)
	s_waitcnt_vscnt null, 0x0
	s_barrier
	buffer_gl0_inv
	s_and_saveexec_b32 s0, s1
	s_cbranch_execz .LBB52_28
; %bb.19:
	s_and_not1_b32 vcc_lo, exec_lo, s3
	s_cbranch_vccnz .LBB52_21
; %bb.20:
	scratch_load_b64 v[11:12], v111, off
	ds_load_b64 v[137:138], v110
	s_waitcnt vmcnt(0) lgkmcnt(0)
	v_mul_f64 v[11:12], v[11:12], v[137:138]
	s_cbranch_execz .LBB52_22
	s_branch .LBB52_23
.LBB52_21:
                                        ; implicit-def: $vgpr11_vgpr12
.LBB52_22:
	ds_load_b64 v[11:12], v110
.LBB52_23:
	s_and_saveexec_b32 s4, s2
	s_cbranch_execz .LBB52_27
; %bb.24:
	v_subrev_nc_u32_e32 v137, 50, v0
	s_movk_i32 s5, 0x340
	s_mov_b32 s2, 0
.LBB52_25:                              ; =>This Inner Loop Header: Depth=1
	scratch_load_b64 v[138:139], v136, off
	v_dual_mov_b32 v140, s5 :: v_dual_add_nc_u32 v137, -1, v137
	v_add_nc_u32_e32 v136, 8, v136
	s_add_i32 s5, s5, 8
	ds_load_b64 v[140:141], v140
	v_cmp_eq_u32_e32 vcc_lo, 0, v137
	s_or_b32 s2, vcc_lo, s2
	s_waitcnt vmcnt(0) lgkmcnt(0)
	v_fma_f64 v[11:12], v[138:139], v[140:141], v[11:12]
	s_and_not1_b32 exec_lo, exec_lo, s2
	s_cbranch_execnz .LBB52_25
; %bb.26:
	s_or_b32 exec_lo, exec_lo, s2
.LBB52_27:
	s_delay_alu instid0(SALU_CYCLE_1)
	s_or_b32 exec_lo, exec_lo, s4
	v_mov_b32_e32 v136, 0
	ds_load_b64 v[136:137], v136 offset:392
	s_waitcnt lgkmcnt(0)
	v_mul_f64 v[11:12], v[11:12], v[136:137]
	scratch_store_b64 off, v[11:12], off offset:392
.LBB52_28:
	s_or_b32 exec_lo, exec_lo, s0
	scratch_load_b64 v[11:12], off, off offset:384
	v_cmp_lt_u32_e64 s0, 48, v0
	s_waitcnt vmcnt(0)
	ds_store_b64 v110, v[11:12]
	s_waitcnt lgkmcnt(0)
	s_waitcnt_vscnt null, 0x0
	s_barrier
	buffer_gl0_inv
	s_and_saveexec_b32 s2, s0
	s_cbranch_execz .LBB52_38
; %bb.29:
	s_and_not1_b32 vcc_lo, exec_lo, s3
	s_cbranch_vccnz .LBB52_31
; %bb.30:
	scratch_load_b64 v[11:12], v111, off
	ds_load_b64 v[136:137], v110
	s_waitcnt vmcnt(0) lgkmcnt(0)
	v_mul_f64 v[11:12], v[11:12], v[136:137]
	s_cbranch_execz .LBB52_32
	s_branch .LBB52_33
.LBB52_31:
                                        ; implicit-def: $vgpr11_vgpr12
.LBB52_32:
	ds_load_b64 v[11:12], v110
.LBB52_33:
	s_and_saveexec_b32 s4, s1
	s_cbranch_execz .LBB52_37
; %bb.34:
	v_mov_b32_e32 v136, 0
	v_subrev_nc_u32_e32 v137, 49, v0
	s_movk_i32 s5, 0x338
	s_mov_b32 s1, 0
	s_delay_alu instid0(VALU_DEP_2)
	v_add_nc_u32_e32 v136, 0x188, v136
.LBB52_35:                              ; =>This Inner Loop Header: Depth=1
	scratch_load_b64 v[138:139], v136, off
	v_dual_mov_b32 v140, s5 :: v_dual_add_nc_u32 v137, -1, v137
	v_add_nc_u32_e32 v136, 8, v136
	s_add_i32 s5, s5, 8
	ds_load_b64 v[140:141], v140
	v_cmp_eq_u32_e32 vcc_lo, 0, v137
	s_or_b32 s1, vcc_lo, s1
	s_waitcnt vmcnt(0) lgkmcnt(0)
	v_fma_f64 v[11:12], v[138:139], v[140:141], v[11:12]
	s_and_not1_b32 exec_lo, exec_lo, s1
	s_cbranch_execnz .LBB52_35
; %bb.36:
	s_or_b32 exec_lo, exec_lo, s1
.LBB52_37:
	s_delay_alu instid0(SALU_CYCLE_1)
	s_or_b32 exec_lo, exec_lo, s4
	v_mov_b32_e32 v136, 0
	ds_load_b64 v[136:137], v136 offset:384
	s_waitcnt lgkmcnt(0)
	v_mul_f64 v[11:12], v[11:12], v[136:137]
	scratch_store_b64 off, v[11:12], off offset:384
.LBB52_38:
	s_or_b32 exec_lo, exec_lo, s2
	scratch_load_b64 v[11:12], off, off offset:376
	v_cmp_lt_u32_e64 s1, 47, v0
	s_waitcnt vmcnt(0)
	ds_store_b64 v110, v[11:12]
	s_waitcnt lgkmcnt(0)
	s_waitcnt_vscnt null, 0x0
	s_barrier
	buffer_gl0_inv
	s_and_saveexec_b32 s2, s1
	s_cbranch_execz .LBB52_48
; %bb.39:
	s_and_not1_b32 vcc_lo, exec_lo, s3
	s_cbranch_vccnz .LBB52_41
; %bb.40:
	scratch_load_b64 v[11:12], v111, off
	ds_load_b64 v[136:137], v110
	s_waitcnt vmcnt(0) lgkmcnt(0)
	v_mul_f64 v[11:12], v[11:12], v[136:137]
	s_cbranch_execz .LBB52_42
	s_branch .LBB52_43
.LBB52_41:
                                        ; implicit-def: $vgpr11_vgpr12
.LBB52_42:
	ds_load_b64 v[11:12], v110
.LBB52_43:
	s_and_saveexec_b32 s4, s0
	s_cbranch_execz .LBB52_47
; %bb.44:
	v_subrev_nc_u32_e32 v136, 48, v0
	s_movk_i32 s5, 0x330
	s_mov_b32 s0, 0
.LBB52_45:                              ; =>This Inner Loop Header: Depth=1
	scratch_load_b64 v[137:138], v135, off
	v_dual_mov_b32 v139, s5 :: v_dual_add_nc_u32 v136, -1, v136
	v_add_nc_u32_e32 v135, 8, v135
	s_add_i32 s5, s5, 8
	ds_load_b64 v[139:140], v139
	v_cmp_eq_u32_e32 vcc_lo, 0, v136
	s_or_b32 s0, vcc_lo, s0
	s_waitcnt vmcnt(0) lgkmcnt(0)
	v_fma_f64 v[11:12], v[137:138], v[139:140], v[11:12]
	s_and_not1_b32 exec_lo, exec_lo, s0
	s_cbranch_execnz .LBB52_45
; %bb.46:
	s_or_b32 exec_lo, exec_lo, s0
.LBB52_47:
	s_delay_alu instid0(SALU_CYCLE_1)
	s_or_b32 exec_lo, exec_lo, s4
	v_mov_b32_e32 v135, 0
	ds_load_b64 v[135:136], v135 offset:376
	s_waitcnt lgkmcnt(0)
	v_mul_f64 v[11:12], v[11:12], v[135:136]
	scratch_store_b64 off, v[11:12], off offset:376
.LBB52_48:
	s_or_b32 exec_lo, exec_lo, s2
	scratch_load_b64 v[11:12], off, off offset:368
	v_cmp_lt_u32_e64 s0, 46, v0
	s_waitcnt vmcnt(0)
	ds_store_b64 v110, v[11:12]
	s_waitcnt lgkmcnt(0)
	s_waitcnt_vscnt null, 0x0
	s_barrier
	buffer_gl0_inv
	s_and_saveexec_b32 s2, s0
	s_cbranch_execz .LBB52_58
; %bb.49:
	s_and_not1_b32 vcc_lo, exec_lo, s3
	s_cbranch_vccnz .LBB52_51
; %bb.50:
	scratch_load_b64 v[11:12], v111, off
	ds_load_b64 v[135:136], v110
	s_waitcnt vmcnt(0) lgkmcnt(0)
	v_mul_f64 v[11:12], v[11:12], v[135:136]
	s_cbranch_execz .LBB52_52
	s_branch .LBB52_53
.LBB52_51:
                                        ; implicit-def: $vgpr11_vgpr12
.LBB52_52:
	ds_load_b64 v[11:12], v110
.LBB52_53:
	s_and_saveexec_b32 s4, s1
	s_cbranch_execz .LBB52_57
; %bb.54:
	v_mov_b32_e32 v135, 0
	v_subrev_nc_u32_e32 v136, 47, v0
	s_movk_i32 s5, 0x328
	s_mov_b32 s1, 0
	s_delay_alu instid0(VALU_DEP_2)
	v_add_nc_u32_e32 v135, 0x178, v135
.LBB52_55:                              ; =>This Inner Loop Header: Depth=1
	scratch_load_b64 v[137:138], v135, off
	v_dual_mov_b32 v139, s5 :: v_dual_add_nc_u32 v136, -1, v136
	v_add_nc_u32_e32 v135, 8, v135
	s_add_i32 s5, s5, 8
	ds_load_b64 v[139:140], v139
	v_cmp_eq_u32_e32 vcc_lo, 0, v136
	s_or_b32 s1, vcc_lo, s1
	s_waitcnt vmcnt(0) lgkmcnt(0)
	v_fma_f64 v[11:12], v[137:138], v[139:140], v[11:12]
	s_and_not1_b32 exec_lo, exec_lo, s1
	s_cbranch_execnz .LBB52_55
; %bb.56:
	s_or_b32 exec_lo, exec_lo, s1
.LBB52_57:
	s_delay_alu instid0(SALU_CYCLE_1)
	s_or_b32 exec_lo, exec_lo, s4
	v_mov_b32_e32 v135, 0
	ds_load_b64 v[135:136], v135 offset:368
	s_waitcnt lgkmcnt(0)
	v_mul_f64 v[11:12], v[11:12], v[135:136]
	scratch_store_b64 off, v[11:12], off offset:368
.LBB52_58:
	s_or_b32 exec_lo, exec_lo, s2
	scratch_load_b64 v[11:12], off, off offset:360
	v_cmp_lt_u32_e64 s1, 45, v0
	s_waitcnt vmcnt(0)
	ds_store_b64 v110, v[11:12]
	s_waitcnt lgkmcnt(0)
	s_waitcnt_vscnt null, 0x0
	s_barrier
	buffer_gl0_inv
	s_and_saveexec_b32 s2, s1
	s_cbranch_execz .LBB52_68
; %bb.59:
	s_and_not1_b32 vcc_lo, exec_lo, s3
	s_cbranch_vccnz .LBB52_61
; %bb.60:
	scratch_load_b64 v[11:12], v111, off
	ds_load_b64 v[135:136], v110
	s_waitcnt vmcnt(0) lgkmcnt(0)
	v_mul_f64 v[11:12], v[11:12], v[135:136]
	s_cbranch_execz .LBB52_62
	s_branch .LBB52_63
.LBB52_61:
                                        ; implicit-def: $vgpr11_vgpr12
.LBB52_62:
	ds_load_b64 v[11:12], v110
.LBB52_63:
	s_and_saveexec_b32 s4, s0
	s_cbranch_execz .LBB52_67
; %bb.64:
	v_subrev_nc_u32_e32 v135, 46, v0
	s_movk_i32 s5, 0x320
	s_mov_b32 s0, 0
.LBB52_65:                              ; =>This Inner Loop Header: Depth=1
	scratch_load_b64 v[136:137], v134, off
	v_dual_mov_b32 v138, s5 :: v_dual_add_nc_u32 v135, -1, v135
	v_add_nc_u32_e32 v134, 8, v134
	s_add_i32 s5, s5, 8
	ds_load_b64 v[138:139], v138
	v_cmp_eq_u32_e32 vcc_lo, 0, v135
	s_or_b32 s0, vcc_lo, s0
	s_waitcnt vmcnt(0) lgkmcnt(0)
	v_fma_f64 v[11:12], v[136:137], v[138:139], v[11:12]
	s_and_not1_b32 exec_lo, exec_lo, s0
	s_cbranch_execnz .LBB52_65
; %bb.66:
	s_or_b32 exec_lo, exec_lo, s0
.LBB52_67:
	s_delay_alu instid0(SALU_CYCLE_1)
	s_or_b32 exec_lo, exec_lo, s4
	v_mov_b32_e32 v134, 0
	ds_load_b64 v[134:135], v134 offset:360
	s_waitcnt lgkmcnt(0)
	v_mul_f64 v[11:12], v[11:12], v[134:135]
	scratch_store_b64 off, v[11:12], off offset:360
.LBB52_68:
	s_or_b32 exec_lo, exec_lo, s2
	scratch_load_b64 v[11:12], off, off offset:352
	v_cmp_lt_u32_e64 s0, 44, v0
	s_waitcnt vmcnt(0)
	ds_store_b64 v110, v[11:12]
	s_waitcnt lgkmcnt(0)
	s_waitcnt_vscnt null, 0x0
	s_barrier
	buffer_gl0_inv
	s_and_saveexec_b32 s2, s0
	s_cbranch_execz .LBB52_78
; %bb.69:
	s_and_not1_b32 vcc_lo, exec_lo, s3
	s_cbranch_vccnz .LBB52_71
; %bb.70:
	scratch_load_b64 v[11:12], v111, off
	ds_load_b64 v[134:135], v110
	s_waitcnt vmcnt(0) lgkmcnt(0)
	v_mul_f64 v[11:12], v[11:12], v[134:135]
	s_cbranch_execz .LBB52_72
	s_branch .LBB52_73
.LBB52_71:
                                        ; implicit-def: $vgpr11_vgpr12
.LBB52_72:
	ds_load_b64 v[11:12], v110
.LBB52_73:
	s_and_saveexec_b32 s4, s1
	s_cbranch_execz .LBB52_77
; %bb.74:
	v_mov_b32_e32 v134, 0
	v_subrev_nc_u32_e32 v135, 45, v0
	s_movk_i32 s5, 0x318
	s_mov_b32 s1, 0
	s_delay_alu instid0(VALU_DEP_2)
	v_add_nc_u32_e32 v134, 0x168, v134
.LBB52_75:                              ; =>This Inner Loop Header: Depth=1
	scratch_load_b64 v[136:137], v134, off
	v_dual_mov_b32 v138, s5 :: v_dual_add_nc_u32 v135, -1, v135
	v_add_nc_u32_e32 v134, 8, v134
	s_add_i32 s5, s5, 8
	ds_load_b64 v[138:139], v138
	v_cmp_eq_u32_e32 vcc_lo, 0, v135
	s_or_b32 s1, vcc_lo, s1
	s_waitcnt vmcnt(0) lgkmcnt(0)
	v_fma_f64 v[11:12], v[136:137], v[138:139], v[11:12]
	s_and_not1_b32 exec_lo, exec_lo, s1
	s_cbranch_execnz .LBB52_75
; %bb.76:
	s_or_b32 exec_lo, exec_lo, s1
.LBB52_77:
	s_delay_alu instid0(SALU_CYCLE_1)
	s_or_b32 exec_lo, exec_lo, s4
	v_mov_b32_e32 v134, 0
	ds_load_b64 v[134:135], v134 offset:352
	s_waitcnt lgkmcnt(0)
	v_mul_f64 v[11:12], v[11:12], v[134:135]
	scratch_store_b64 off, v[11:12], off offset:352
.LBB52_78:
	s_or_b32 exec_lo, exec_lo, s2
	scratch_load_b64 v[11:12], off, off offset:344
	v_cmp_lt_u32_e64 s1, 43, v0
	s_waitcnt vmcnt(0)
	ds_store_b64 v110, v[11:12]
	s_waitcnt lgkmcnt(0)
	s_waitcnt_vscnt null, 0x0
	s_barrier
	buffer_gl0_inv
	s_and_saveexec_b32 s2, s1
	s_cbranch_execz .LBB52_88
; %bb.79:
	s_and_not1_b32 vcc_lo, exec_lo, s3
	s_cbranch_vccnz .LBB52_81
; %bb.80:
	scratch_load_b64 v[11:12], v111, off
	ds_load_b64 v[134:135], v110
	s_waitcnt vmcnt(0) lgkmcnt(0)
	v_mul_f64 v[11:12], v[11:12], v[134:135]
	s_cbranch_execz .LBB52_82
	s_branch .LBB52_83
.LBB52_81:
                                        ; implicit-def: $vgpr11_vgpr12
.LBB52_82:
	ds_load_b64 v[11:12], v110
.LBB52_83:
	s_and_saveexec_b32 s4, s0
	s_cbranch_execz .LBB52_87
; %bb.84:
	v_subrev_nc_u32_e32 v134, 44, v0
	s_movk_i32 s5, 0x310
	s_mov_b32 s0, 0
.LBB52_85:                              ; =>This Inner Loop Header: Depth=1
	scratch_load_b64 v[135:136], v133, off
	v_dual_mov_b32 v137, s5 :: v_dual_add_nc_u32 v134, -1, v134
	v_add_nc_u32_e32 v133, 8, v133
	s_add_i32 s5, s5, 8
	ds_load_b64 v[137:138], v137
	v_cmp_eq_u32_e32 vcc_lo, 0, v134
	s_or_b32 s0, vcc_lo, s0
	s_waitcnt vmcnt(0) lgkmcnt(0)
	v_fma_f64 v[11:12], v[135:136], v[137:138], v[11:12]
	s_and_not1_b32 exec_lo, exec_lo, s0
	s_cbranch_execnz .LBB52_85
; %bb.86:
	s_or_b32 exec_lo, exec_lo, s0
.LBB52_87:
	s_delay_alu instid0(SALU_CYCLE_1)
	s_or_b32 exec_lo, exec_lo, s4
	v_mov_b32_e32 v133, 0
	ds_load_b64 v[133:134], v133 offset:344
	s_waitcnt lgkmcnt(0)
	v_mul_f64 v[11:12], v[11:12], v[133:134]
	scratch_store_b64 off, v[11:12], off offset:344
.LBB52_88:
	s_or_b32 exec_lo, exec_lo, s2
	scratch_load_b64 v[11:12], off, off offset:336
	v_cmp_lt_u32_e64 s0, 42, v0
	s_waitcnt vmcnt(0)
	ds_store_b64 v110, v[11:12]
	s_waitcnt lgkmcnt(0)
	s_waitcnt_vscnt null, 0x0
	s_barrier
	buffer_gl0_inv
	s_and_saveexec_b32 s2, s0
	s_cbranch_execz .LBB52_98
; %bb.89:
	s_and_not1_b32 vcc_lo, exec_lo, s3
	s_cbranch_vccnz .LBB52_91
; %bb.90:
	scratch_load_b64 v[11:12], v111, off
	ds_load_b64 v[133:134], v110
	s_waitcnt vmcnt(0) lgkmcnt(0)
	v_mul_f64 v[11:12], v[11:12], v[133:134]
	s_cbranch_execz .LBB52_92
	s_branch .LBB52_93
.LBB52_91:
                                        ; implicit-def: $vgpr11_vgpr12
.LBB52_92:
	ds_load_b64 v[11:12], v110
.LBB52_93:
	s_and_saveexec_b32 s4, s1
	s_cbranch_execz .LBB52_97
; %bb.94:
	v_mov_b32_e32 v133, 0
	v_subrev_nc_u32_e32 v134, 43, v0
	s_movk_i32 s5, 0x308
	s_mov_b32 s1, 0
	s_delay_alu instid0(VALU_DEP_2)
	v_add_nc_u32_e32 v133, 0x158, v133
.LBB52_95:                              ; =>This Inner Loop Header: Depth=1
	scratch_load_b64 v[135:136], v133, off
	v_dual_mov_b32 v137, s5 :: v_dual_add_nc_u32 v134, -1, v134
	v_add_nc_u32_e32 v133, 8, v133
	s_add_i32 s5, s5, 8
	ds_load_b64 v[137:138], v137
	v_cmp_eq_u32_e32 vcc_lo, 0, v134
	s_or_b32 s1, vcc_lo, s1
	s_waitcnt vmcnt(0) lgkmcnt(0)
	v_fma_f64 v[11:12], v[135:136], v[137:138], v[11:12]
	s_and_not1_b32 exec_lo, exec_lo, s1
	s_cbranch_execnz .LBB52_95
; %bb.96:
	s_or_b32 exec_lo, exec_lo, s1
.LBB52_97:
	s_delay_alu instid0(SALU_CYCLE_1)
	s_or_b32 exec_lo, exec_lo, s4
	v_mov_b32_e32 v133, 0
	ds_load_b64 v[133:134], v133 offset:336
	s_waitcnt lgkmcnt(0)
	v_mul_f64 v[11:12], v[11:12], v[133:134]
	scratch_store_b64 off, v[11:12], off offset:336
.LBB52_98:
	s_or_b32 exec_lo, exec_lo, s2
	scratch_load_b64 v[11:12], off, off offset:328
	v_cmp_lt_u32_e64 s1, 41, v0
	s_waitcnt vmcnt(0)
	ds_store_b64 v110, v[11:12]
	s_waitcnt lgkmcnt(0)
	s_waitcnt_vscnt null, 0x0
	s_barrier
	buffer_gl0_inv
	s_and_saveexec_b32 s2, s1
	s_cbranch_execz .LBB52_108
; %bb.99:
	s_and_not1_b32 vcc_lo, exec_lo, s3
	s_cbranch_vccnz .LBB52_101
; %bb.100:
	scratch_load_b64 v[11:12], v111, off
	ds_load_b64 v[133:134], v110
	s_waitcnt vmcnt(0) lgkmcnt(0)
	v_mul_f64 v[11:12], v[11:12], v[133:134]
	s_cbranch_execz .LBB52_102
	s_branch .LBB52_103
.LBB52_101:
                                        ; implicit-def: $vgpr11_vgpr12
.LBB52_102:
	ds_load_b64 v[11:12], v110
.LBB52_103:
	s_and_saveexec_b32 s4, s0
	s_cbranch_execz .LBB52_107
; %bb.104:
	v_subrev_nc_u32_e32 v133, 42, v0
	s_movk_i32 s5, 0x300
	s_mov_b32 s0, 0
.LBB52_105:                             ; =>This Inner Loop Header: Depth=1
	scratch_load_b64 v[134:135], v132, off
	v_dual_mov_b32 v136, s5 :: v_dual_add_nc_u32 v133, -1, v133
	v_add_nc_u32_e32 v132, 8, v132
	s_add_i32 s5, s5, 8
	ds_load_b64 v[136:137], v136
	v_cmp_eq_u32_e32 vcc_lo, 0, v133
	s_or_b32 s0, vcc_lo, s0
	s_waitcnt vmcnt(0) lgkmcnt(0)
	v_fma_f64 v[11:12], v[134:135], v[136:137], v[11:12]
	s_and_not1_b32 exec_lo, exec_lo, s0
	s_cbranch_execnz .LBB52_105
; %bb.106:
	s_or_b32 exec_lo, exec_lo, s0
.LBB52_107:
	s_delay_alu instid0(SALU_CYCLE_1)
	s_or_b32 exec_lo, exec_lo, s4
	v_mov_b32_e32 v132, 0
	ds_load_b64 v[132:133], v132 offset:328
	s_waitcnt lgkmcnt(0)
	v_mul_f64 v[11:12], v[11:12], v[132:133]
	scratch_store_b64 off, v[11:12], off offset:328
.LBB52_108:
	s_or_b32 exec_lo, exec_lo, s2
	scratch_load_b64 v[11:12], off, off offset:320
	v_cmp_lt_u32_e64 s0, 40, v0
	s_waitcnt vmcnt(0)
	ds_store_b64 v110, v[11:12]
	s_waitcnt lgkmcnt(0)
	s_waitcnt_vscnt null, 0x0
	s_barrier
	buffer_gl0_inv
	s_and_saveexec_b32 s2, s0
	s_cbranch_execz .LBB52_118
; %bb.109:
	s_and_not1_b32 vcc_lo, exec_lo, s3
	s_cbranch_vccnz .LBB52_111
; %bb.110:
	scratch_load_b64 v[11:12], v111, off
	ds_load_b64 v[132:133], v110
	s_waitcnt vmcnt(0) lgkmcnt(0)
	v_mul_f64 v[11:12], v[11:12], v[132:133]
	s_cbranch_execz .LBB52_112
	s_branch .LBB52_113
.LBB52_111:
                                        ; implicit-def: $vgpr11_vgpr12
.LBB52_112:
	ds_load_b64 v[11:12], v110
.LBB52_113:
	s_and_saveexec_b32 s4, s1
	s_cbranch_execz .LBB52_117
; %bb.114:
	v_mov_b32_e32 v132, 0
	v_subrev_nc_u32_e32 v133, 41, v0
	s_movk_i32 s5, 0x2f8
	s_mov_b32 s1, 0
	s_delay_alu instid0(VALU_DEP_2)
	v_add_nc_u32_e32 v132, 0x148, v132
.LBB52_115:                             ; =>This Inner Loop Header: Depth=1
	scratch_load_b64 v[134:135], v132, off
	v_dual_mov_b32 v136, s5 :: v_dual_add_nc_u32 v133, -1, v133
	v_add_nc_u32_e32 v132, 8, v132
	s_add_i32 s5, s5, 8
	ds_load_b64 v[136:137], v136
	v_cmp_eq_u32_e32 vcc_lo, 0, v133
	s_or_b32 s1, vcc_lo, s1
	s_waitcnt vmcnt(0) lgkmcnt(0)
	v_fma_f64 v[11:12], v[134:135], v[136:137], v[11:12]
	s_and_not1_b32 exec_lo, exec_lo, s1
	s_cbranch_execnz .LBB52_115
; %bb.116:
	s_or_b32 exec_lo, exec_lo, s1
.LBB52_117:
	s_delay_alu instid0(SALU_CYCLE_1)
	s_or_b32 exec_lo, exec_lo, s4
	v_mov_b32_e32 v132, 0
	ds_load_b64 v[132:133], v132 offset:320
	s_waitcnt lgkmcnt(0)
	v_mul_f64 v[11:12], v[11:12], v[132:133]
	scratch_store_b64 off, v[11:12], off offset:320
.LBB52_118:
	s_or_b32 exec_lo, exec_lo, s2
	scratch_load_b64 v[11:12], off, off offset:312
	v_cmp_lt_u32_e64 s1, 39, v0
	s_waitcnt vmcnt(0)
	ds_store_b64 v110, v[11:12]
	s_waitcnt lgkmcnt(0)
	s_waitcnt_vscnt null, 0x0
	s_barrier
	buffer_gl0_inv
	s_and_saveexec_b32 s2, s1
	s_cbranch_execz .LBB52_128
; %bb.119:
	s_and_not1_b32 vcc_lo, exec_lo, s3
	s_cbranch_vccnz .LBB52_121
; %bb.120:
	scratch_load_b64 v[11:12], v111, off
	ds_load_b64 v[132:133], v110
	s_waitcnt vmcnt(0) lgkmcnt(0)
	v_mul_f64 v[11:12], v[11:12], v[132:133]
	s_cbranch_execz .LBB52_122
	s_branch .LBB52_123
.LBB52_121:
                                        ; implicit-def: $vgpr11_vgpr12
.LBB52_122:
	ds_load_b64 v[11:12], v110
.LBB52_123:
	s_and_saveexec_b32 s4, s0
	s_cbranch_execz .LBB52_127
; %bb.124:
	v_subrev_nc_u32_e32 v132, 40, v0
	s_movk_i32 s5, 0x2f0
	s_mov_b32 s0, 0
.LBB52_125:                             ; =>This Inner Loop Header: Depth=1
	scratch_load_b64 v[133:134], v131, off
	v_dual_mov_b32 v135, s5 :: v_dual_add_nc_u32 v132, -1, v132
	v_add_nc_u32_e32 v131, 8, v131
	s_add_i32 s5, s5, 8
	ds_load_b64 v[135:136], v135
	v_cmp_eq_u32_e32 vcc_lo, 0, v132
	s_or_b32 s0, vcc_lo, s0
	s_waitcnt vmcnt(0) lgkmcnt(0)
	v_fma_f64 v[11:12], v[133:134], v[135:136], v[11:12]
	s_and_not1_b32 exec_lo, exec_lo, s0
	s_cbranch_execnz .LBB52_125
; %bb.126:
	s_or_b32 exec_lo, exec_lo, s0
.LBB52_127:
	s_delay_alu instid0(SALU_CYCLE_1)
	s_or_b32 exec_lo, exec_lo, s4
	v_mov_b32_e32 v131, 0
	ds_load_b64 v[131:132], v131 offset:312
	s_waitcnt lgkmcnt(0)
	v_mul_f64 v[11:12], v[11:12], v[131:132]
	scratch_store_b64 off, v[11:12], off offset:312
.LBB52_128:
	s_or_b32 exec_lo, exec_lo, s2
	scratch_load_b64 v[11:12], off, off offset:304
	v_cmp_lt_u32_e64 s0, 38, v0
	s_waitcnt vmcnt(0)
	ds_store_b64 v110, v[11:12]
	s_waitcnt lgkmcnt(0)
	s_waitcnt_vscnt null, 0x0
	s_barrier
	buffer_gl0_inv
	s_and_saveexec_b32 s2, s0
	s_cbranch_execz .LBB52_138
; %bb.129:
	s_and_not1_b32 vcc_lo, exec_lo, s3
	s_cbranch_vccnz .LBB52_131
; %bb.130:
	scratch_load_b64 v[11:12], v111, off
	ds_load_b64 v[131:132], v110
	s_waitcnt vmcnt(0) lgkmcnt(0)
	v_mul_f64 v[11:12], v[11:12], v[131:132]
	s_cbranch_execz .LBB52_132
	s_branch .LBB52_133
.LBB52_131:
                                        ; implicit-def: $vgpr11_vgpr12
.LBB52_132:
	ds_load_b64 v[11:12], v110
.LBB52_133:
	s_and_saveexec_b32 s4, s1
	s_cbranch_execz .LBB52_137
; %bb.134:
	v_mov_b32_e32 v131, 0
	v_subrev_nc_u32_e32 v132, 39, v0
	s_movk_i32 s5, 0x2e8
	s_mov_b32 s1, 0
	s_delay_alu instid0(VALU_DEP_2)
	v_add_nc_u32_e32 v131, 0x138, v131
.LBB52_135:                             ; =>This Inner Loop Header: Depth=1
	scratch_load_b64 v[133:134], v131, off
	v_dual_mov_b32 v135, s5 :: v_dual_add_nc_u32 v132, -1, v132
	v_add_nc_u32_e32 v131, 8, v131
	s_add_i32 s5, s5, 8
	ds_load_b64 v[135:136], v135
	v_cmp_eq_u32_e32 vcc_lo, 0, v132
	s_or_b32 s1, vcc_lo, s1
	s_waitcnt vmcnt(0) lgkmcnt(0)
	v_fma_f64 v[11:12], v[133:134], v[135:136], v[11:12]
	s_and_not1_b32 exec_lo, exec_lo, s1
	s_cbranch_execnz .LBB52_135
; %bb.136:
	s_or_b32 exec_lo, exec_lo, s1
.LBB52_137:
	s_delay_alu instid0(SALU_CYCLE_1)
	s_or_b32 exec_lo, exec_lo, s4
	v_mov_b32_e32 v131, 0
	ds_load_b64 v[131:132], v131 offset:304
	s_waitcnt lgkmcnt(0)
	v_mul_f64 v[11:12], v[11:12], v[131:132]
	scratch_store_b64 off, v[11:12], off offset:304
.LBB52_138:
	s_or_b32 exec_lo, exec_lo, s2
	scratch_load_b64 v[11:12], off, off offset:296
	v_cmp_lt_u32_e64 s1, 37, v0
	s_waitcnt vmcnt(0)
	ds_store_b64 v110, v[11:12]
	s_waitcnt lgkmcnt(0)
	s_waitcnt_vscnt null, 0x0
	s_barrier
	buffer_gl0_inv
	s_and_saveexec_b32 s2, s1
	s_cbranch_execz .LBB52_148
; %bb.139:
	s_and_not1_b32 vcc_lo, exec_lo, s3
	s_cbranch_vccnz .LBB52_141
; %bb.140:
	scratch_load_b64 v[11:12], v111, off
	ds_load_b64 v[131:132], v110
	s_waitcnt vmcnt(0) lgkmcnt(0)
	v_mul_f64 v[11:12], v[11:12], v[131:132]
	s_cbranch_execz .LBB52_142
	s_branch .LBB52_143
.LBB52_141:
                                        ; implicit-def: $vgpr11_vgpr12
.LBB52_142:
	ds_load_b64 v[11:12], v110
.LBB52_143:
	s_and_saveexec_b32 s4, s0
	s_cbranch_execz .LBB52_147
; %bb.144:
	v_subrev_nc_u32_e32 v131, 38, v0
	s_movk_i32 s5, 0x2e0
	s_mov_b32 s0, 0
.LBB52_145:                             ; =>This Inner Loop Header: Depth=1
	scratch_load_b64 v[132:133], v130, off
	v_dual_mov_b32 v134, s5 :: v_dual_add_nc_u32 v131, -1, v131
	v_add_nc_u32_e32 v130, 8, v130
	s_add_i32 s5, s5, 8
	ds_load_b64 v[134:135], v134
	v_cmp_eq_u32_e32 vcc_lo, 0, v131
	s_or_b32 s0, vcc_lo, s0
	s_waitcnt vmcnt(0) lgkmcnt(0)
	v_fma_f64 v[11:12], v[132:133], v[134:135], v[11:12]
	s_and_not1_b32 exec_lo, exec_lo, s0
	s_cbranch_execnz .LBB52_145
; %bb.146:
	s_or_b32 exec_lo, exec_lo, s0
.LBB52_147:
	s_delay_alu instid0(SALU_CYCLE_1)
	s_or_b32 exec_lo, exec_lo, s4
	v_mov_b32_e32 v130, 0
	ds_load_b64 v[130:131], v130 offset:296
	s_waitcnt lgkmcnt(0)
	v_mul_f64 v[11:12], v[11:12], v[130:131]
	scratch_store_b64 off, v[11:12], off offset:296
.LBB52_148:
	s_or_b32 exec_lo, exec_lo, s2
	scratch_load_b64 v[11:12], off, off offset:288
	v_cmp_lt_u32_e64 s0, 36, v0
	s_waitcnt vmcnt(0)
	ds_store_b64 v110, v[11:12]
	s_waitcnt lgkmcnt(0)
	s_waitcnt_vscnt null, 0x0
	s_barrier
	buffer_gl0_inv
	s_and_saveexec_b32 s2, s0
	s_cbranch_execz .LBB52_158
; %bb.149:
	s_and_not1_b32 vcc_lo, exec_lo, s3
	s_cbranch_vccnz .LBB52_151
; %bb.150:
	scratch_load_b64 v[11:12], v111, off
	ds_load_b64 v[130:131], v110
	s_waitcnt vmcnt(0) lgkmcnt(0)
	v_mul_f64 v[11:12], v[11:12], v[130:131]
	s_cbranch_execz .LBB52_152
	s_branch .LBB52_153
.LBB52_151:
                                        ; implicit-def: $vgpr11_vgpr12
.LBB52_152:
	ds_load_b64 v[11:12], v110
.LBB52_153:
	s_and_saveexec_b32 s4, s1
	s_cbranch_execz .LBB52_157
; %bb.154:
	v_mov_b32_e32 v130, 0
	v_subrev_nc_u32_e32 v131, 37, v0
	s_movk_i32 s5, 0x2d8
	s_mov_b32 s1, 0
	s_delay_alu instid0(VALU_DEP_2)
	v_add_nc_u32_e32 v130, 0x128, v130
.LBB52_155:                             ; =>This Inner Loop Header: Depth=1
	scratch_load_b64 v[132:133], v130, off
	v_dual_mov_b32 v134, s5 :: v_dual_add_nc_u32 v131, -1, v131
	v_add_nc_u32_e32 v130, 8, v130
	s_add_i32 s5, s5, 8
	ds_load_b64 v[134:135], v134
	v_cmp_eq_u32_e32 vcc_lo, 0, v131
	s_or_b32 s1, vcc_lo, s1
	s_waitcnt vmcnt(0) lgkmcnt(0)
	v_fma_f64 v[11:12], v[132:133], v[134:135], v[11:12]
	s_and_not1_b32 exec_lo, exec_lo, s1
	s_cbranch_execnz .LBB52_155
; %bb.156:
	s_or_b32 exec_lo, exec_lo, s1
.LBB52_157:
	s_delay_alu instid0(SALU_CYCLE_1)
	s_or_b32 exec_lo, exec_lo, s4
	v_mov_b32_e32 v130, 0
	ds_load_b64 v[130:131], v130 offset:288
	s_waitcnt lgkmcnt(0)
	v_mul_f64 v[11:12], v[11:12], v[130:131]
	scratch_store_b64 off, v[11:12], off offset:288
.LBB52_158:
	s_or_b32 exec_lo, exec_lo, s2
	scratch_load_b64 v[11:12], off, off offset:280
	v_cmp_lt_u32_e64 s1, 35, v0
	s_waitcnt vmcnt(0)
	ds_store_b64 v110, v[11:12]
	s_waitcnt lgkmcnt(0)
	s_waitcnt_vscnt null, 0x0
	s_barrier
	buffer_gl0_inv
	s_and_saveexec_b32 s2, s1
	s_cbranch_execz .LBB52_168
; %bb.159:
	s_and_not1_b32 vcc_lo, exec_lo, s3
	s_cbranch_vccnz .LBB52_161
; %bb.160:
	scratch_load_b64 v[11:12], v111, off
	ds_load_b64 v[130:131], v110
	s_waitcnt vmcnt(0) lgkmcnt(0)
	v_mul_f64 v[11:12], v[11:12], v[130:131]
	s_cbranch_execz .LBB52_162
	s_branch .LBB52_163
.LBB52_161:
                                        ; implicit-def: $vgpr11_vgpr12
.LBB52_162:
	ds_load_b64 v[11:12], v110
.LBB52_163:
	s_and_saveexec_b32 s4, s0
	s_cbranch_execz .LBB52_167
; %bb.164:
	v_subrev_nc_u32_e32 v130, 36, v0
	s_movk_i32 s5, 0x2d0
	s_mov_b32 s0, 0
.LBB52_165:                             ; =>This Inner Loop Header: Depth=1
	scratch_load_b64 v[131:132], v129, off
	v_dual_mov_b32 v133, s5 :: v_dual_add_nc_u32 v130, -1, v130
	v_add_nc_u32_e32 v129, 8, v129
	s_add_i32 s5, s5, 8
	ds_load_b64 v[133:134], v133
	v_cmp_eq_u32_e32 vcc_lo, 0, v130
	s_or_b32 s0, vcc_lo, s0
	s_waitcnt vmcnt(0) lgkmcnt(0)
	v_fma_f64 v[11:12], v[131:132], v[133:134], v[11:12]
	s_and_not1_b32 exec_lo, exec_lo, s0
	s_cbranch_execnz .LBB52_165
; %bb.166:
	s_or_b32 exec_lo, exec_lo, s0
.LBB52_167:
	s_delay_alu instid0(SALU_CYCLE_1)
	s_or_b32 exec_lo, exec_lo, s4
	v_mov_b32_e32 v129, 0
	ds_load_b64 v[129:130], v129 offset:280
	s_waitcnt lgkmcnt(0)
	v_mul_f64 v[11:12], v[11:12], v[129:130]
	scratch_store_b64 off, v[11:12], off offset:280
.LBB52_168:
	s_or_b32 exec_lo, exec_lo, s2
	scratch_load_b64 v[11:12], off, off offset:272
	v_cmp_lt_u32_e64 s0, 34, v0
	s_waitcnt vmcnt(0)
	ds_store_b64 v110, v[11:12]
	s_waitcnt lgkmcnt(0)
	s_waitcnt_vscnt null, 0x0
	s_barrier
	buffer_gl0_inv
	s_and_saveexec_b32 s2, s0
	s_cbranch_execz .LBB52_178
; %bb.169:
	s_and_not1_b32 vcc_lo, exec_lo, s3
	s_cbranch_vccnz .LBB52_171
; %bb.170:
	scratch_load_b64 v[11:12], v111, off
	ds_load_b64 v[129:130], v110
	s_waitcnt vmcnt(0) lgkmcnt(0)
	v_mul_f64 v[11:12], v[11:12], v[129:130]
	s_cbranch_execz .LBB52_172
	s_branch .LBB52_173
.LBB52_171:
                                        ; implicit-def: $vgpr11_vgpr12
.LBB52_172:
	ds_load_b64 v[11:12], v110
.LBB52_173:
	s_and_saveexec_b32 s4, s1
	s_cbranch_execz .LBB52_177
; %bb.174:
	v_mov_b32_e32 v129, 0
	v_subrev_nc_u32_e32 v130, 35, v0
	s_movk_i32 s5, 0x2c8
	s_mov_b32 s1, 0
	s_delay_alu instid0(VALU_DEP_2)
	v_add_nc_u32_e32 v129, 0x118, v129
.LBB52_175:                             ; =>This Inner Loop Header: Depth=1
	scratch_load_b64 v[131:132], v129, off
	v_dual_mov_b32 v133, s5 :: v_dual_add_nc_u32 v130, -1, v130
	v_add_nc_u32_e32 v129, 8, v129
	s_add_i32 s5, s5, 8
	ds_load_b64 v[133:134], v133
	v_cmp_eq_u32_e32 vcc_lo, 0, v130
	s_or_b32 s1, vcc_lo, s1
	s_waitcnt vmcnt(0) lgkmcnt(0)
	v_fma_f64 v[11:12], v[131:132], v[133:134], v[11:12]
	s_and_not1_b32 exec_lo, exec_lo, s1
	s_cbranch_execnz .LBB52_175
; %bb.176:
	s_or_b32 exec_lo, exec_lo, s1
.LBB52_177:
	s_delay_alu instid0(SALU_CYCLE_1)
	s_or_b32 exec_lo, exec_lo, s4
	v_mov_b32_e32 v129, 0
	ds_load_b64 v[129:130], v129 offset:272
	s_waitcnt lgkmcnt(0)
	v_mul_f64 v[11:12], v[11:12], v[129:130]
	scratch_store_b64 off, v[11:12], off offset:272
.LBB52_178:
	s_or_b32 exec_lo, exec_lo, s2
	scratch_load_b64 v[11:12], off, off offset:264
	v_cmp_lt_u32_e64 s1, 33, v0
	s_waitcnt vmcnt(0)
	ds_store_b64 v110, v[11:12]
	s_waitcnt lgkmcnt(0)
	s_waitcnt_vscnt null, 0x0
	s_barrier
	buffer_gl0_inv
	s_and_saveexec_b32 s2, s1
	s_cbranch_execz .LBB52_188
; %bb.179:
	s_and_not1_b32 vcc_lo, exec_lo, s3
	s_cbranch_vccnz .LBB52_181
; %bb.180:
	scratch_load_b64 v[11:12], v111, off
	ds_load_b64 v[129:130], v110
	s_waitcnt vmcnt(0) lgkmcnt(0)
	v_mul_f64 v[11:12], v[11:12], v[129:130]
	s_cbranch_execz .LBB52_182
	s_branch .LBB52_183
.LBB52_181:
                                        ; implicit-def: $vgpr11_vgpr12
.LBB52_182:
	ds_load_b64 v[11:12], v110
.LBB52_183:
	s_and_saveexec_b32 s4, s0
	s_cbranch_execz .LBB52_187
; %bb.184:
	v_subrev_nc_u32_e32 v129, 34, v0
	s_movk_i32 s5, 0x2c0
	s_mov_b32 s0, 0
.LBB52_185:                             ; =>This Inner Loop Header: Depth=1
	scratch_load_b64 v[130:131], v128, off
	v_dual_mov_b32 v132, s5 :: v_dual_add_nc_u32 v129, -1, v129
	v_add_nc_u32_e32 v128, 8, v128
	s_add_i32 s5, s5, 8
	ds_load_b64 v[132:133], v132
	v_cmp_eq_u32_e32 vcc_lo, 0, v129
	s_or_b32 s0, vcc_lo, s0
	s_waitcnt vmcnt(0) lgkmcnt(0)
	v_fma_f64 v[11:12], v[130:131], v[132:133], v[11:12]
	s_and_not1_b32 exec_lo, exec_lo, s0
	s_cbranch_execnz .LBB52_185
; %bb.186:
	s_or_b32 exec_lo, exec_lo, s0
.LBB52_187:
	s_delay_alu instid0(SALU_CYCLE_1)
	s_or_b32 exec_lo, exec_lo, s4
	v_mov_b32_e32 v128, 0
	ds_load_b64 v[128:129], v128 offset:264
	s_waitcnt lgkmcnt(0)
	v_mul_f64 v[11:12], v[11:12], v[128:129]
	scratch_store_b64 off, v[11:12], off offset:264
.LBB52_188:
	s_or_b32 exec_lo, exec_lo, s2
	scratch_load_b64 v[11:12], off, off offset:256
	v_cmp_lt_u32_e64 s0, 32, v0
	s_waitcnt vmcnt(0)
	ds_store_b64 v110, v[11:12]
	s_waitcnt lgkmcnt(0)
	s_waitcnt_vscnt null, 0x0
	s_barrier
	buffer_gl0_inv
	s_and_saveexec_b32 s2, s0
	s_cbranch_execz .LBB52_198
; %bb.189:
	s_and_not1_b32 vcc_lo, exec_lo, s3
	s_cbranch_vccnz .LBB52_191
; %bb.190:
	scratch_load_b64 v[11:12], v111, off
	ds_load_b64 v[128:129], v110
	s_waitcnt vmcnt(0) lgkmcnt(0)
	v_mul_f64 v[11:12], v[11:12], v[128:129]
	s_cbranch_execz .LBB52_192
	s_branch .LBB52_193
.LBB52_191:
                                        ; implicit-def: $vgpr11_vgpr12
.LBB52_192:
	ds_load_b64 v[11:12], v110
.LBB52_193:
	s_and_saveexec_b32 s4, s1
	s_cbranch_execz .LBB52_197
; %bb.194:
	v_mov_b32_e32 v128, 0
	v_subrev_nc_u32_e32 v129, 33, v0
	s_movk_i32 s5, 0x2b8
	s_mov_b32 s1, 0
	s_delay_alu instid0(VALU_DEP_2)
	v_add_nc_u32_e32 v128, 0x108, v128
.LBB52_195:                             ; =>This Inner Loop Header: Depth=1
	scratch_load_b64 v[130:131], v128, off
	v_dual_mov_b32 v132, s5 :: v_dual_add_nc_u32 v129, -1, v129
	v_add_nc_u32_e32 v128, 8, v128
	s_add_i32 s5, s5, 8
	ds_load_b64 v[132:133], v132
	v_cmp_eq_u32_e32 vcc_lo, 0, v129
	s_or_b32 s1, vcc_lo, s1
	s_waitcnt vmcnt(0) lgkmcnt(0)
	v_fma_f64 v[11:12], v[130:131], v[132:133], v[11:12]
	s_and_not1_b32 exec_lo, exec_lo, s1
	s_cbranch_execnz .LBB52_195
; %bb.196:
	s_or_b32 exec_lo, exec_lo, s1
.LBB52_197:
	s_delay_alu instid0(SALU_CYCLE_1)
	s_or_b32 exec_lo, exec_lo, s4
	v_mov_b32_e32 v128, 0
	ds_load_b64 v[128:129], v128 offset:256
	s_waitcnt lgkmcnt(0)
	v_mul_f64 v[11:12], v[11:12], v[128:129]
	scratch_store_b64 off, v[11:12], off offset:256
.LBB52_198:
	s_or_b32 exec_lo, exec_lo, s2
	scratch_load_b64 v[11:12], off, off offset:248
	v_cmp_lt_u32_e64 s1, 31, v0
	s_waitcnt vmcnt(0)
	ds_store_b64 v110, v[11:12]
	s_waitcnt lgkmcnt(0)
	s_waitcnt_vscnt null, 0x0
	s_barrier
	buffer_gl0_inv
	s_and_saveexec_b32 s2, s1
	s_cbranch_execz .LBB52_208
; %bb.199:
	s_and_not1_b32 vcc_lo, exec_lo, s3
	s_cbranch_vccnz .LBB52_201
; %bb.200:
	scratch_load_b64 v[11:12], v111, off
	ds_load_b64 v[128:129], v110
	s_waitcnt vmcnt(0) lgkmcnt(0)
	v_mul_f64 v[11:12], v[11:12], v[128:129]
	s_cbranch_execz .LBB52_202
	s_branch .LBB52_203
.LBB52_201:
                                        ; implicit-def: $vgpr11_vgpr12
.LBB52_202:
	ds_load_b64 v[11:12], v110
.LBB52_203:
	s_and_saveexec_b32 s4, s0
	s_cbranch_execz .LBB52_207
; %bb.204:
	v_subrev_nc_u32_e32 v128, 32, v0
	s_movk_i32 s5, 0x2b0
	s_mov_b32 s0, 0
.LBB52_205:                             ; =>This Inner Loop Header: Depth=1
	scratch_load_b64 v[129:130], v127, off
	v_dual_mov_b32 v131, s5 :: v_dual_add_nc_u32 v128, -1, v128
	v_add_nc_u32_e32 v127, 8, v127
	s_add_i32 s5, s5, 8
	ds_load_b64 v[131:132], v131
	v_cmp_eq_u32_e32 vcc_lo, 0, v128
	s_or_b32 s0, vcc_lo, s0
	s_waitcnt vmcnt(0) lgkmcnt(0)
	v_fma_f64 v[11:12], v[129:130], v[131:132], v[11:12]
	s_and_not1_b32 exec_lo, exec_lo, s0
	s_cbranch_execnz .LBB52_205
; %bb.206:
	s_or_b32 exec_lo, exec_lo, s0
.LBB52_207:
	s_delay_alu instid0(SALU_CYCLE_1)
	s_or_b32 exec_lo, exec_lo, s4
	v_mov_b32_e32 v127, 0
	ds_load_b64 v[127:128], v127 offset:248
	s_waitcnt lgkmcnt(0)
	v_mul_f64 v[11:12], v[11:12], v[127:128]
	scratch_store_b64 off, v[11:12], off offset:248
.LBB52_208:
	s_or_b32 exec_lo, exec_lo, s2
	scratch_load_b64 v[11:12], off, off offset:240
	v_cmp_lt_u32_e64 s0, 30, v0
	s_waitcnt vmcnt(0)
	ds_store_b64 v110, v[11:12]
	s_waitcnt lgkmcnt(0)
	s_waitcnt_vscnt null, 0x0
	s_barrier
	buffer_gl0_inv
	s_and_saveexec_b32 s2, s0
	s_cbranch_execz .LBB52_218
; %bb.209:
	s_and_not1_b32 vcc_lo, exec_lo, s3
	s_cbranch_vccnz .LBB52_211
; %bb.210:
	scratch_load_b64 v[11:12], v111, off
	ds_load_b64 v[127:128], v110
	s_waitcnt vmcnt(0) lgkmcnt(0)
	v_mul_f64 v[11:12], v[11:12], v[127:128]
	s_cbranch_execz .LBB52_212
	s_branch .LBB52_213
.LBB52_211:
                                        ; implicit-def: $vgpr11_vgpr12
.LBB52_212:
	ds_load_b64 v[11:12], v110
.LBB52_213:
	s_and_saveexec_b32 s4, s1
	s_cbranch_execz .LBB52_217
; %bb.214:
	v_mov_b32_e32 v127, 0
	v_subrev_nc_u32_e32 v128, 31, v0
	s_movk_i32 s5, 0x2a8
	s_mov_b32 s1, 0
	s_delay_alu instid0(VALU_DEP_2)
	v_add_nc_u32_e32 v127, 0xf8, v127
.LBB52_215:                             ; =>This Inner Loop Header: Depth=1
	scratch_load_b64 v[129:130], v127, off
	v_dual_mov_b32 v131, s5 :: v_dual_add_nc_u32 v128, -1, v128
	v_add_nc_u32_e32 v127, 8, v127
	s_add_i32 s5, s5, 8
	ds_load_b64 v[131:132], v131
	v_cmp_eq_u32_e32 vcc_lo, 0, v128
	s_or_b32 s1, vcc_lo, s1
	s_waitcnt vmcnt(0) lgkmcnt(0)
	v_fma_f64 v[11:12], v[129:130], v[131:132], v[11:12]
	s_and_not1_b32 exec_lo, exec_lo, s1
	s_cbranch_execnz .LBB52_215
; %bb.216:
	s_or_b32 exec_lo, exec_lo, s1
.LBB52_217:
	s_delay_alu instid0(SALU_CYCLE_1)
	s_or_b32 exec_lo, exec_lo, s4
	v_mov_b32_e32 v127, 0
	ds_load_b64 v[127:128], v127 offset:240
	s_waitcnt lgkmcnt(0)
	v_mul_f64 v[11:12], v[11:12], v[127:128]
	scratch_store_b64 off, v[11:12], off offset:240
.LBB52_218:
	s_or_b32 exec_lo, exec_lo, s2
	scratch_load_b64 v[11:12], off, off offset:232
	v_cmp_lt_u32_e64 s1, 29, v0
	s_waitcnt vmcnt(0)
	ds_store_b64 v110, v[11:12]
	s_waitcnt lgkmcnt(0)
	s_waitcnt_vscnt null, 0x0
	s_barrier
	buffer_gl0_inv
	s_and_saveexec_b32 s2, s1
	s_cbranch_execz .LBB52_228
; %bb.219:
	s_and_not1_b32 vcc_lo, exec_lo, s3
	s_cbranch_vccnz .LBB52_221
; %bb.220:
	scratch_load_b64 v[11:12], v111, off
	ds_load_b64 v[127:128], v110
	s_waitcnt vmcnt(0) lgkmcnt(0)
	v_mul_f64 v[11:12], v[11:12], v[127:128]
	s_cbranch_execz .LBB52_222
	s_branch .LBB52_223
.LBB52_221:
                                        ; implicit-def: $vgpr11_vgpr12
.LBB52_222:
	ds_load_b64 v[11:12], v110
.LBB52_223:
	s_and_saveexec_b32 s4, s0
	s_cbranch_execz .LBB52_227
; %bb.224:
	v_subrev_nc_u32_e32 v127, 30, v0
	s_movk_i32 s5, 0x2a0
	s_mov_b32 s0, 0
.LBB52_225:                             ; =>This Inner Loop Header: Depth=1
	scratch_load_b64 v[128:129], v126, off
	v_dual_mov_b32 v130, s5 :: v_dual_add_nc_u32 v127, -1, v127
	v_add_nc_u32_e32 v126, 8, v126
	s_add_i32 s5, s5, 8
	ds_load_b64 v[130:131], v130
	v_cmp_eq_u32_e32 vcc_lo, 0, v127
	s_or_b32 s0, vcc_lo, s0
	s_waitcnt vmcnt(0) lgkmcnt(0)
	v_fma_f64 v[11:12], v[128:129], v[130:131], v[11:12]
	s_and_not1_b32 exec_lo, exec_lo, s0
	s_cbranch_execnz .LBB52_225
; %bb.226:
	s_or_b32 exec_lo, exec_lo, s0
.LBB52_227:
	s_delay_alu instid0(SALU_CYCLE_1)
	s_or_b32 exec_lo, exec_lo, s4
	v_mov_b32_e32 v126, 0
	ds_load_b64 v[126:127], v126 offset:232
	s_waitcnt lgkmcnt(0)
	v_mul_f64 v[11:12], v[11:12], v[126:127]
	scratch_store_b64 off, v[11:12], off offset:232
.LBB52_228:
	s_or_b32 exec_lo, exec_lo, s2
	scratch_load_b64 v[11:12], off, off offset:224
	v_cmp_lt_u32_e64 s0, 28, v0
	s_waitcnt vmcnt(0)
	ds_store_b64 v110, v[11:12]
	s_waitcnt lgkmcnt(0)
	s_waitcnt_vscnt null, 0x0
	s_barrier
	buffer_gl0_inv
	s_and_saveexec_b32 s2, s0
	s_cbranch_execz .LBB52_238
; %bb.229:
	s_and_not1_b32 vcc_lo, exec_lo, s3
	s_cbranch_vccnz .LBB52_231
; %bb.230:
	scratch_load_b64 v[11:12], v111, off
	ds_load_b64 v[126:127], v110
	s_waitcnt vmcnt(0) lgkmcnt(0)
	v_mul_f64 v[11:12], v[11:12], v[126:127]
	s_cbranch_execz .LBB52_232
	s_branch .LBB52_233
.LBB52_231:
                                        ; implicit-def: $vgpr11_vgpr12
.LBB52_232:
	ds_load_b64 v[11:12], v110
.LBB52_233:
	s_and_saveexec_b32 s4, s1
	s_cbranch_execz .LBB52_237
; %bb.234:
	v_mov_b32_e32 v126, 0
	v_subrev_nc_u32_e32 v127, 29, v0
	s_movk_i32 s5, 0x298
	s_mov_b32 s1, 0
	s_delay_alu instid0(VALU_DEP_2)
	v_add_nc_u32_e32 v126, 0xe8, v126
.LBB52_235:                             ; =>This Inner Loop Header: Depth=1
	scratch_load_b64 v[128:129], v126, off
	v_dual_mov_b32 v130, s5 :: v_dual_add_nc_u32 v127, -1, v127
	v_add_nc_u32_e32 v126, 8, v126
	s_add_i32 s5, s5, 8
	ds_load_b64 v[130:131], v130
	v_cmp_eq_u32_e32 vcc_lo, 0, v127
	s_or_b32 s1, vcc_lo, s1
	s_waitcnt vmcnt(0) lgkmcnt(0)
	v_fma_f64 v[11:12], v[128:129], v[130:131], v[11:12]
	s_and_not1_b32 exec_lo, exec_lo, s1
	s_cbranch_execnz .LBB52_235
; %bb.236:
	s_or_b32 exec_lo, exec_lo, s1
.LBB52_237:
	s_delay_alu instid0(SALU_CYCLE_1)
	s_or_b32 exec_lo, exec_lo, s4
	v_mov_b32_e32 v126, 0
	ds_load_b64 v[126:127], v126 offset:224
	s_waitcnt lgkmcnt(0)
	v_mul_f64 v[11:12], v[11:12], v[126:127]
	scratch_store_b64 off, v[11:12], off offset:224
.LBB52_238:
	s_or_b32 exec_lo, exec_lo, s2
	scratch_load_b64 v[11:12], off, off offset:216
	v_cmp_lt_u32_e64 s1, 27, v0
	s_waitcnt vmcnt(0)
	ds_store_b64 v110, v[11:12]
	s_waitcnt lgkmcnt(0)
	s_waitcnt_vscnt null, 0x0
	s_barrier
	buffer_gl0_inv
	s_and_saveexec_b32 s2, s1
	s_cbranch_execz .LBB52_248
; %bb.239:
	s_and_not1_b32 vcc_lo, exec_lo, s3
	s_cbranch_vccnz .LBB52_241
; %bb.240:
	scratch_load_b64 v[11:12], v111, off
	ds_load_b64 v[126:127], v110
	s_waitcnt vmcnt(0) lgkmcnt(0)
	v_mul_f64 v[11:12], v[11:12], v[126:127]
	s_cbranch_execz .LBB52_242
	s_branch .LBB52_243
.LBB52_241:
                                        ; implicit-def: $vgpr11_vgpr12
.LBB52_242:
	ds_load_b64 v[11:12], v110
.LBB52_243:
	s_and_saveexec_b32 s4, s0
	s_cbranch_execz .LBB52_247
; %bb.244:
	v_subrev_nc_u32_e32 v126, 28, v0
	s_movk_i32 s5, 0x290
	s_mov_b32 s0, 0
.LBB52_245:                             ; =>This Inner Loop Header: Depth=1
	scratch_load_b64 v[127:128], v125, off
	v_dual_mov_b32 v129, s5 :: v_dual_add_nc_u32 v126, -1, v126
	v_add_nc_u32_e32 v125, 8, v125
	s_add_i32 s5, s5, 8
	ds_load_b64 v[129:130], v129
	v_cmp_eq_u32_e32 vcc_lo, 0, v126
	s_or_b32 s0, vcc_lo, s0
	s_waitcnt vmcnt(0) lgkmcnt(0)
	v_fma_f64 v[11:12], v[127:128], v[129:130], v[11:12]
	s_and_not1_b32 exec_lo, exec_lo, s0
	s_cbranch_execnz .LBB52_245
; %bb.246:
	s_or_b32 exec_lo, exec_lo, s0
.LBB52_247:
	s_delay_alu instid0(SALU_CYCLE_1)
	s_or_b32 exec_lo, exec_lo, s4
	v_mov_b32_e32 v125, 0
	ds_load_b64 v[125:126], v125 offset:216
	s_waitcnt lgkmcnt(0)
	v_mul_f64 v[11:12], v[11:12], v[125:126]
	scratch_store_b64 off, v[11:12], off offset:216
.LBB52_248:
	s_or_b32 exec_lo, exec_lo, s2
	scratch_load_b64 v[11:12], off, off offset:208
	v_cmp_lt_u32_e64 s0, 26, v0
	s_waitcnt vmcnt(0)
	ds_store_b64 v110, v[11:12]
	s_waitcnt lgkmcnt(0)
	s_waitcnt_vscnt null, 0x0
	s_barrier
	buffer_gl0_inv
	s_and_saveexec_b32 s2, s0
	s_cbranch_execz .LBB52_258
; %bb.249:
	s_and_not1_b32 vcc_lo, exec_lo, s3
	s_cbranch_vccnz .LBB52_251
; %bb.250:
	scratch_load_b64 v[11:12], v111, off
	ds_load_b64 v[125:126], v110
	s_waitcnt vmcnt(0) lgkmcnt(0)
	v_mul_f64 v[11:12], v[11:12], v[125:126]
	s_cbranch_execz .LBB52_252
	s_branch .LBB52_253
.LBB52_251:
                                        ; implicit-def: $vgpr11_vgpr12
.LBB52_252:
	ds_load_b64 v[11:12], v110
.LBB52_253:
	s_and_saveexec_b32 s4, s1
	s_cbranch_execz .LBB52_257
; %bb.254:
	v_mov_b32_e32 v125, 0
	v_subrev_nc_u32_e32 v126, 27, v0
	s_movk_i32 s5, 0x288
	s_mov_b32 s1, 0
	s_delay_alu instid0(VALU_DEP_2)
	v_add_nc_u32_e32 v125, 0xd8, v125
.LBB52_255:                             ; =>This Inner Loop Header: Depth=1
	scratch_load_b64 v[127:128], v125, off
	v_dual_mov_b32 v129, s5 :: v_dual_add_nc_u32 v126, -1, v126
	v_add_nc_u32_e32 v125, 8, v125
	s_add_i32 s5, s5, 8
	ds_load_b64 v[129:130], v129
	v_cmp_eq_u32_e32 vcc_lo, 0, v126
	s_or_b32 s1, vcc_lo, s1
	s_waitcnt vmcnt(0) lgkmcnt(0)
	v_fma_f64 v[11:12], v[127:128], v[129:130], v[11:12]
	s_and_not1_b32 exec_lo, exec_lo, s1
	s_cbranch_execnz .LBB52_255
; %bb.256:
	s_or_b32 exec_lo, exec_lo, s1
.LBB52_257:
	s_delay_alu instid0(SALU_CYCLE_1)
	s_or_b32 exec_lo, exec_lo, s4
	v_mov_b32_e32 v125, 0
	ds_load_b64 v[125:126], v125 offset:208
	s_waitcnt lgkmcnt(0)
	v_mul_f64 v[11:12], v[11:12], v[125:126]
	scratch_store_b64 off, v[11:12], off offset:208
.LBB52_258:
	s_or_b32 exec_lo, exec_lo, s2
	scratch_load_b64 v[11:12], off, off offset:200
	v_cmp_lt_u32_e64 s1, 25, v0
	s_waitcnt vmcnt(0)
	ds_store_b64 v110, v[11:12]
	s_waitcnt lgkmcnt(0)
	s_waitcnt_vscnt null, 0x0
	s_barrier
	buffer_gl0_inv
	s_and_saveexec_b32 s2, s1
	s_cbranch_execz .LBB52_268
; %bb.259:
	s_and_not1_b32 vcc_lo, exec_lo, s3
	s_cbranch_vccnz .LBB52_261
; %bb.260:
	scratch_load_b64 v[11:12], v111, off
	ds_load_b64 v[125:126], v110
	s_waitcnt vmcnt(0) lgkmcnt(0)
	v_mul_f64 v[11:12], v[11:12], v[125:126]
	s_cbranch_execz .LBB52_262
	s_branch .LBB52_263
.LBB52_261:
                                        ; implicit-def: $vgpr11_vgpr12
.LBB52_262:
	ds_load_b64 v[11:12], v110
.LBB52_263:
	s_and_saveexec_b32 s4, s0
	s_cbranch_execz .LBB52_267
; %bb.264:
	v_subrev_nc_u32_e32 v125, 26, v0
	s_movk_i32 s5, 0x280
	s_mov_b32 s0, 0
.LBB52_265:                             ; =>This Inner Loop Header: Depth=1
	scratch_load_b64 v[126:127], v124, off
	v_dual_mov_b32 v128, s5 :: v_dual_add_nc_u32 v125, -1, v125
	v_add_nc_u32_e32 v124, 8, v124
	s_add_i32 s5, s5, 8
	ds_load_b64 v[128:129], v128
	v_cmp_eq_u32_e32 vcc_lo, 0, v125
	s_or_b32 s0, vcc_lo, s0
	s_waitcnt vmcnt(0) lgkmcnt(0)
	v_fma_f64 v[11:12], v[126:127], v[128:129], v[11:12]
	s_and_not1_b32 exec_lo, exec_lo, s0
	s_cbranch_execnz .LBB52_265
; %bb.266:
	s_or_b32 exec_lo, exec_lo, s0
.LBB52_267:
	s_delay_alu instid0(SALU_CYCLE_1)
	s_or_b32 exec_lo, exec_lo, s4
	v_mov_b32_e32 v124, 0
	ds_load_b64 v[124:125], v124 offset:200
	s_waitcnt lgkmcnt(0)
	v_mul_f64 v[11:12], v[11:12], v[124:125]
	scratch_store_b64 off, v[11:12], off offset:200
.LBB52_268:
	s_or_b32 exec_lo, exec_lo, s2
	scratch_load_b64 v[11:12], off, off offset:192
	v_cmp_lt_u32_e64 s0, 24, v0
	s_waitcnt vmcnt(0)
	ds_store_b64 v110, v[11:12]
	s_waitcnt lgkmcnt(0)
	s_waitcnt_vscnt null, 0x0
	s_barrier
	buffer_gl0_inv
	s_and_saveexec_b32 s2, s0
	s_cbranch_execz .LBB52_278
; %bb.269:
	s_and_not1_b32 vcc_lo, exec_lo, s3
	s_cbranch_vccnz .LBB52_271
; %bb.270:
	scratch_load_b64 v[11:12], v111, off
	ds_load_b64 v[124:125], v110
	s_waitcnt vmcnt(0) lgkmcnt(0)
	v_mul_f64 v[11:12], v[11:12], v[124:125]
	s_cbranch_execz .LBB52_272
	s_branch .LBB52_273
.LBB52_271:
                                        ; implicit-def: $vgpr11_vgpr12
.LBB52_272:
	ds_load_b64 v[11:12], v110
.LBB52_273:
	s_and_saveexec_b32 s4, s1
	s_cbranch_execz .LBB52_277
; %bb.274:
	v_mov_b32_e32 v124, 0
	v_subrev_nc_u32_e32 v125, 25, v0
	s_movk_i32 s5, 0x278
	s_mov_b32 s1, 0
	s_delay_alu instid0(VALU_DEP_2)
	v_add_nc_u32_e32 v124, 0xc8, v124
.LBB52_275:                             ; =>This Inner Loop Header: Depth=1
	scratch_load_b64 v[126:127], v124, off
	v_dual_mov_b32 v128, s5 :: v_dual_add_nc_u32 v125, -1, v125
	v_add_nc_u32_e32 v124, 8, v124
	s_add_i32 s5, s5, 8
	ds_load_b64 v[128:129], v128
	v_cmp_eq_u32_e32 vcc_lo, 0, v125
	s_or_b32 s1, vcc_lo, s1
	s_waitcnt vmcnt(0) lgkmcnt(0)
	v_fma_f64 v[11:12], v[126:127], v[128:129], v[11:12]
	s_and_not1_b32 exec_lo, exec_lo, s1
	s_cbranch_execnz .LBB52_275
; %bb.276:
	s_or_b32 exec_lo, exec_lo, s1
.LBB52_277:
	s_delay_alu instid0(SALU_CYCLE_1)
	s_or_b32 exec_lo, exec_lo, s4
	v_mov_b32_e32 v124, 0
	ds_load_b64 v[124:125], v124 offset:192
	s_waitcnt lgkmcnt(0)
	v_mul_f64 v[11:12], v[11:12], v[124:125]
	scratch_store_b64 off, v[11:12], off offset:192
.LBB52_278:
	s_or_b32 exec_lo, exec_lo, s2
	scratch_load_b64 v[11:12], off, off offset:184
	v_cmp_lt_u32_e64 s1, 23, v0
	s_waitcnt vmcnt(0)
	ds_store_b64 v110, v[11:12]
	s_waitcnt lgkmcnt(0)
	s_waitcnt_vscnt null, 0x0
	s_barrier
	buffer_gl0_inv
	s_and_saveexec_b32 s2, s1
	s_cbranch_execz .LBB52_288
; %bb.279:
	s_and_not1_b32 vcc_lo, exec_lo, s3
	s_cbranch_vccnz .LBB52_281
; %bb.280:
	scratch_load_b64 v[11:12], v111, off
	ds_load_b64 v[124:125], v110
	s_waitcnt vmcnt(0) lgkmcnt(0)
	v_mul_f64 v[11:12], v[11:12], v[124:125]
	s_cbranch_execz .LBB52_282
	s_branch .LBB52_283
.LBB52_281:
                                        ; implicit-def: $vgpr11_vgpr12
.LBB52_282:
	ds_load_b64 v[11:12], v110
.LBB52_283:
	s_and_saveexec_b32 s4, s0
	s_cbranch_execz .LBB52_287
; %bb.284:
	v_subrev_nc_u32_e32 v124, 24, v0
	s_movk_i32 s5, 0x270
	s_mov_b32 s0, 0
.LBB52_285:                             ; =>This Inner Loop Header: Depth=1
	scratch_load_b64 v[125:126], v123, off
	v_dual_mov_b32 v127, s5 :: v_dual_add_nc_u32 v124, -1, v124
	v_add_nc_u32_e32 v123, 8, v123
	s_add_i32 s5, s5, 8
	ds_load_b64 v[127:128], v127
	v_cmp_eq_u32_e32 vcc_lo, 0, v124
	s_or_b32 s0, vcc_lo, s0
	s_waitcnt vmcnt(0) lgkmcnt(0)
	v_fma_f64 v[11:12], v[125:126], v[127:128], v[11:12]
	s_and_not1_b32 exec_lo, exec_lo, s0
	s_cbranch_execnz .LBB52_285
; %bb.286:
	s_or_b32 exec_lo, exec_lo, s0
.LBB52_287:
	s_delay_alu instid0(SALU_CYCLE_1)
	s_or_b32 exec_lo, exec_lo, s4
	v_mov_b32_e32 v123, 0
	ds_load_b64 v[123:124], v123 offset:184
	s_waitcnt lgkmcnt(0)
	v_mul_f64 v[11:12], v[11:12], v[123:124]
	scratch_store_b64 off, v[11:12], off offset:184
.LBB52_288:
	s_or_b32 exec_lo, exec_lo, s2
	scratch_load_b64 v[11:12], off, off offset:176
	v_cmp_lt_u32_e64 s0, 22, v0
	s_waitcnt vmcnt(0)
	ds_store_b64 v110, v[11:12]
	s_waitcnt lgkmcnt(0)
	s_waitcnt_vscnt null, 0x0
	s_barrier
	buffer_gl0_inv
	s_and_saveexec_b32 s2, s0
	s_cbranch_execz .LBB52_298
; %bb.289:
	s_and_not1_b32 vcc_lo, exec_lo, s3
	s_cbranch_vccnz .LBB52_291
; %bb.290:
	scratch_load_b64 v[11:12], v111, off
	ds_load_b64 v[123:124], v110
	s_waitcnt vmcnt(0) lgkmcnt(0)
	v_mul_f64 v[11:12], v[11:12], v[123:124]
	s_cbranch_execz .LBB52_292
	s_branch .LBB52_293
.LBB52_291:
                                        ; implicit-def: $vgpr11_vgpr12
.LBB52_292:
	ds_load_b64 v[11:12], v110
.LBB52_293:
	s_and_saveexec_b32 s4, s1
	s_cbranch_execz .LBB52_297
; %bb.294:
	v_mov_b32_e32 v123, 0
	v_subrev_nc_u32_e32 v124, 23, v0
	s_movk_i32 s5, 0x268
	s_mov_b32 s1, 0
	s_delay_alu instid0(VALU_DEP_2)
	v_add_nc_u32_e32 v123, 0xb8, v123
.LBB52_295:                             ; =>This Inner Loop Header: Depth=1
	scratch_load_b64 v[125:126], v123, off
	v_dual_mov_b32 v127, s5 :: v_dual_add_nc_u32 v124, -1, v124
	v_add_nc_u32_e32 v123, 8, v123
	s_add_i32 s5, s5, 8
	ds_load_b64 v[127:128], v127
	v_cmp_eq_u32_e32 vcc_lo, 0, v124
	s_or_b32 s1, vcc_lo, s1
	s_waitcnt vmcnt(0) lgkmcnt(0)
	v_fma_f64 v[11:12], v[125:126], v[127:128], v[11:12]
	s_and_not1_b32 exec_lo, exec_lo, s1
	s_cbranch_execnz .LBB52_295
; %bb.296:
	s_or_b32 exec_lo, exec_lo, s1
.LBB52_297:
	s_delay_alu instid0(SALU_CYCLE_1)
	s_or_b32 exec_lo, exec_lo, s4
	v_mov_b32_e32 v123, 0
	ds_load_b64 v[123:124], v123 offset:176
	s_waitcnt lgkmcnt(0)
	v_mul_f64 v[11:12], v[11:12], v[123:124]
	scratch_store_b64 off, v[11:12], off offset:176
.LBB52_298:
	s_or_b32 exec_lo, exec_lo, s2
	scratch_load_b64 v[11:12], off, off offset:168
	v_cmp_lt_u32_e64 s1, 21, v0
	s_waitcnt vmcnt(0)
	ds_store_b64 v110, v[11:12]
	s_waitcnt lgkmcnt(0)
	s_waitcnt_vscnt null, 0x0
	s_barrier
	buffer_gl0_inv
	s_and_saveexec_b32 s2, s1
	s_cbranch_execz .LBB52_308
; %bb.299:
	s_and_not1_b32 vcc_lo, exec_lo, s3
	s_cbranch_vccnz .LBB52_301
; %bb.300:
	scratch_load_b64 v[11:12], v111, off
	ds_load_b64 v[123:124], v110
	s_waitcnt vmcnt(0) lgkmcnt(0)
	v_mul_f64 v[11:12], v[11:12], v[123:124]
	s_cbranch_execz .LBB52_302
	s_branch .LBB52_303
.LBB52_301:
                                        ; implicit-def: $vgpr11_vgpr12
.LBB52_302:
	ds_load_b64 v[11:12], v110
.LBB52_303:
	s_and_saveexec_b32 s4, s0
	s_cbranch_execz .LBB52_307
; %bb.304:
	v_subrev_nc_u32_e32 v123, 22, v0
	s_movk_i32 s5, 0x260
	s_mov_b32 s0, 0
.LBB52_305:                             ; =>This Inner Loop Header: Depth=1
	scratch_load_b64 v[124:125], v122, off
	v_dual_mov_b32 v126, s5 :: v_dual_add_nc_u32 v123, -1, v123
	v_add_nc_u32_e32 v122, 8, v122
	s_add_i32 s5, s5, 8
	ds_load_b64 v[126:127], v126
	v_cmp_eq_u32_e32 vcc_lo, 0, v123
	s_or_b32 s0, vcc_lo, s0
	s_waitcnt vmcnt(0) lgkmcnt(0)
	v_fma_f64 v[11:12], v[124:125], v[126:127], v[11:12]
	s_and_not1_b32 exec_lo, exec_lo, s0
	s_cbranch_execnz .LBB52_305
; %bb.306:
	s_or_b32 exec_lo, exec_lo, s0
.LBB52_307:
	s_delay_alu instid0(SALU_CYCLE_1)
	s_or_b32 exec_lo, exec_lo, s4
	v_mov_b32_e32 v122, 0
	ds_load_b64 v[122:123], v122 offset:168
	s_waitcnt lgkmcnt(0)
	v_mul_f64 v[11:12], v[11:12], v[122:123]
	scratch_store_b64 off, v[11:12], off offset:168
.LBB52_308:
	s_or_b32 exec_lo, exec_lo, s2
	scratch_load_b64 v[11:12], off, off offset:160
	v_cmp_lt_u32_e64 s0, 20, v0
	s_waitcnt vmcnt(0)
	ds_store_b64 v110, v[11:12]
	s_waitcnt lgkmcnt(0)
	s_waitcnt_vscnt null, 0x0
	s_barrier
	buffer_gl0_inv
	s_and_saveexec_b32 s2, s0
	s_cbranch_execz .LBB52_318
; %bb.309:
	s_and_not1_b32 vcc_lo, exec_lo, s3
	s_cbranch_vccnz .LBB52_311
; %bb.310:
	scratch_load_b64 v[11:12], v111, off
	ds_load_b64 v[122:123], v110
	s_waitcnt vmcnt(0) lgkmcnt(0)
	v_mul_f64 v[11:12], v[11:12], v[122:123]
	s_cbranch_execz .LBB52_312
	s_branch .LBB52_313
.LBB52_311:
                                        ; implicit-def: $vgpr11_vgpr12
.LBB52_312:
	ds_load_b64 v[11:12], v110
.LBB52_313:
	s_and_saveexec_b32 s4, s1
	s_cbranch_execz .LBB52_317
; %bb.314:
	v_mov_b32_e32 v122, 0
	v_subrev_nc_u32_e32 v123, 21, v0
	s_movk_i32 s5, 0x258
	s_mov_b32 s1, 0
	s_delay_alu instid0(VALU_DEP_2)
	v_add_nc_u32_e32 v122, 0xa8, v122
.LBB52_315:                             ; =>This Inner Loop Header: Depth=1
	scratch_load_b64 v[124:125], v122, off
	v_dual_mov_b32 v126, s5 :: v_dual_add_nc_u32 v123, -1, v123
	v_add_nc_u32_e32 v122, 8, v122
	s_add_i32 s5, s5, 8
	ds_load_b64 v[126:127], v126
	v_cmp_eq_u32_e32 vcc_lo, 0, v123
	s_or_b32 s1, vcc_lo, s1
	s_waitcnt vmcnt(0) lgkmcnt(0)
	v_fma_f64 v[11:12], v[124:125], v[126:127], v[11:12]
	s_and_not1_b32 exec_lo, exec_lo, s1
	s_cbranch_execnz .LBB52_315
; %bb.316:
	s_or_b32 exec_lo, exec_lo, s1
.LBB52_317:
	s_delay_alu instid0(SALU_CYCLE_1)
	s_or_b32 exec_lo, exec_lo, s4
	v_mov_b32_e32 v122, 0
	ds_load_b64 v[122:123], v122 offset:160
	s_waitcnt lgkmcnt(0)
	v_mul_f64 v[11:12], v[11:12], v[122:123]
	scratch_store_b64 off, v[11:12], off offset:160
.LBB52_318:
	s_or_b32 exec_lo, exec_lo, s2
	scratch_load_b64 v[11:12], off, off offset:152
	v_cmp_lt_u32_e64 s1, 19, v0
	s_waitcnt vmcnt(0)
	ds_store_b64 v110, v[11:12]
	s_waitcnt lgkmcnt(0)
	s_waitcnt_vscnt null, 0x0
	s_barrier
	buffer_gl0_inv
	s_and_saveexec_b32 s2, s1
	s_cbranch_execz .LBB52_328
; %bb.319:
	s_and_not1_b32 vcc_lo, exec_lo, s3
	s_cbranch_vccnz .LBB52_321
; %bb.320:
	scratch_load_b64 v[11:12], v111, off
	ds_load_b64 v[122:123], v110
	s_waitcnt vmcnt(0) lgkmcnt(0)
	v_mul_f64 v[11:12], v[11:12], v[122:123]
	s_cbranch_execz .LBB52_322
	s_branch .LBB52_323
.LBB52_321:
                                        ; implicit-def: $vgpr11_vgpr12
.LBB52_322:
	ds_load_b64 v[11:12], v110
.LBB52_323:
	s_and_saveexec_b32 s4, s0
	s_cbranch_execz .LBB52_327
; %bb.324:
	v_subrev_nc_u32_e32 v122, 20, v0
	s_movk_i32 s5, 0x250
	s_mov_b32 s0, 0
.LBB52_325:                             ; =>This Inner Loop Header: Depth=1
	scratch_load_b64 v[123:124], v121, off
	v_dual_mov_b32 v125, s5 :: v_dual_add_nc_u32 v122, -1, v122
	v_add_nc_u32_e32 v121, 8, v121
	s_add_i32 s5, s5, 8
	ds_load_b64 v[125:126], v125
	v_cmp_eq_u32_e32 vcc_lo, 0, v122
	s_or_b32 s0, vcc_lo, s0
	s_waitcnt vmcnt(0) lgkmcnt(0)
	v_fma_f64 v[11:12], v[123:124], v[125:126], v[11:12]
	s_and_not1_b32 exec_lo, exec_lo, s0
	s_cbranch_execnz .LBB52_325
; %bb.326:
	s_or_b32 exec_lo, exec_lo, s0
.LBB52_327:
	s_delay_alu instid0(SALU_CYCLE_1)
	s_or_b32 exec_lo, exec_lo, s4
	v_mov_b32_e32 v121, 0
	ds_load_b64 v[121:122], v121 offset:152
	s_waitcnt lgkmcnt(0)
	v_mul_f64 v[11:12], v[11:12], v[121:122]
	scratch_store_b64 off, v[11:12], off offset:152
.LBB52_328:
	s_or_b32 exec_lo, exec_lo, s2
	scratch_load_b64 v[11:12], off, off offset:144
	v_cmp_lt_u32_e64 s0, 18, v0
	s_waitcnt vmcnt(0)
	ds_store_b64 v110, v[11:12]
	s_waitcnt lgkmcnt(0)
	s_waitcnt_vscnt null, 0x0
	s_barrier
	buffer_gl0_inv
	s_and_saveexec_b32 s2, s0
	s_cbranch_execz .LBB52_338
; %bb.329:
	s_and_not1_b32 vcc_lo, exec_lo, s3
	s_cbranch_vccnz .LBB52_331
; %bb.330:
	scratch_load_b64 v[11:12], v111, off
	ds_load_b64 v[121:122], v110
	s_waitcnt vmcnt(0) lgkmcnt(0)
	v_mul_f64 v[11:12], v[11:12], v[121:122]
	s_cbranch_execz .LBB52_332
	s_branch .LBB52_333
.LBB52_331:
                                        ; implicit-def: $vgpr11_vgpr12
.LBB52_332:
	ds_load_b64 v[11:12], v110
.LBB52_333:
	s_and_saveexec_b32 s4, s1
	s_cbranch_execz .LBB52_337
; %bb.334:
	v_mov_b32_e32 v121, 0
	v_subrev_nc_u32_e32 v122, 19, v0
	s_movk_i32 s5, 0x248
	s_mov_b32 s1, 0
	s_delay_alu instid0(VALU_DEP_2)
	v_add_nc_u32_e32 v121, 0x98, v121
.LBB52_335:                             ; =>This Inner Loop Header: Depth=1
	scratch_load_b64 v[123:124], v121, off
	v_dual_mov_b32 v125, s5 :: v_dual_add_nc_u32 v122, -1, v122
	v_add_nc_u32_e32 v121, 8, v121
	s_add_i32 s5, s5, 8
	ds_load_b64 v[125:126], v125
	v_cmp_eq_u32_e32 vcc_lo, 0, v122
	s_or_b32 s1, vcc_lo, s1
	s_waitcnt vmcnt(0) lgkmcnt(0)
	v_fma_f64 v[11:12], v[123:124], v[125:126], v[11:12]
	s_and_not1_b32 exec_lo, exec_lo, s1
	s_cbranch_execnz .LBB52_335
; %bb.336:
	s_or_b32 exec_lo, exec_lo, s1
.LBB52_337:
	s_delay_alu instid0(SALU_CYCLE_1)
	s_or_b32 exec_lo, exec_lo, s4
	v_mov_b32_e32 v121, 0
	ds_load_b64 v[121:122], v121 offset:144
	s_waitcnt lgkmcnt(0)
	v_mul_f64 v[11:12], v[11:12], v[121:122]
	scratch_store_b64 off, v[11:12], off offset:144
.LBB52_338:
	s_or_b32 exec_lo, exec_lo, s2
	scratch_load_b64 v[11:12], off, off offset:136
	v_cmp_lt_u32_e64 s1, 17, v0
	s_waitcnt vmcnt(0)
	ds_store_b64 v110, v[11:12]
	s_waitcnt lgkmcnt(0)
	s_waitcnt_vscnt null, 0x0
	s_barrier
	buffer_gl0_inv
	s_and_saveexec_b32 s2, s1
	s_cbranch_execz .LBB52_348
; %bb.339:
	s_and_not1_b32 vcc_lo, exec_lo, s3
	s_cbranch_vccnz .LBB52_341
; %bb.340:
	scratch_load_b64 v[11:12], v111, off
	ds_load_b64 v[121:122], v110
	s_waitcnt vmcnt(0) lgkmcnt(0)
	v_mul_f64 v[11:12], v[11:12], v[121:122]
	s_cbranch_execz .LBB52_342
	s_branch .LBB52_343
.LBB52_341:
                                        ; implicit-def: $vgpr11_vgpr12
.LBB52_342:
	ds_load_b64 v[11:12], v110
.LBB52_343:
	s_and_saveexec_b32 s4, s0
	s_cbranch_execz .LBB52_347
; %bb.344:
	v_subrev_nc_u32_e32 v121, 18, v0
	s_movk_i32 s5, 0x240
	s_mov_b32 s0, 0
.LBB52_345:                             ; =>This Inner Loop Header: Depth=1
	scratch_load_b64 v[122:123], v120, off
	v_dual_mov_b32 v124, s5 :: v_dual_add_nc_u32 v121, -1, v121
	v_add_nc_u32_e32 v120, 8, v120
	s_add_i32 s5, s5, 8
	ds_load_b64 v[124:125], v124
	v_cmp_eq_u32_e32 vcc_lo, 0, v121
	s_or_b32 s0, vcc_lo, s0
	s_waitcnt vmcnt(0) lgkmcnt(0)
	v_fma_f64 v[11:12], v[122:123], v[124:125], v[11:12]
	s_and_not1_b32 exec_lo, exec_lo, s0
	s_cbranch_execnz .LBB52_345
; %bb.346:
	s_or_b32 exec_lo, exec_lo, s0
.LBB52_347:
	s_delay_alu instid0(SALU_CYCLE_1)
	s_or_b32 exec_lo, exec_lo, s4
	v_mov_b32_e32 v120, 0
	ds_load_b64 v[120:121], v120 offset:136
	s_waitcnt lgkmcnt(0)
	v_mul_f64 v[11:12], v[11:12], v[120:121]
	scratch_store_b64 off, v[11:12], off offset:136
.LBB52_348:
	s_or_b32 exec_lo, exec_lo, s2
	scratch_load_b64 v[11:12], off, off offset:128
	v_cmp_lt_u32_e64 s0, 16, v0
	s_waitcnt vmcnt(0)
	ds_store_b64 v110, v[11:12]
	s_waitcnt lgkmcnt(0)
	s_waitcnt_vscnt null, 0x0
	s_barrier
	buffer_gl0_inv
	s_and_saveexec_b32 s2, s0
	s_cbranch_execz .LBB52_358
; %bb.349:
	s_and_not1_b32 vcc_lo, exec_lo, s3
	s_cbranch_vccnz .LBB52_351
; %bb.350:
	scratch_load_b64 v[11:12], v111, off
	ds_load_b64 v[120:121], v110
	s_waitcnt vmcnt(0) lgkmcnt(0)
	v_mul_f64 v[11:12], v[11:12], v[120:121]
	s_cbranch_execz .LBB52_352
	s_branch .LBB52_353
.LBB52_351:
                                        ; implicit-def: $vgpr11_vgpr12
.LBB52_352:
	ds_load_b64 v[11:12], v110
.LBB52_353:
	s_and_saveexec_b32 s4, s1
	s_cbranch_execz .LBB52_357
; %bb.354:
	v_mov_b32_e32 v120, 0
	v_subrev_nc_u32_e32 v121, 17, v0
	s_movk_i32 s5, 0x238
	s_mov_b32 s1, 0
	s_delay_alu instid0(VALU_DEP_2)
	v_add_nc_u32_e32 v120, 0x88, v120
.LBB52_355:                             ; =>This Inner Loop Header: Depth=1
	scratch_load_b64 v[122:123], v120, off
	v_dual_mov_b32 v124, s5 :: v_dual_add_nc_u32 v121, -1, v121
	v_add_nc_u32_e32 v120, 8, v120
	s_add_i32 s5, s5, 8
	ds_load_b64 v[124:125], v124
	v_cmp_eq_u32_e32 vcc_lo, 0, v121
	s_or_b32 s1, vcc_lo, s1
	s_waitcnt vmcnt(0) lgkmcnt(0)
	v_fma_f64 v[11:12], v[122:123], v[124:125], v[11:12]
	s_and_not1_b32 exec_lo, exec_lo, s1
	s_cbranch_execnz .LBB52_355
; %bb.356:
	s_or_b32 exec_lo, exec_lo, s1
.LBB52_357:
	s_delay_alu instid0(SALU_CYCLE_1)
	s_or_b32 exec_lo, exec_lo, s4
	v_mov_b32_e32 v120, 0
	ds_load_b64 v[120:121], v120 offset:128
	s_waitcnt lgkmcnt(0)
	v_mul_f64 v[11:12], v[11:12], v[120:121]
	scratch_store_b64 off, v[11:12], off offset:128
.LBB52_358:
	s_or_b32 exec_lo, exec_lo, s2
	scratch_load_b64 v[11:12], off, off offset:120
	v_cmp_lt_u32_e64 s1, 15, v0
	s_waitcnt vmcnt(0)
	ds_store_b64 v110, v[11:12]
	s_waitcnt lgkmcnt(0)
	s_waitcnt_vscnt null, 0x0
	s_barrier
	buffer_gl0_inv
	s_and_saveexec_b32 s2, s1
	s_cbranch_execz .LBB52_368
; %bb.359:
	s_and_not1_b32 vcc_lo, exec_lo, s3
	s_cbranch_vccnz .LBB52_361
; %bb.360:
	scratch_load_b64 v[11:12], v111, off
	ds_load_b64 v[120:121], v110
	s_waitcnt vmcnt(0) lgkmcnt(0)
	v_mul_f64 v[11:12], v[11:12], v[120:121]
	s_cbranch_execz .LBB52_362
	s_branch .LBB52_363
.LBB52_361:
                                        ; implicit-def: $vgpr11_vgpr12
.LBB52_362:
	ds_load_b64 v[11:12], v110
.LBB52_363:
	s_and_saveexec_b32 s4, s0
	s_cbranch_execz .LBB52_367
; %bb.364:
	v_add_nc_u32_e32 v120, -16, v0
	s_movk_i32 s5, 0x230
	s_mov_b32 s0, 0
.LBB52_365:                             ; =>This Inner Loop Header: Depth=1
	scratch_load_b64 v[121:122], v119, off
	v_dual_mov_b32 v123, s5 :: v_dual_add_nc_u32 v120, -1, v120
	v_add_nc_u32_e32 v119, 8, v119
	s_add_i32 s5, s5, 8
	ds_load_b64 v[123:124], v123
	v_cmp_eq_u32_e32 vcc_lo, 0, v120
	s_or_b32 s0, vcc_lo, s0
	s_waitcnt vmcnt(0) lgkmcnt(0)
	v_fma_f64 v[11:12], v[121:122], v[123:124], v[11:12]
	s_and_not1_b32 exec_lo, exec_lo, s0
	s_cbranch_execnz .LBB52_365
; %bb.366:
	s_or_b32 exec_lo, exec_lo, s0
.LBB52_367:
	s_delay_alu instid0(SALU_CYCLE_1)
	s_or_b32 exec_lo, exec_lo, s4
	v_mov_b32_e32 v119, 0
	ds_load_b64 v[119:120], v119 offset:120
	s_waitcnt lgkmcnt(0)
	v_mul_f64 v[11:12], v[11:12], v[119:120]
	scratch_store_b64 off, v[11:12], off offset:120
.LBB52_368:
	s_or_b32 exec_lo, exec_lo, s2
	scratch_load_b64 v[11:12], off, off offset:112
	v_cmp_lt_u32_e64 s0, 14, v0
	s_waitcnt vmcnt(0)
	ds_store_b64 v110, v[11:12]
	s_waitcnt lgkmcnt(0)
	s_waitcnt_vscnt null, 0x0
	s_barrier
	buffer_gl0_inv
	s_and_saveexec_b32 s2, s0
	s_cbranch_execz .LBB52_378
; %bb.369:
	s_and_not1_b32 vcc_lo, exec_lo, s3
	s_cbranch_vccnz .LBB52_371
; %bb.370:
	scratch_load_b64 v[11:12], v111, off
	ds_load_b64 v[119:120], v110
	s_waitcnt vmcnt(0) lgkmcnt(0)
	v_mul_f64 v[11:12], v[11:12], v[119:120]
	s_cbranch_execz .LBB52_372
	s_branch .LBB52_373
.LBB52_371:
                                        ; implicit-def: $vgpr11_vgpr12
.LBB52_372:
	ds_load_b64 v[11:12], v110
.LBB52_373:
	s_and_saveexec_b32 s4, s1
	s_cbranch_execz .LBB52_377
; %bb.374:
	v_dual_mov_b32 v119, 0 :: v_dual_add_nc_u32 v120, -15, v0
	s_movk_i32 s5, 0x228
	s_mov_b32 s1, 0
	s_delay_alu instid0(VALU_DEP_1)
	v_add_nc_u32_e32 v119, 0x78, v119
.LBB52_375:                             ; =>This Inner Loop Header: Depth=1
	scratch_load_b64 v[121:122], v119, off
	v_dual_mov_b32 v123, s5 :: v_dual_add_nc_u32 v120, -1, v120
	v_add_nc_u32_e32 v119, 8, v119
	s_add_i32 s5, s5, 8
	ds_load_b64 v[123:124], v123
	v_cmp_eq_u32_e32 vcc_lo, 0, v120
	s_or_b32 s1, vcc_lo, s1
	s_waitcnt vmcnt(0) lgkmcnt(0)
	v_fma_f64 v[11:12], v[121:122], v[123:124], v[11:12]
	s_and_not1_b32 exec_lo, exec_lo, s1
	s_cbranch_execnz .LBB52_375
; %bb.376:
	s_or_b32 exec_lo, exec_lo, s1
.LBB52_377:
	s_delay_alu instid0(SALU_CYCLE_1)
	s_or_b32 exec_lo, exec_lo, s4
	v_mov_b32_e32 v119, 0
	ds_load_b64 v[119:120], v119 offset:112
	s_waitcnt lgkmcnt(0)
	v_mul_f64 v[11:12], v[11:12], v[119:120]
	scratch_store_b64 off, v[11:12], off offset:112
.LBB52_378:
	s_or_b32 exec_lo, exec_lo, s2
	scratch_load_b64 v[11:12], off, off offset:104
	v_cmp_lt_u32_e64 s1, 13, v0
	s_waitcnt vmcnt(0)
	ds_store_b64 v110, v[11:12]
	s_waitcnt lgkmcnt(0)
	s_waitcnt_vscnt null, 0x0
	s_barrier
	buffer_gl0_inv
	s_and_saveexec_b32 s2, s1
	s_cbranch_execz .LBB52_388
; %bb.379:
	s_and_not1_b32 vcc_lo, exec_lo, s3
	s_cbranch_vccnz .LBB52_381
; %bb.380:
	scratch_load_b64 v[11:12], v111, off
	ds_load_b64 v[119:120], v110
	s_waitcnt vmcnt(0) lgkmcnt(0)
	v_mul_f64 v[11:12], v[11:12], v[119:120]
	s_cbranch_execz .LBB52_382
	s_branch .LBB52_383
.LBB52_381:
                                        ; implicit-def: $vgpr11_vgpr12
.LBB52_382:
	ds_load_b64 v[11:12], v110
.LBB52_383:
	s_and_saveexec_b32 s4, s0
	s_cbranch_execz .LBB52_387
; %bb.384:
	v_add_nc_u32_e32 v119, -14, v0
	s_movk_i32 s5, 0x220
	s_mov_b32 s0, 0
.LBB52_385:                             ; =>This Inner Loop Header: Depth=1
	scratch_load_b64 v[120:121], v118, off
	v_dual_mov_b32 v122, s5 :: v_dual_add_nc_u32 v119, -1, v119
	v_add_nc_u32_e32 v118, 8, v118
	s_add_i32 s5, s5, 8
	ds_load_b64 v[122:123], v122
	v_cmp_eq_u32_e32 vcc_lo, 0, v119
	s_or_b32 s0, vcc_lo, s0
	s_waitcnt vmcnt(0) lgkmcnt(0)
	v_fma_f64 v[11:12], v[120:121], v[122:123], v[11:12]
	s_and_not1_b32 exec_lo, exec_lo, s0
	s_cbranch_execnz .LBB52_385
; %bb.386:
	s_or_b32 exec_lo, exec_lo, s0
.LBB52_387:
	s_delay_alu instid0(SALU_CYCLE_1)
	s_or_b32 exec_lo, exec_lo, s4
	v_mov_b32_e32 v118, 0
	ds_load_b64 v[118:119], v118 offset:104
	s_waitcnt lgkmcnt(0)
	v_mul_f64 v[11:12], v[11:12], v[118:119]
	scratch_store_b64 off, v[11:12], off offset:104
.LBB52_388:
	s_or_b32 exec_lo, exec_lo, s2
	scratch_load_b64 v[11:12], off, off offset:96
	v_cmp_lt_u32_e64 s0, 12, v0
	s_waitcnt vmcnt(0)
	ds_store_b64 v110, v[11:12]
	s_waitcnt lgkmcnt(0)
	s_waitcnt_vscnt null, 0x0
	s_barrier
	buffer_gl0_inv
	s_and_saveexec_b32 s2, s0
	s_cbranch_execz .LBB52_398
; %bb.389:
	s_and_not1_b32 vcc_lo, exec_lo, s3
	s_cbranch_vccnz .LBB52_391
; %bb.390:
	scratch_load_b64 v[11:12], v111, off
	ds_load_b64 v[118:119], v110
	s_waitcnt vmcnt(0) lgkmcnt(0)
	v_mul_f64 v[11:12], v[11:12], v[118:119]
	s_cbranch_execz .LBB52_392
	s_branch .LBB52_393
.LBB52_391:
                                        ; implicit-def: $vgpr11_vgpr12
.LBB52_392:
	ds_load_b64 v[11:12], v110
.LBB52_393:
	s_and_saveexec_b32 s4, s1
	s_cbranch_execz .LBB52_397
; %bb.394:
	v_dual_mov_b32 v118, 0 :: v_dual_add_nc_u32 v119, -13, v0
	s_movk_i32 s5, 0x218
	s_mov_b32 s1, 0
	s_delay_alu instid0(VALU_DEP_1)
	v_add_nc_u32_e32 v118, 0x68, v118
.LBB52_395:                             ; =>This Inner Loop Header: Depth=1
	scratch_load_b64 v[120:121], v118, off
	v_dual_mov_b32 v122, s5 :: v_dual_add_nc_u32 v119, -1, v119
	v_add_nc_u32_e32 v118, 8, v118
	s_add_i32 s5, s5, 8
	ds_load_b64 v[122:123], v122
	v_cmp_eq_u32_e32 vcc_lo, 0, v119
	s_or_b32 s1, vcc_lo, s1
	s_waitcnt vmcnt(0) lgkmcnt(0)
	v_fma_f64 v[11:12], v[120:121], v[122:123], v[11:12]
	s_and_not1_b32 exec_lo, exec_lo, s1
	s_cbranch_execnz .LBB52_395
; %bb.396:
	s_or_b32 exec_lo, exec_lo, s1
.LBB52_397:
	s_delay_alu instid0(SALU_CYCLE_1)
	s_or_b32 exec_lo, exec_lo, s4
	v_mov_b32_e32 v118, 0
	ds_load_b64 v[118:119], v118 offset:96
	s_waitcnt lgkmcnt(0)
	v_mul_f64 v[11:12], v[11:12], v[118:119]
	scratch_store_b64 off, v[11:12], off offset:96
.LBB52_398:
	s_or_b32 exec_lo, exec_lo, s2
	scratch_load_b64 v[11:12], off, off offset:88
	v_cmp_lt_u32_e64 s1, 11, v0
	s_waitcnt vmcnt(0)
	ds_store_b64 v110, v[11:12]
	s_waitcnt lgkmcnt(0)
	s_waitcnt_vscnt null, 0x0
	s_barrier
	buffer_gl0_inv
	s_and_saveexec_b32 s2, s1
	s_cbranch_execz .LBB52_408
; %bb.399:
	s_and_not1_b32 vcc_lo, exec_lo, s3
	s_cbranch_vccnz .LBB52_401
; %bb.400:
	scratch_load_b64 v[11:12], v111, off
	ds_load_b64 v[118:119], v110
	s_waitcnt vmcnt(0) lgkmcnt(0)
	v_mul_f64 v[11:12], v[11:12], v[118:119]
	s_cbranch_execz .LBB52_402
	s_branch .LBB52_403
.LBB52_401:
                                        ; implicit-def: $vgpr11_vgpr12
.LBB52_402:
	ds_load_b64 v[11:12], v110
.LBB52_403:
	s_and_saveexec_b32 s4, s0
	s_cbranch_execz .LBB52_407
; %bb.404:
	v_add_nc_u32_e32 v118, -12, v0
	s_movk_i32 s5, 0x210
	s_mov_b32 s0, 0
.LBB52_405:                             ; =>This Inner Loop Header: Depth=1
	scratch_load_b64 v[119:120], v117, off
	v_dual_mov_b32 v121, s5 :: v_dual_add_nc_u32 v118, -1, v118
	v_add_nc_u32_e32 v117, 8, v117
	s_add_i32 s5, s5, 8
	ds_load_b64 v[121:122], v121
	v_cmp_eq_u32_e32 vcc_lo, 0, v118
	s_or_b32 s0, vcc_lo, s0
	s_waitcnt vmcnt(0) lgkmcnt(0)
	v_fma_f64 v[11:12], v[119:120], v[121:122], v[11:12]
	s_and_not1_b32 exec_lo, exec_lo, s0
	s_cbranch_execnz .LBB52_405
; %bb.406:
	s_or_b32 exec_lo, exec_lo, s0
.LBB52_407:
	s_delay_alu instid0(SALU_CYCLE_1)
	s_or_b32 exec_lo, exec_lo, s4
	v_mov_b32_e32 v117, 0
	ds_load_b64 v[117:118], v117 offset:88
	s_waitcnt lgkmcnt(0)
	v_mul_f64 v[11:12], v[11:12], v[117:118]
	scratch_store_b64 off, v[11:12], off offset:88
.LBB52_408:
	s_or_b32 exec_lo, exec_lo, s2
	scratch_load_b64 v[11:12], off, off offset:80
	v_cmp_lt_u32_e64 s0, 10, v0
	s_waitcnt vmcnt(0)
	ds_store_b64 v110, v[11:12]
	s_waitcnt lgkmcnt(0)
	s_waitcnt_vscnt null, 0x0
	s_barrier
	buffer_gl0_inv
	s_and_saveexec_b32 s2, s0
	s_cbranch_execz .LBB52_418
; %bb.409:
	s_and_not1_b32 vcc_lo, exec_lo, s3
	s_cbranch_vccnz .LBB52_411
; %bb.410:
	scratch_load_b64 v[11:12], v111, off
	ds_load_b64 v[117:118], v110
	s_waitcnt vmcnt(0) lgkmcnt(0)
	v_mul_f64 v[11:12], v[11:12], v[117:118]
	s_cbranch_execz .LBB52_412
	s_branch .LBB52_413
.LBB52_411:
                                        ; implicit-def: $vgpr11_vgpr12
.LBB52_412:
	ds_load_b64 v[11:12], v110
.LBB52_413:
	s_and_saveexec_b32 s4, s1
	s_cbranch_execz .LBB52_417
; %bb.414:
	v_dual_mov_b32 v117, 0 :: v_dual_add_nc_u32 v118, -11, v0
	s_movk_i32 s5, 0x208
	s_mov_b32 s1, 0
	s_delay_alu instid0(VALU_DEP_1)
	v_add_nc_u32_e32 v117, 0x58, v117
.LBB52_415:                             ; =>This Inner Loop Header: Depth=1
	scratch_load_b64 v[119:120], v117, off
	v_dual_mov_b32 v121, s5 :: v_dual_add_nc_u32 v118, -1, v118
	v_add_nc_u32_e32 v117, 8, v117
	s_add_i32 s5, s5, 8
	ds_load_b64 v[121:122], v121
	v_cmp_eq_u32_e32 vcc_lo, 0, v118
	s_or_b32 s1, vcc_lo, s1
	s_waitcnt vmcnt(0) lgkmcnt(0)
	v_fma_f64 v[11:12], v[119:120], v[121:122], v[11:12]
	s_and_not1_b32 exec_lo, exec_lo, s1
	s_cbranch_execnz .LBB52_415
; %bb.416:
	s_or_b32 exec_lo, exec_lo, s1
.LBB52_417:
	s_delay_alu instid0(SALU_CYCLE_1)
	s_or_b32 exec_lo, exec_lo, s4
	v_mov_b32_e32 v117, 0
	ds_load_b64 v[117:118], v117 offset:80
	s_waitcnt lgkmcnt(0)
	v_mul_f64 v[11:12], v[11:12], v[117:118]
	scratch_store_b64 off, v[11:12], off offset:80
.LBB52_418:
	s_or_b32 exec_lo, exec_lo, s2
	scratch_load_b64 v[11:12], off, off offset:72
	v_cmp_lt_u32_e64 s1, 9, v0
	s_waitcnt vmcnt(0)
	ds_store_b64 v110, v[11:12]
	s_waitcnt lgkmcnt(0)
	s_waitcnt_vscnt null, 0x0
	s_barrier
	buffer_gl0_inv
	s_and_saveexec_b32 s2, s1
	s_cbranch_execz .LBB52_428
; %bb.419:
	s_and_not1_b32 vcc_lo, exec_lo, s3
	s_cbranch_vccnz .LBB52_421
; %bb.420:
	scratch_load_b64 v[11:12], v111, off
	ds_load_b64 v[117:118], v110
	s_waitcnt vmcnt(0) lgkmcnt(0)
	v_mul_f64 v[11:12], v[11:12], v[117:118]
	s_cbranch_execz .LBB52_422
	s_branch .LBB52_423
.LBB52_421:
                                        ; implicit-def: $vgpr11_vgpr12
.LBB52_422:
	ds_load_b64 v[11:12], v110
.LBB52_423:
	s_and_saveexec_b32 s4, s0
	s_cbranch_execz .LBB52_427
; %bb.424:
	v_add_nc_u32_e32 v117, -10, v0
	s_movk_i32 s5, 0x200
	s_mov_b32 s0, 0
.LBB52_425:                             ; =>This Inner Loop Header: Depth=1
	scratch_load_b64 v[118:119], v116, off
	v_dual_mov_b32 v120, s5 :: v_dual_add_nc_u32 v117, -1, v117
	v_add_nc_u32_e32 v116, 8, v116
	s_add_i32 s5, s5, 8
	ds_load_b64 v[120:121], v120
	v_cmp_eq_u32_e32 vcc_lo, 0, v117
	s_or_b32 s0, vcc_lo, s0
	s_waitcnt vmcnt(0) lgkmcnt(0)
	v_fma_f64 v[11:12], v[118:119], v[120:121], v[11:12]
	s_and_not1_b32 exec_lo, exec_lo, s0
	s_cbranch_execnz .LBB52_425
; %bb.426:
	s_or_b32 exec_lo, exec_lo, s0
.LBB52_427:
	s_delay_alu instid0(SALU_CYCLE_1)
	s_or_b32 exec_lo, exec_lo, s4
	v_mov_b32_e32 v116, 0
	ds_load_b64 v[116:117], v116 offset:72
	s_waitcnt lgkmcnt(0)
	v_mul_f64 v[11:12], v[11:12], v[116:117]
	scratch_store_b64 off, v[11:12], off offset:72
.LBB52_428:
	s_or_b32 exec_lo, exec_lo, s2
	scratch_load_b64 v[11:12], off, off offset:64
	v_cmp_lt_u32_e64 s0, 8, v0
	s_waitcnt vmcnt(0)
	ds_store_b64 v110, v[11:12]
	s_waitcnt lgkmcnt(0)
	s_waitcnt_vscnt null, 0x0
	s_barrier
	buffer_gl0_inv
	s_and_saveexec_b32 s2, s0
	s_cbranch_execz .LBB52_438
; %bb.429:
	s_and_not1_b32 vcc_lo, exec_lo, s3
	s_cbranch_vccnz .LBB52_431
; %bb.430:
	scratch_load_b64 v[11:12], v111, off
	ds_load_b64 v[116:117], v110
	s_waitcnt vmcnt(0) lgkmcnt(0)
	v_mul_f64 v[11:12], v[11:12], v[116:117]
	s_cbranch_execz .LBB52_432
	s_branch .LBB52_433
.LBB52_431:
                                        ; implicit-def: $vgpr11_vgpr12
.LBB52_432:
	ds_load_b64 v[11:12], v110
.LBB52_433:
	s_and_saveexec_b32 s4, s1
	s_cbranch_execz .LBB52_437
; %bb.434:
	v_dual_mov_b32 v116, 0 :: v_dual_add_nc_u32 v117, -9, v0
	s_movk_i32 s5, 0x1f8
	s_mov_b32 s1, 0
	s_delay_alu instid0(VALU_DEP_1)
	v_add_nc_u32_e32 v116, 0x48, v116
.LBB52_435:                             ; =>This Inner Loop Header: Depth=1
	scratch_load_b64 v[118:119], v116, off
	v_dual_mov_b32 v120, s5 :: v_dual_add_nc_u32 v117, -1, v117
	v_add_nc_u32_e32 v116, 8, v116
	s_add_i32 s5, s5, 8
	ds_load_b64 v[120:121], v120
	v_cmp_eq_u32_e32 vcc_lo, 0, v117
	s_or_b32 s1, vcc_lo, s1
	s_waitcnt vmcnt(0) lgkmcnt(0)
	v_fma_f64 v[11:12], v[118:119], v[120:121], v[11:12]
	s_and_not1_b32 exec_lo, exec_lo, s1
	s_cbranch_execnz .LBB52_435
; %bb.436:
	s_or_b32 exec_lo, exec_lo, s1
.LBB52_437:
	s_delay_alu instid0(SALU_CYCLE_1)
	s_or_b32 exec_lo, exec_lo, s4
	v_mov_b32_e32 v116, 0
	ds_load_b64 v[116:117], v116 offset:64
	s_waitcnt lgkmcnt(0)
	v_mul_f64 v[11:12], v[11:12], v[116:117]
	scratch_store_b64 off, v[11:12], off offset:64
.LBB52_438:
	s_or_b32 exec_lo, exec_lo, s2
	scratch_load_b64 v[11:12], off, off offset:56
	v_cmp_lt_u32_e64 s1, 7, v0
	s_waitcnt vmcnt(0)
	ds_store_b64 v110, v[11:12]
	s_waitcnt lgkmcnt(0)
	s_waitcnt_vscnt null, 0x0
	s_barrier
	buffer_gl0_inv
	s_and_saveexec_b32 s2, s1
	s_cbranch_execz .LBB52_448
; %bb.439:
	s_and_not1_b32 vcc_lo, exec_lo, s3
	s_cbranch_vccnz .LBB52_441
; %bb.440:
	scratch_load_b64 v[11:12], v111, off
	ds_load_b64 v[116:117], v110
	s_waitcnt vmcnt(0) lgkmcnt(0)
	v_mul_f64 v[11:12], v[11:12], v[116:117]
	s_cbranch_execz .LBB52_442
	s_branch .LBB52_443
.LBB52_441:
                                        ; implicit-def: $vgpr11_vgpr12
.LBB52_442:
	ds_load_b64 v[11:12], v110
.LBB52_443:
	s_and_saveexec_b32 s4, s0
	s_cbranch_execz .LBB52_447
; %bb.444:
	v_add_nc_u32_e32 v116, -8, v0
	s_movk_i32 s5, 0x1f0
	s_mov_b32 s0, 0
.LBB52_445:                             ; =>This Inner Loop Header: Depth=1
	scratch_load_b64 v[117:118], v115, off
	v_dual_mov_b32 v119, s5 :: v_dual_add_nc_u32 v116, -1, v116
	v_add_nc_u32_e32 v115, 8, v115
	s_add_i32 s5, s5, 8
	ds_load_b64 v[119:120], v119
	v_cmp_eq_u32_e32 vcc_lo, 0, v116
	s_or_b32 s0, vcc_lo, s0
	s_waitcnt vmcnt(0) lgkmcnt(0)
	v_fma_f64 v[11:12], v[117:118], v[119:120], v[11:12]
	s_and_not1_b32 exec_lo, exec_lo, s0
	s_cbranch_execnz .LBB52_445
; %bb.446:
	s_or_b32 exec_lo, exec_lo, s0
.LBB52_447:
	s_delay_alu instid0(SALU_CYCLE_1)
	s_or_b32 exec_lo, exec_lo, s4
	v_mov_b32_e32 v115, 0
	ds_load_b64 v[115:116], v115 offset:56
	s_waitcnt lgkmcnt(0)
	v_mul_f64 v[11:12], v[11:12], v[115:116]
	scratch_store_b64 off, v[11:12], off offset:56
.LBB52_448:
	s_or_b32 exec_lo, exec_lo, s2
	scratch_load_b64 v[11:12], off, off offset:48
	v_cmp_lt_u32_e64 s0, 6, v0
	s_waitcnt vmcnt(0)
	ds_store_b64 v110, v[11:12]
	s_waitcnt lgkmcnt(0)
	s_waitcnt_vscnt null, 0x0
	s_barrier
	buffer_gl0_inv
	s_and_saveexec_b32 s2, s0
	s_cbranch_execz .LBB52_458
; %bb.449:
	s_and_not1_b32 vcc_lo, exec_lo, s3
	s_cbranch_vccnz .LBB52_451
; %bb.450:
	scratch_load_b64 v[11:12], v111, off
	ds_load_b64 v[115:116], v110
	s_waitcnt vmcnt(0) lgkmcnt(0)
	v_mul_f64 v[11:12], v[11:12], v[115:116]
	s_cbranch_execz .LBB52_452
	s_branch .LBB52_453
.LBB52_451:
                                        ; implicit-def: $vgpr11_vgpr12
.LBB52_452:
	ds_load_b64 v[11:12], v110
.LBB52_453:
	s_and_saveexec_b32 s4, s1
	s_cbranch_execz .LBB52_457
; %bb.454:
	v_add_nc_u32_e64 v115, 0, 56
	v_add_nc_u32_e32 v116, -7, v0
	s_movk_i32 s5, 0x1e8
	s_mov_b32 s1, 0
.LBB52_455:                             ; =>This Inner Loop Header: Depth=1
	scratch_load_b64 v[117:118], v115, off
	v_dual_mov_b32 v119, s5 :: v_dual_add_nc_u32 v116, -1, v116
	v_add_nc_u32_e32 v115, 8, v115
	s_add_i32 s5, s5, 8
	ds_load_b64 v[119:120], v119
	v_cmp_eq_u32_e32 vcc_lo, 0, v116
	s_or_b32 s1, vcc_lo, s1
	s_waitcnt vmcnt(0) lgkmcnt(0)
	v_fma_f64 v[11:12], v[117:118], v[119:120], v[11:12]
	s_and_not1_b32 exec_lo, exec_lo, s1
	s_cbranch_execnz .LBB52_455
; %bb.456:
	s_or_b32 exec_lo, exec_lo, s1
.LBB52_457:
	s_delay_alu instid0(SALU_CYCLE_1)
	s_or_b32 exec_lo, exec_lo, s4
	v_mov_b32_e32 v115, 0
	ds_load_b64 v[115:116], v115 offset:48
	s_waitcnt lgkmcnt(0)
	v_mul_f64 v[11:12], v[11:12], v[115:116]
	scratch_store_b64 off, v[11:12], off offset:48
.LBB52_458:
	s_or_b32 exec_lo, exec_lo, s2
	scratch_load_b64 v[11:12], off, off offset:40
	v_cmp_lt_u32_e64 s1, 5, v0
	s_waitcnt vmcnt(0)
	ds_store_b64 v110, v[11:12]
	s_waitcnt lgkmcnt(0)
	s_waitcnt_vscnt null, 0x0
	s_barrier
	buffer_gl0_inv
	s_and_saveexec_b32 s2, s1
	s_cbranch_execz .LBB52_468
; %bb.459:
	s_and_not1_b32 vcc_lo, exec_lo, s3
	s_cbranch_vccnz .LBB52_461
; %bb.460:
	scratch_load_b64 v[11:12], v111, off
	ds_load_b64 v[115:116], v110
	s_waitcnt vmcnt(0) lgkmcnt(0)
	v_mul_f64 v[11:12], v[11:12], v[115:116]
	s_cbranch_execz .LBB52_462
	s_branch .LBB52_463
.LBB52_461:
                                        ; implicit-def: $vgpr11_vgpr12
.LBB52_462:
	ds_load_b64 v[11:12], v110
.LBB52_463:
	s_and_saveexec_b32 s4, s0
	s_cbranch_execz .LBB52_467
; %bb.464:
	v_add_nc_u32_e32 v115, -6, v0
	s_movk_i32 s5, 0x1e0
	s_mov_b32 s0, 0
.LBB52_465:                             ; =>This Inner Loop Header: Depth=1
	scratch_load_b64 v[116:117], v114, off
	v_dual_mov_b32 v118, s5 :: v_dual_add_nc_u32 v115, -1, v115
	v_add_nc_u32_e32 v114, 8, v114
	s_add_i32 s5, s5, 8
	ds_load_b64 v[118:119], v118
	v_cmp_eq_u32_e32 vcc_lo, 0, v115
	s_or_b32 s0, vcc_lo, s0
	s_waitcnt vmcnt(0) lgkmcnt(0)
	v_fma_f64 v[11:12], v[116:117], v[118:119], v[11:12]
	s_and_not1_b32 exec_lo, exec_lo, s0
	s_cbranch_execnz .LBB52_465
; %bb.466:
	s_or_b32 exec_lo, exec_lo, s0
.LBB52_467:
	s_delay_alu instid0(SALU_CYCLE_1)
	s_or_b32 exec_lo, exec_lo, s4
	v_mov_b32_e32 v114, 0
	ds_load_b64 v[114:115], v114 offset:40
	s_waitcnt lgkmcnt(0)
	v_mul_f64 v[11:12], v[11:12], v[114:115]
	scratch_store_b64 off, v[11:12], off offset:40
.LBB52_468:
	s_or_b32 exec_lo, exec_lo, s2
	scratch_load_b64 v[11:12], off, off offset:32
	v_cmp_lt_u32_e64 s0, 4, v0
	s_waitcnt vmcnt(0)
	ds_store_b64 v110, v[11:12]
	s_waitcnt lgkmcnt(0)
	s_waitcnt_vscnt null, 0x0
	s_barrier
	buffer_gl0_inv
	s_and_saveexec_b32 s2, s0
	s_cbranch_execz .LBB52_478
; %bb.469:
	s_and_not1_b32 vcc_lo, exec_lo, s3
	s_cbranch_vccnz .LBB52_471
; %bb.470:
	scratch_load_b64 v[11:12], v111, off
	ds_load_b64 v[114:115], v110
	s_waitcnt vmcnt(0) lgkmcnt(0)
	v_mul_f64 v[11:12], v[11:12], v[114:115]
	s_cbranch_execz .LBB52_472
	s_branch .LBB52_473
.LBB52_471:
                                        ; implicit-def: $vgpr11_vgpr12
.LBB52_472:
	ds_load_b64 v[11:12], v110
.LBB52_473:
	s_and_saveexec_b32 s4, s1
	s_cbranch_execz .LBB52_477
; %bb.474:
	v_add_nc_u32_e64 v114, 0, 40
	v_add_nc_u32_e32 v115, -5, v0
	s_movk_i32 s5, 0x1d8
	s_mov_b32 s1, 0
.LBB52_475:                             ; =>This Inner Loop Header: Depth=1
	scratch_load_b64 v[116:117], v114, off
	v_dual_mov_b32 v118, s5 :: v_dual_add_nc_u32 v115, -1, v115
	v_add_nc_u32_e32 v114, 8, v114
	s_add_i32 s5, s5, 8
	ds_load_b64 v[118:119], v118
	v_cmp_eq_u32_e32 vcc_lo, 0, v115
	s_or_b32 s1, vcc_lo, s1
	s_waitcnt vmcnt(0) lgkmcnt(0)
	v_fma_f64 v[11:12], v[116:117], v[118:119], v[11:12]
	s_and_not1_b32 exec_lo, exec_lo, s1
	s_cbranch_execnz .LBB52_475
; %bb.476:
	s_or_b32 exec_lo, exec_lo, s1
.LBB52_477:
	s_delay_alu instid0(SALU_CYCLE_1)
	s_or_b32 exec_lo, exec_lo, s4
	v_mov_b32_e32 v114, 0
	ds_load_b64 v[114:115], v114 offset:32
	s_waitcnt lgkmcnt(0)
	v_mul_f64 v[11:12], v[11:12], v[114:115]
	scratch_store_b64 off, v[11:12], off offset:32
.LBB52_478:
	s_or_b32 exec_lo, exec_lo, s2
	scratch_load_b64 v[11:12], off, off offset:24
	v_cmp_lt_u32_e64 s1, 3, v0
	s_waitcnt vmcnt(0)
	ds_store_b64 v110, v[11:12]
	s_waitcnt lgkmcnt(0)
	s_waitcnt_vscnt null, 0x0
	s_barrier
	buffer_gl0_inv
	s_and_saveexec_b32 s2, s1
	s_cbranch_execz .LBB52_488
; %bb.479:
	s_and_not1_b32 vcc_lo, exec_lo, s3
	s_cbranch_vccnz .LBB52_481
; %bb.480:
	scratch_load_b64 v[11:12], v111, off
	ds_load_b64 v[114:115], v110
	s_waitcnt vmcnt(0) lgkmcnt(0)
	v_mul_f64 v[11:12], v[11:12], v[114:115]
	s_cbranch_execz .LBB52_482
	s_branch .LBB52_483
.LBB52_481:
                                        ; implicit-def: $vgpr11_vgpr12
.LBB52_482:
	ds_load_b64 v[11:12], v110
.LBB52_483:
	s_and_saveexec_b32 s4, s0
	s_cbranch_execz .LBB52_487
; %bb.484:
	v_add_nc_u32_e32 v114, -4, v0
	s_movk_i32 s5, 0x1d0
	s_mov_b32 s0, 0
.LBB52_485:                             ; =>This Inner Loop Header: Depth=1
	scratch_load_b64 v[115:116], v113, off
	v_dual_mov_b32 v117, s5 :: v_dual_add_nc_u32 v114, -1, v114
	v_add_nc_u32_e32 v113, 8, v113
	s_add_i32 s5, s5, 8
	ds_load_b64 v[117:118], v117
	v_cmp_eq_u32_e32 vcc_lo, 0, v114
	s_or_b32 s0, vcc_lo, s0
	s_waitcnt vmcnt(0) lgkmcnt(0)
	v_fma_f64 v[11:12], v[115:116], v[117:118], v[11:12]
	s_and_not1_b32 exec_lo, exec_lo, s0
	s_cbranch_execnz .LBB52_485
; %bb.486:
	s_or_b32 exec_lo, exec_lo, s0
.LBB52_487:
	s_delay_alu instid0(SALU_CYCLE_1)
	s_or_b32 exec_lo, exec_lo, s4
	v_mov_b32_e32 v113, 0
	ds_load_b64 v[113:114], v113 offset:24
	s_waitcnt lgkmcnt(0)
	v_mul_f64 v[11:12], v[11:12], v[113:114]
	scratch_store_b64 off, v[11:12], off offset:24
.LBB52_488:
	s_or_b32 exec_lo, exec_lo, s2
	scratch_load_b64 v[11:12], off, off offset:16
	v_cmp_lt_u32_e64 s0, 2, v0
	s_waitcnt vmcnt(0)
	ds_store_b64 v110, v[11:12]
	s_waitcnt lgkmcnt(0)
	s_waitcnt_vscnt null, 0x0
	s_barrier
	buffer_gl0_inv
	s_and_saveexec_b32 s2, s0
	s_cbranch_execz .LBB52_498
; %bb.489:
	s_and_not1_b32 vcc_lo, exec_lo, s3
	s_cbranch_vccnz .LBB52_491
; %bb.490:
	scratch_load_b64 v[11:12], v111, off
	ds_load_b64 v[113:114], v110
	s_waitcnt vmcnt(0) lgkmcnt(0)
	v_mul_f64 v[11:12], v[11:12], v[113:114]
	s_cbranch_execz .LBB52_492
	s_branch .LBB52_493
.LBB52_491:
                                        ; implicit-def: $vgpr11_vgpr12
.LBB52_492:
	ds_load_b64 v[11:12], v110
.LBB52_493:
	s_and_saveexec_b32 s4, s1
	s_cbranch_execz .LBB52_497
; %bb.494:
	v_add_nc_u32_e64 v113, 0, 24
	v_add_nc_u32_e32 v114, -3, v0
	s_movk_i32 s5, 0x1c8
	s_mov_b32 s1, 0
.LBB52_495:                             ; =>This Inner Loop Header: Depth=1
	scratch_load_b64 v[115:116], v113, off
	v_dual_mov_b32 v117, s5 :: v_dual_add_nc_u32 v114, -1, v114
	v_add_nc_u32_e32 v113, 8, v113
	s_add_i32 s5, s5, 8
	ds_load_b64 v[117:118], v117
	v_cmp_eq_u32_e32 vcc_lo, 0, v114
	s_or_b32 s1, vcc_lo, s1
	s_waitcnt vmcnt(0) lgkmcnt(0)
	v_fma_f64 v[11:12], v[115:116], v[117:118], v[11:12]
	s_and_not1_b32 exec_lo, exec_lo, s1
	s_cbranch_execnz .LBB52_495
; %bb.496:
	s_or_b32 exec_lo, exec_lo, s1
.LBB52_497:
	s_delay_alu instid0(SALU_CYCLE_1)
	s_or_b32 exec_lo, exec_lo, s4
	v_mov_b32_e32 v113, 0
	ds_load_b64 v[113:114], v113 offset:16
	s_waitcnt lgkmcnt(0)
	v_mul_f64 v[11:12], v[11:12], v[113:114]
	scratch_store_b64 off, v[11:12], off offset:16
.LBB52_498:
	s_or_b32 exec_lo, exec_lo, s2
	scratch_load_b64 v[11:12], off, off offset:8
	v_cmp_lt_u32_e64 s1, 1, v0
	s_waitcnt vmcnt(0)
	ds_store_b64 v110, v[11:12]
	s_waitcnt lgkmcnt(0)
	s_waitcnt_vscnt null, 0x0
	s_barrier
	buffer_gl0_inv
	s_and_saveexec_b32 s2, s1
	s_cbranch_execz .LBB52_508
; %bb.499:
	s_and_not1_b32 vcc_lo, exec_lo, s3
	s_cbranch_vccnz .LBB52_501
; %bb.500:
	scratch_load_b64 v[11:12], v111, off
	ds_load_b64 v[113:114], v110
	s_waitcnt vmcnt(0) lgkmcnt(0)
	v_mul_f64 v[11:12], v[11:12], v[113:114]
	s_cbranch_execz .LBB52_502
	s_branch .LBB52_503
.LBB52_501:
                                        ; implicit-def: $vgpr11_vgpr12
.LBB52_502:
	ds_load_b64 v[11:12], v110
.LBB52_503:
	s_and_saveexec_b32 s4, s0
	s_cbranch_execz .LBB52_507
; %bb.504:
	v_add_nc_u32_e32 v113, -2, v0
	s_movk_i32 s5, 0x1c0
	s_mov_b32 s0, 0
.LBB52_505:                             ; =>This Inner Loop Header: Depth=1
	scratch_load_b64 v[114:115], v112, off
	v_dual_mov_b32 v116, s5 :: v_dual_add_nc_u32 v113, -1, v113
	v_add_nc_u32_e32 v112, 8, v112
	s_add_i32 s5, s5, 8
	ds_load_b64 v[116:117], v116
	v_cmp_eq_u32_e32 vcc_lo, 0, v113
	s_or_b32 s0, vcc_lo, s0
	s_waitcnt vmcnt(0) lgkmcnt(0)
	v_fma_f64 v[11:12], v[114:115], v[116:117], v[11:12]
	s_and_not1_b32 exec_lo, exec_lo, s0
	s_cbranch_execnz .LBB52_505
; %bb.506:
	s_or_b32 exec_lo, exec_lo, s0
.LBB52_507:
	s_delay_alu instid0(SALU_CYCLE_1)
	s_or_b32 exec_lo, exec_lo, s4
	v_mov_b32_e32 v112, 0
	ds_load_b64 v[112:113], v112 offset:8
	s_waitcnt lgkmcnt(0)
	v_mul_f64 v[11:12], v[11:12], v[112:113]
	scratch_store_b64 off, v[11:12], off offset:8
.LBB52_508:
	s_or_b32 exec_lo, exec_lo, s2
	scratch_load_b64 v[11:12], off, off
	s_mov_b32 s0, 0
	s_mov_b32 s2, exec_lo
	s_waitcnt vmcnt(0)
	ds_store_b64 v110, v[11:12]
	s_waitcnt lgkmcnt(0)
	s_waitcnt_vscnt null, 0x0
	s_barrier
	buffer_gl0_inv
	v_cmpx_ne_u32_e32 0, v0
	s_cbranch_execz .LBB52_518
; %bb.509:
	s_and_not1_b32 vcc_lo, exec_lo, s3
	s_cbranch_vccnz .LBB52_511
; %bb.510:
	scratch_load_b64 v[11:12], v111, off
	ds_load_b64 v[112:113], v110
	s_waitcnt vmcnt(0) lgkmcnt(0)
	v_mul_f64 v[11:12], v[11:12], v[112:113]
	s_cbranch_execz .LBB52_512
	s_branch .LBB52_513
.LBB52_511:
                                        ; implicit-def: $vgpr11_vgpr12
.LBB52_512:
	ds_load_b64 v[11:12], v110
.LBB52_513:
	s_and_saveexec_b32 s4, s1
	s_cbranch_execz .LBB52_517
; %bb.514:
	v_or_b32_e64 v112, 0, 8
	v_add_nc_u32_e32 v113, -1, v0
	s_movk_i32 s5, 0x1b8
	s_mov_b32 s1, 0
.LBB52_515:                             ; =>This Inner Loop Header: Depth=1
	scratch_load_b64 v[114:115], v112, off
	v_dual_mov_b32 v116, s5 :: v_dual_add_nc_u32 v113, -1, v113
	v_add_nc_u32_e32 v112, 8, v112
	s_add_i32 s5, s5, 8
	ds_load_b64 v[116:117], v116
	v_cmp_eq_u32_e32 vcc_lo, 0, v113
	s_or_b32 s1, vcc_lo, s1
	s_waitcnt vmcnt(0) lgkmcnt(0)
	v_fma_f64 v[11:12], v[114:115], v[116:117], v[11:12]
	s_and_not1_b32 exec_lo, exec_lo, s1
	s_cbranch_execnz .LBB52_515
; %bb.516:
	s_or_b32 exec_lo, exec_lo, s1
.LBB52_517:
	s_delay_alu instid0(SALU_CYCLE_1)
	s_or_b32 exec_lo, exec_lo, s4
	v_mov_b32_e32 v112, 0
	ds_load_b64 v[112:113], v112
	s_waitcnt lgkmcnt(0)
	v_mul_f64 v[11:12], v[11:12], v[112:113]
	scratch_store_b64 off, v[11:12], off
.LBB52_518:
	s_or_b32 exec_lo, exec_lo, s2
.LBB52_519:
	s_delay_alu instid0(SALU_CYCLE_1)
	s_and_b32 vcc_lo, exec_lo, s0
	s_cbranch_vccz .LBB52_1035
; %bb.520:
	scratch_load_b64 v[11:12], off, off offset:8
	v_cmp_eq_u32_e64 s0, 0, v0
	s_waitcnt vmcnt(0)
	ds_store_b64 v110, v[11:12]
	s_waitcnt lgkmcnt(0)
	s_waitcnt_vscnt null, 0x0
	s_barrier
	buffer_gl0_inv
	s_and_saveexec_b32 s1, s0
	s_cbranch_execz .LBB52_526
; %bb.521:
	s_and_b32 vcc_lo, exec_lo, s3
	s_cbranch_vccz .LBB52_523
; %bb.522:
	scratch_load_b64 v[11:12], v111, off
	ds_load_b64 v[112:113], v110
	s_waitcnt vmcnt(0) lgkmcnt(0)
	v_mul_f64 v[11:12], v[11:12], v[112:113]
	s_cbranch_execz .LBB52_524
	s_branch .LBB52_525
.LBB52_523:
                                        ; implicit-def: $vgpr11_vgpr12
.LBB52_524:
	ds_load_b64 v[11:12], v110
.LBB52_525:
	v_mov_b32_e32 v112, 0
	ds_load_b64 v[112:113], v112 offset:8
	s_waitcnt lgkmcnt(0)
	v_mul_f64 v[11:12], v[11:12], v[112:113]
	scratch_store_b64 off, v[11:12], off offset:8
.LBB52_526:
	s_or_b32 exec_lo, exec_lo, s1
	scratch_load_b64 v[11:12], off, off offset:16
	v_cndmask_b32_e64 v112, 0, 1, s3
	s_mov_b32 s1, exec_lo
	s_waitcnt vmcnt(0)
	ds_store_b64 v110, v[11:12]
	s_waitcnt lgkmcnt(0)
	s_waitcnt_vscnt null, 0x0
	s_barrier
	buffer_gl0_inv
	v_cmpx_gt_u32_e32 2, v0
	s_cbranch_execz .LBB52_534
; %bb.527:
	s_and_not1_b32 vcc_lo, exec_lo, s3
	s_cbranch_vccnz .LBB52_529
; %bb.528:
	scratch_load_b64 v[11:12], v111, off
	ds_load_b64 v[113:114], v110
	s_waitcnt vmcnt(0) lgkmcnt(0)
	v_mul_f64 v[11:12], v[11:12], v[113:114]
	s_cbranch_execz .LBB52_530
	s_branch .LBB52_531
.LBB52_529:
                                        ; implicit-def: $vgpr11_vgpr12
.LBB52_530:
	ds_load_b64 v[11:12], v110
.LBB52_531:
	s_and_saveexec_b32 s2, s0
	s_cbranch_execz .LBB52_533
; %bb.532:
	scratch_load_b64 v[113:114], v111, off offset:8
	ds_load_b64 v[115:116], v110 offset:8
	s_waitcnt vmcnt(0) lgkmcnt(0)
	v_fma_f64 v[11:12], v[113:114], v[115:116], v[11:12]
.LBB52_533:
	s_or_b32 exec_lo, exec_lo, s2
	v_mov_b32_e32 v113, 0
	ds_load_b64 v[113:114], v113 offset:16
	s_waitcnt lgkmcnt(0)
	v_mul_f64 v[11:12], v[11:12], v[113:114]
	scratch_store_b64 off, v[11:12], off offset:16
.LBB52_534:
	s_or_b32 exec_lo, exec_lo, s1
	scratch_load_b64 v[11:12], off, off offset:24
	s_mov_b32 s1, exec_lo
	s_waitcnt vmcnt(0)
	ds_store_b64 v110, v[11:12]
	s_waitcnt lgkmcnt(0)
	s_waitcnt_vscnt null, 0x0
	s_barrier
	buffer_gl0_inv
	v_cmpx_gt_u32_e32 3, v0
	s_cbranch_execz .LBB52_544
; %bb.535:
	v_cmp_ne_u32_e32 vcc_lo, 1, v112
	s_cbranch_vccnz .LBB52_537
; %bb.536:
	scratch_load_b64 v[11:12], v111, off
	ds_load_b64 v[113:114], v110
	s_waitcnt vmcnt(0) lgkmcnt(0)
	v_mul_f64 v[11:12], v[11:12], v[113:114]
	s_cbranch_execz .LBB52_538
	s_branch .LBB52_539
.LBB52_537:
                                        ; implicit-def: $vgpr11_vgpr12
.LBB52_538:
	ds_load_b64 v[11:12], v110
.LBB52_539:
	s_mov_b32 s2, exec_lo
	v_cmpx_ne_u32_e32 2, v0
	s_cbranch_execz .LBB52_543
; %bb.540:
	scratch_load_b64 v[113:114], v111, off offset:8
	ds_load_b64 v[115:116], v110 offset:8
	s_waitcnt vmcnt(0) lgkmcnt(0)
	v_fma_f64 v[11:12], v[113:114], v[115:116], v[11:12]
	s_and_saveexec_b32 s3, s0
	s_cbranch_execz .LBB52_542
; %bb.541:
	scratch_load_b64 v[113:114], off, off offset:16
	v_mov_b32_e32 v115, 0
	ds_load_b64 v[115:116], v115 offset:448
	s_waitcnt vmcnt(0) lgkmcnt(0)
	v_fma_f64 v[11:12], v[113:114], v[115:116], v[11:12]
.LBB52_542:
	s_or_b32 exec_lo, exec_lo, s3
.LBB52_543:
	s_delay_alu instid0(SALU_CYCLE_1)
	s_or_b32 exec_lo, exec_lo, s2
	v_mov_b32_e32 v113, 0
	ds_load_b64 v[113:114], v113 offset:24
	s_waitcnt lgkmcnt(0)
	v_mul_f64 v[11:12], v[11:12], v[113:114]
	scratch_store_b64 off, v[11:12], off offset:24
.LBB52_544:
	s_or_b32 exec_lo, exec_lo, s1
	scratch_load_b64 v[11:12], off, off offset:32
	s_mov_b32 s0, exec_lo
	s_waitcnt vmcnt(0)
	ds_store_b64 v110, v[11:12]
	s_waitcnt lgkmcnt(0)
	s_waitcnt_vscnt null, 0x0
	s_barrier
	buffer_gl0_inv
	v_cmpx_gt_u32_e32 4, v0
	s_cbranch_execz .LBB52_554
; %bb.545:
	v_cmp_ne_u32_e32 vcc_lo, 1, v112
	s_cbranch_vccnz .LBB52_547
; %bb.546:
	scratch_load_b64 v[11:12], v111, off
	ds_load_b64 v[113:114], v110
	s_waitcnt vmcnt(0) lgkmcnt(0)
	v_mul_f64 v[11:12], v[11:12], v[113:114]
	s_cbranch_execz .LBB52_548
	s_branch .LBB52_549
.LBB52_547:
                                        ; implicit-def: $vgpr11_vgpr12
.LBB52_548:
	ds_load_b64 v[11:12], v110
.LBB52_549:
	s_mov_b32 s1, exec_lo
	v_cmpx_ne_u32_e32 3, v0
	s_cbranch_execz .LBB52_553
; %bb.550:
	v_add_nc_u32_e32 v113, 0x1b8, v109
	v_add3_u32 v114, 0, v109, 8
	v_mov_b32_e32 v115, v0
	s_mov_b32 s2, 0
.LBB52_551:                             ; =>This Inner Loop Header: Depth=1
	scratch_load_b64 v[116:117], v114, off
	ds_load_b64 v[118:119], v113
	v_add_nc_u32_e32 v115, 1, v115
	v_add_nc_u32_e32 v113, 8, v113
	v_add_nc_u32_e32 v114, 8, v114
	s_delay_alu instid0(VALU_DEP_3)
	v_cmp_lt_u32_e32 vcc_lo, 2, v115
	s_or_b32 s2, vcc_lo, s2
	s_waitcnt vmcnt(0) lgkmcnt(0)
	v_fma_f64 v[11:12], v[116:117], v[118:119], v[11:12]
	s_and_not1_b32 exec_lo, exec_lo, s2
	s_cbranch_execnz .LBB52_551
; %bb.552:
	s_or_b32 exec_lo, exec_lo, s2
.LBB52_553:
	s_delay_alu instid0(SALU_CYCLE_1)
	s_or_b32 exec_lo, exec_lo, s1
	v_mov_b32_e32 v113, 0
	ds_load_b64 v[113:114], v113 offset:32
	s_waitcnt lgkmcnt(0)
	v_mul_f64 v[11:12], v[11:12], v[113:114]
	scratch_store_b64 off, v[11:12], off offset:32
.LBB52_554:
	s_or_b32 exec_lo, exec_lo, s0
	scratch_load_b64 v[11:12], off, off offset:40
	s_mov_b32 s0, exec_lo
	s_waitcnt vmcnt(0)
	ds_store_b64 v110, v[11:12]
	s_waitcnt lgkmcnt(0)
	s_waitcnt_vscnt null, 0x0
	s_barrier
	buffer_gl0_inv
	v_cmpx_gt_u32_e32 5, v0
	s_cbranch_execz .LBB52_564
; %bb.555:
	v_cmp_ne_u32_e32 vcc_lo, 1, v112
	s_cbranch_vccnz .LBB52_557
; %bb.556:
	scratch_load_b64 v[11:12], v111, off
	ds_load_b64 v[113:114], v110
	s_waitcnt vmcnt(0) lgkmcnt(0)
	v_mul_f64 v[11:12], v[11:12], v[113:114]
	s_cbranch_execz .LBB52_558
	s_branch .LBB52_559
.LBB52_557:
                                        ; implicit-def: $vgpr11_vgpr12
.LBB52_558:
	ds_load_b64 v[11:12], v110
.LBB52_559:
	s_mov_b32 s1, exec_lo
	v_cmpx_ne_u32_e32 4, v0
	s_cbranch_execz .LBB52_563
; %bb.560:
	v_add_nc_u32_e32 v113, 0x1b8, v109
	v_add3_u32 v114, 0, v109, 8
	v_mov_b32_e32 v115, v0
	s_mov_b32 s2, 0
.LBB52_561:                             ; =>This Inner Loop Header: Depth=1
	scratch_load_b64 v[116:117], v114, off
	ds_load_b64 v[118:119], v113
	v_add_nc_u32_e32 v115, 1, v115
	v_add_nc_u32_e32 v113, 8, v113
	v_add_nc_u32_e32 v114, 8, v114
	s_delay_alu instid0(VALU_DEP_3)
	v_cmp_lt_u32_e32 vcc_lo, 3, v115
	s_or_b32 s2, vcc_lo, s2
	s_waitcnt vmcnt(0) lgkmcnt(0)
	v_fma_f64 v[11:12], v[116:117], v[118:119], v[11:12]
	s_and_not1_b32 exec_lo, exec_lo, s2
	s_cbranch_execnz .LBB52_561
; %bb.562:
	s_or_b32 exec_lo, exec_lo, s2
.LBB52_563:
	s_delay_alu instid0(SALU_CYCLE_1)
	s_or_b32 exec_lo, exec_lo, s1
	v_mov_b32_e32 v113, 0
	ds_load_b64 v[113:114], v113 offset:40
	s_waitcnt lgkmcnt(0)
	v_mul_f64 v[11:12], v[11:12], v[113:114]
	scratch_store_b64 off, v[11:12], off offset:40
.LBB52_564:
	;; [unrolled: 58-line block ×45, first 2 shown]
	s_or_b32 exec_lo, exec_lo, s0
	scratch_load_b64 v[11:12], off, off offset:392
	s_mov_b32 s0, exec_lo
	s_waitcnt vmcnt(0)
	ds_store_b64 v110, v[11:12]
	s_waitcnt lgkmcnt(0)
	s_waitcnt_vscnt null, 0x0
	s_barrier
	buffer_gl0_inv
	v_cmpx_gt_u32_e32 49, v0
	s_cbranch_execz .LBB52_1004
; %bb.995:
	v_cmp_ne_u32_e32 vcc_lo, 1, v112
	s_cbranch_vccnz .LBB52_997
; %bb.996:
	scratch_load_b64 v[11:12], v111, off
	ds_load_b64 v[113:114], v110
	s_waitcnt vmcnt(0) lgkmcnt(0)
	v_mul_f64 v[11:12], v[11:12], v[113:114]
	s_cbranch_execz .LBB52_998
	s_branch .LBB52_999
.LBB52_997:
                                        ; implicit-def: $vgpr11_vgpr12
.LBB52_998:
	ds_load_b64 v[11:12], v110
.LBB52_999:
	s_mov_b32 s1, exec_lo
	v_cmpx_ne_u32_e32 48, v0
	s_cbranch_execz .LBB52_1003
; %bb.1000:
	v_add_nc_u32_e32 v113, 0x1b8, v109
	v_add3_u32 v114, 0, v109, 8
	v_mov_b32_e32 v115, v0
	s_mov_b32 s2, 0
.LBB52_1001:                            ; =>This Inner Loop Header: Depth=1
	scratch_load_b64 v[116:117], v114, off
	ds_load_b64 v[118:119], v113
	v_add_nc_u32_e32 v115, 1, v115
	v_add_nc_u32_e32 v113, 8, v113
	;; [unrolled: 1-line block ×3, first 2 shown]
	s_delay_alu instid0(VALU_DEP_3)
	v_cmp_lt_u32_e32 vcc_lo, 47, v115
	s_or_b32 s2, vcc_lo, s2
	s_waitcnt vmcnt(0) lgkmcnt(0)
	v_fma_f64 v[11:12], v[116:117], v[118:119], v[11:12]
	s_and_not1_b32 exec_lo, exec_lo, s2
	s_cbranch_execnz .LBB52_1001
; %bb.1002:
	s_or_b32 exec_lo, exec_lo, s2
.LBB52_1003:
	s_delay_alu instid0(SALU_CYCLE_1)
	s_or_b32 exec_lo, exec_lo, s1
	v_mov_b32_e32 v113, 0
	ds_load_b64 v[113:114], v113 offset:392
	s_waitcnt lgkmcnt(0)
	v_mul_f64 v[11:12], v[11:12], v[113:114]
	scratch_store_b64 off, v[11:12], off offset:392
.LBB52_1004:
	s_or_b32 exec_lo, exec_lo, s0
	scratch_load_b64 v[11:12], off, off offset:400
	s_mov_b32 s0, exec_lo
	s_waitcnt vmcnt(0)
	ds_store_b64 v110, v[11:12]
	s_waitcnt lgkmcnt(0)
	s_waitcnt_vscnt null, 0x0
	s_barrier
	buffer_gl0_inv
	v_cmpx_gt_u32_e32 50, v0
	s_cbranch_execz .LBB52_1014
; %bb.1005:
	v_cmp_ne_u32_e32 vcc_lo, 1, v112
	s_cbranch_vccnz .LBB52_1007
; %bb.1006:
	scratch_load_b64 v[11:12], v111, off
	ds_load_b64 v[113:114], v110
	s_waitcnt vmcnt(0) lgkmcnt(0)
	v_mul_f64 v[11:12], v[11:12], v[113:114]
	s_cbranch_execz .LBB52_1008
	s_branch .LBB52_1009
.LBB52_1007:
                                        ; implicit-def: $vgpr11_vgpr12
.LBB52_1008:
	ds_load_b64 v[11:12], v110
.LBB52_1009:
	s_mov_b32 s1, exec_lo
	v_cmpx_ne_u32_e32 49, v0
	s_cbranch_execz .LBB52_1013
; %bb.1010:
	v_add_nc_u32_e32 v113, 0x1b8, v109
	v_add3_u32 v114, 0, v109, 8
	v_mov_b32_e32 v115, v0
	s_mov_b32 s2, 0
.LBB52_1011:                            ; =>This Inner Loop Header: Depth=1
	scratch_load_b64 v[116:117], v114, off
	ds_load_b64 v[118:119], v113
	v_add_nc_u32_e32 v115, 1, v115
	v_add_nc_u32_e32 v113, 8, v113
	;; [unrolled: 1-line block ×3, first 2 shown]
	s_delay_alu instid0(VALU_DEP_3)
	v_cmp_lt_u32_e32 vcc_lo, 48, v115
	s_or_b32 s2, vcc_lo, s2
	s_waitcnt vmcnt(0) lgkmcnt(0)
	v_fma_f64 v[11:12], v[116:117], v[118:119], v[11:12]
	s_and_not1_b32 exec_lo, exec_lo, s2
	s_cbranch_execnz .LBB52_1011
; %bb.1012:
	s_or_b32 exec_lo, exec_lo, s2
.LBB52_1013:
	s_delay_alu instid0(SALU_CYCLE_1)
	s_or_b32 exec_lo, exec_lo, s1
	v_mov_b32_e32 v113, 0
	ds_load_b64 v[113:114], v113 offset:400
	s_waitcnt lgkmcnt(0)
	v_mul_f64 v[11:12], v[11:12], v[113:114]
	scratch_store_b64 off, v[11:12], off offset:400
.LBB52_1014:
	s_or_b32 exec_lo, exec_lo, s0
	scratch_load_b64 v[11:12], off, off offset:408
	v_cmp_gt_u32_e64 s0, 51, v0
	s_waitcnt vmcnt(0)
	ds_store_b64 v110, v[11:12]
	s_waitcnt lgkmcnt(0)
	s_waitcnt_vscnt null, 0x0
	s_barrier
	buffer_gl0_inv
	s_and_saveexec_b32 s1, s0
	s_cbranch_execz .LBB52_1024
; %bb.1015:
	v_cmp_ne_u32_e32 vcc_lo, 1, v112
	s_cbranch_vccnz .LBB52_1017
; %bb.1016:
	scratch_load_b64 v[11:12], v111, off
	ds_load_b64 v[113:114], v110
	s_waitcnt vmcnt(0) lgkmcnt(0)
	v_mul_f64 v[11:12], v[11:12], v[113:114]
	s_cbranch_execz .LBB52_1018
	s_branch .LBB52_1019
.LBB52_1017:
                                        ; implicit-def: $vgpr11_vgpr12
.LBB52_1018:
	ds_load_b64 v[11:12], v110
.LBB52_1019:
	s_mov_b32 s2, exec_lo
	v_cmpx_ne_u32_e32 50, v0
	s_cbranch_execz .LBB52_1023
; %bb.1020:
	v_add_nc_u32_e32 v113, 0x1b8, v109
	v_add3_u32 v114, 0, v109, 8
	v_mov_b32_e32 v115, v0
	s_mov_b32 s3, 0
.LBB52_1021:                            ; =>This Inner Loop Header: Depth=1
	scratch_load_b64 v[116:117], v114, off
	ds_load_b64 v[118:119], v113
	v_add_nc_u32_e32 v115, 1, v115
	v_add_nc_u32_e32 v113, 8, v113
	;; [unrolled: 1-line block ×3, first 2 shown]
	s_delay_alu instid0(VALU_DEP_3)
	v_cmp_lt_u32_e32 vcc_lo, 49, v115
	s_or_b32 s3, vcc_lo, s3
	s_waitcnt vmcnt(0) lgkmcnt(0)
	v_fma_f64 v[11:12], v[116:117], v[118:119], v[11:12]
	s_and_not1_b32 exec_lo, exec_lo, s3
	s_cbranch_execnz .LBB52_1021
; %bb.1022:
	s_or_b32 exec_lo, exec_lo, s3
.LBB52_1023:
	s_delay_alu instid0(SALU_CYCLE_1)
	s_or_b32 exec_lo, exec_lo, s2
	v_mov_b32_e32 v113, 0
	ds_load_b64 v[113:114], v113 offset:408
	s_waitcnt lgkmcnt(0)
	v_mul_f64 v[11:12], v[11:12], v[113:114]
	scratch_store_b64 off, v[11:12], off offset:408
.LBB52_1024:
	s_or_b32 exec_lo, exec_lo, s1
	scratch_load_b64 v[11:12], off, off offset:416
	s_mov_b32 s1, exec_lo
	s_waitcnt vmcnt(0)
	ds_store_b64 v110, v[11:12]
	s_waitcnt lgkmcnt(0)
	s_waitcnt_vscnt null, 0x0
	s_barrier
	buffer_gl0_inv
	v_cmpx_ne_u32_e32 52, v0
	s_cbranch_execz .LBB52_1034
; %bb.1025:
	v_cmp_ne_u32_e32 vcc_lo, 1, v112
	s_cbranch_vccnz .LBB52_1027
; %bb.1026:
	scratch_load_b64 v[11:12], v111, off
	ds_load_b64 v[111:112], v110
	s_waitcnt vmcnt(0) lgkmcnt(0)
	v_mul_f64 v[11:12], v[11:12], v[111:112]
	s_cbranch_execz .LBB52_1028
	s_branch .LBB52_1029
.LBB52_1027:
                                        ; implicit-def: $vgpr11_vgpr12
.LBB52_1028:
	ds_load_b64 v[11:12], v110
.LBB52_1029:
	s_and_saveexec_b32 s2, s0
	s_cbranch_execz .LBB52_1033
; %bb.1030:
	v_add_nc_u32_e32 v110, 0x1b8, v109
	v_add3_u32 v109, 0, v109, 8
	s_mov_b32 s0, 0
.LBB52_1031:                            ; =>This Inner Loop Header: Depth=1
	scratch_load_b64 v[111:112], v109, off
	ds_load_b64 v[113:114], v110
	v_add_nc_u32_e32 v0, 1, v0
	v_add_nc_u32_e32 v110, 8, v110
	;; [unrolled: 1-line block ×3, first 2 shown]
	s_delay_alu instid0(VALU_DEP_3)
	v_cmp_lt_u32_e32 vcc_lo, 50, v0
	s_or_b32 s0, vcc_lo, s0
	s_waitcnt vmcnt(0) lgkmcnt(0)
	v_fma_f64 v[11:12], v[111:112], v[113:114], v[11:12]
	s_and_not1_b32 exec_lo, exec_lo, s0
	s_cbranch_execnz .LBB52_1031
; %bb.1032:
	s_or_b32 exec_lo, exec_lo, s0
.LBB52_1033:
	s_delay_alu instid0(SALU_CYCLE_1)
	s_or_b32 exec_lo, exec_lo, s2
	v_mov_b32_e32 v0, 0
	ds_load_b64 v[109:110], v0 offset:416
	s_waitcnt lgkmcnt(0)
	v_mul_f64 v[11:12], v[11:12], v[109:110]
	scratch_store_b64 off, v[11:12], off offset:416
.LBB52_1034:
	s_or_b32 exec_lo, exec_lo, s1
.LBB52_1035:
	s_clause 0xb
	scratch_load_b128 v[109:112], off, off
	scratch_load_b128 v[113:116], off, off offset:16
	scratch_load_b128 v[117:120], off, off offset:32
	;; [unrolled: 1-line block ×11, first 2 shown]
	s_waitcnt vmcnt(11)
	s_clause 0x1
	global_store_b64 v[15:16], v[109:110], off
	global_store_b64 v[19:20], v[111:112], off
	scratch_load_b128 v[109:112], off, off offset:144
	s_waitcnt vmcnt(11)
	s_clause 0x1
	global_store_b64 v[13:14], v[113:114], off
	global_store_b64 v[17:18], v[115:116], off
	s_waitcnt vmcnt(10)
	s_clause 0x1
	global_store_b64 v[21:22], v[117:118], off
	global_store_b64 v[23:24], v[119:120], off
	;; [unrolled: 4-line block ×7, first 2 shown]
	scratch_load_b128 v[137:140], off, off offset:368
	s_waitcnt vmcnt(5)
	s_clause 0x1
	global_store_b64 v[45:46], v[141:142], off
	global_store_b64 v[39:40], v[143:144], off
	s_clause 0xc
	scratch_load_b128 v[11:14], off, off offset:160
	scratch_load_b128 v[15:18], off, off offset:176
	;; [unrolled: 1-line block ×12, first 2 shown]
	scratch_load_b64 v[31:32], off, off offset:416
	s_waitcnt vmcnt(14)
	s_clause 0x1
	global_store_b64 v[33:34], v[109:110], off
	global_store_b64 v[35:36], v[111:112], off
	s_waitcnt vmcnt(12)
	s_clause 0x1
	global_store_b64 v[37:38], v[11:12], off
	global_store_b64 v[41:42], v[13:14], off
	;; [unrolled: 4-line block ×11, first 2 shown]
	global_store_b64 v[93:94], v[145:146], off
	global_store_b64 v[95:96], v[147:148], off
	s_waitcnt vmcnt(2)
	s_clause 0x7
	global_store_b64 v[97:98], v[133:134], off
	global_store_b64 v[99:100], v[135:136], off
	;; [unrolled: 1-line block ×8, first 2 shown]
	s_waitcnt vmcnt(1)
	s_clause 0x1
	global_store_b64 v[5:6], v[141:142], off
	global_store_b64 v[7:8], v[143:144], off
	s_waitcnt vmcnt(0)
	global_store_b64 v[9:10], v[31:32], off
.LBB52_1036:
	s_endpgm
	.section	.rodata,"a",@progbits
	.p2align	6, 0x0
	.amdhsa_kernel _ZN9rocsolver6v33100L18trti2_kernel_smallILi53EdPdEEv13rocblas_fill_17rocblas_diagonal_T1_iil
		.amdhsa_group_segment_fixed_size 856
		.amdhsa_private_segment_fixed_size 432
		.amdhsa_kernarg_size 32
		.amdhsa_user_sgpr_count 15
		.amdhsa_user_sgpr_dispatch_ptr 0
		.amdhsa_user_sgpr_queue_ptr 0
		.amdhsa_user_sgpr_kernarg_segment_ptr 1
		.amdhsa_user_sgpr_dispatch_id 0
		.amdhsa_user_sgpr_private_segment_size 0
		.amdhsa_wavefront_size32 1
		.amdhsa_uses_dynamic_stack 0
		.amdhsa_enable_private_segment 1
		.amdhsa_system_sgpr_workgroup_id_x 1
		.amdhsa_system_sgpr_workgroup_id_y 0
		.amdhsa_system_sgpr_workgroup_id_z 0
		.amdhsa_system_sgpr_workgroup_info 0
		.amdhsa_system_vgpr_workitem_id 0
		.amdhsa_next_free_vgpr 157
		.amdhsa_next_free_sgpr 24
		.amdhsa_reserve_vcc 1
		.amdhsa_float_round_mode_32 0
		.amdhsa_float_round_mode_16_64 0
		.amdhsa_float_denorm_mode_32 3
		.amdhsa_float_denorm_mode_16_64 3
		.amdhsa_dx10_clamp 1
		.amdhsa_ieee_mode 1
		.amdhsa_fp16_overflow 0
		.amdhsa_workgroup_processor_mode 1
		.amdhsa_memory_ordered 1
		.amdhsa_forward_progress 0
		.amdhsa_shared_vgpr_count 0
		.amdhsa_exception_fp_ieee_invalid_op 0
		.amdhsa_exception_fp_denorm_src 0
		.amdhsa_exception_fp_ieee_div_zero 0
		.amdhsa_exception_fp_ieee_overflow 0
		.amdhsa_exception_fp_ieee_underflow 0
		.amdhsa_exception_fp_ieee_inexact 0
		.amdhsa_exception_int_div_zero 0
	.end_amdhsa_kernel
	.section	.text._ZN9rocsolver6v33100L18trti2_kernel_smallILi53EdPdEEv13rocblas_fill_17rocblas_diagonal_T1_iil,"axG",@progbits,_ZN9rocsolver6v33100L18trti2_kernel_smallILi53EdPdEEv13rocblas_fill_17rocblas_diagonal_T1_iil,comdat
.Lfunc_end52:
	.size	_ZN9rocsolver6v33100L18trti2_kernel_smallILi53EdPdEEv13rocblas_fill_17rocblas_diagonal_T1_iil, .Lfunc_end52-_ZN9rocsolver6v33100L18trti2_kernel_smallILi53EdPdEEv13rocblas_fill_17rocblas_diagonal_T1_iil
                                        ; -- End function
	.section	.AMDGPU.csdata,"",@progbits
; Kernel info:
; codeLenInByte = 28976
; NumSgprs: 26
; NumVgprs: 157
; ScratchSize: 432
; MemoryBound: 0
; FloatMode: 240
; IeeeMode: 1
; LDSByteSize: 856 bytes/workgroup (compile time only)
; SGPRBlocks: 3
; VGPRBlocks: 19
; NumSGPRsForWavesPerEU: 26
; NumVGPRsForWavesPerEU: 157
; Occupancy: 9
; WaveLimiterHint : 0
; COMPUTE_PGM_RSRC2:SCRATCH_EN: 1
; COMPUTE_PGM_RSRC2:USER_SGPR: 15
; COMPUTE_PGM_RSRC2:TRAP_HANDLER: 0
; COMPUTE_PGM_RSRC2:TGID_X_EN: 1
; COMPUTE_PGM_RSRC2:TGID_Y_EN: 0
; COMPUTE_PGM_RSRC2:TGID_Z_EN: 0
; COMPUTE_PGM_RSRC2:TIDIG_COMP_CNT: 0
	.section	.text._ZN9rocsolver6v33100L18trti2_kernel_smallILi54EdPdEEv13rocblas_fill_17rocblas_diagonal_T1_iil,"axG",@progbits,_ZN9rocsolver6v33100L18trti2_kernel_smallILi54EdPdEEv13rocblas_fill_17rocblas_diagonal_T1_iil,comdat
	.globl	_ZN9rocsolver6v33100L18trti2_kernel_smallILi54EdPdEEv13rocblas_fill_17rocblas_diagonal_T1_iil ; -- Begin function _ZN9rocsolver6v33100L18trti2_kernel_smallILi54EdPdEEv13rocblas_fill_17rocblas_diagonal_T1_iil
	.p2align	8
	.type	_ZN9rocsolver6v33100L18trti2_kernel_smallILi54EdPdEEv13rocblas_fill_17rocblas_diagonal_T1_iil,@function
_ZN9rocsolver6v33100L18trti2_kernel_smallILi54EdPdEEv13rocblas_fill_17rocblas_diagonal_T1_iil: ; @_ZN9rocsolver6v33100L18trti2_kernel_smallILi54EdPdEEv13rocblas_fill_17rocblas_diagonal_T1_iil
; %bb.0:
	s_mov_b32 s2, exec_lo
	v_cmpx_gt_u32_e32 54, v0
	s_cbranch_execz .LBB53_1056
; %bb.1:
	s_load_b256 s[0:7], s[0:1], 0x0
	s_ashr_i32 s8, s15, 31
	v_lshlrev_b32_e32 v111, 3, v0
	s_waitcnt lgkmcnt(0)
	s_mul_i32 s7, s15, s7
	s_mul_hi_u32 s9, s15, s6
	s_mul_i32 s8, s8, s6
	s_add_i32 s7, s9, s7
	s_mul_i32 s6, s15, s6
	s_add_i32 s7, s7, s8
	s_ashr_i32 s9, s4, 31
	s_lshl_b64 s[6:7], s[6:7], 3
	s_mov_b32 s8, s4
	s_add_u32 s4, s2, s6
	s_addc_u32 s7, s3, s7
	s_lshl_b64 s[2:3], s[8:9], 3
	v_add3_u32 v5, s5, s5, v0
	s_add_u32 s2, s4, s2
	s_addc_u32 s3, s7, s3
	v_add_co_u32 v13, s4, s2, v111
	s_mov_b32 s6, s5
	s_ashr_i32 s7, s5, 31
	v_add_co_ci_u32_e64 v14, null, s3, 0, s4
	s_lshl_b64 s[6:7], s[6:7], 3
	v_add_nc_u32_e32 v7, s5, v5
	v_add_co_u32 v15, vcc_lo, v13, s6
	v_ashrrev_i32_e32 v6, 31, v5
	v_add_co_ci_u32_e32 v16, vcc_lo, s7, v14, vcc_lo
	s_delay_alu instid0(VALU_DEP_4)
	v_ashrrev_i32_e32 v8, 31, v7
	s_clause 0x1
	global_load_b64 v[1:2], v111, s[2:3]
	global_load_b64 v[3:4], v[15:16], off
	v_lshlrev_b64 v[5:6], 3, v[5:6]
	v_add_nc_u32_e32 v9, s5, v7
	v_lshlrev_b64 v[7:8], 3, v[7:8]
	s_cmpk_lg_i32 s1, 0x84
	s_delay_alu instid0(VALU_DEP_3) | instskip(NEXT) | instid1(VALU_DEP_4)
	v_add_co_u32 v17, vcc_lo, s2, v5
	v_add_co_ci_u32_e32 v18, vcc_lo, s3, v6, vcc_lo
	s_delay_alu instid0(VALU_DEP_3) | instskip(NEXT) | instid1(VALU_DEP_4)
	v_add_co_u32 v19, vcc_lo, s2, v7
	v_add_co_ci_u32_e32 v20, vcc_lo, s3, v8, vcc_lo
	s_clause 0x1
	global_load_b64 v[5:6], v[17:18], off
	global_load_b64 v[7:8], v[19:20], off
	v_add_nc_u32_e32 v21, s5, v9
	v_ashrrev_i32_e32 v10, 31, v9
	s_delay_alu instid0(VALU_DEP_2) | instskip(SKIP_1) | instid1(VALU_DEP_3)
	v_add_nc_u32_e32 v23, s5, v21
	v_ashrrev_i32_e32 v22, 31, v21
	v_lshlrev_b64 v[9:10], 3, v[9:10]
	s_delay_alu instid0(VALU_DEP_3) | instskip(SKIP_1) | instid1(VALU_DEP_4)
	v_add_nc_u32_e32 v11, s5, v23
	v_ashrrev_i32_e32 v24, 31, v23
	v_lshlrev_b64 v[25:26], 3, v[21:22]
	s_delay_alu instid0(VALU_DEP_4) | instskip(NEXT) | instid1(VALU_DEP_4)
	v_add_co_u32 v21, vcc_lo, s2, v9
	v_add_nc_u32_e32 v28, s5, v11
	s_delay_alu instid0(VALU_DEP_4) | instskip(SKIP_2) | instid1(VALU_DEP_4)
	v_lshlrev_b64 v[58:59], 3, v[23:24]
	v_ashrrev_i32_e32 v12, 31, v11
	v_add_co_ci_u32_e32 v22, vcc_lo, s3, v10, vcc_lo
	v_add_nc_u32_e32 v27, s5, v28
	v_add_co_u32 v23, vcc_lo, s2, v25
	v_ashrrev_i32_e32 v29, 31, v28
	v_add_co_ci_u32_e32 v24, vcc_lo, s3, v26, vcc_lo
	s_delay_alu instid0(VALU_DEP_4) | instskip(SKIP_3) | instid1(VALU_DEP_4)
	v_add_nc_u32_e32 v31, s5, v27
	v_lshlrev_b64 v[64:65], 3, v[11:12]
	v_add_co_u32 v25, vcc_lo, s2, v58
	v_add_co_ci_u32_e32 v26, vcc_lo, s3, v59, vcc_lo
	v_add_nc_u32_e32 v33, s5, v31
	v_lshlrev_b64 v[58:59], 3, v[28:29]
	v_ashrrev_i32_e32 v28, 31, v27
	v_add_co_u32 v29, vcc_lo, s2, v64
	s_delay_alu instid0(VALU_DEP_4) | instskip(SKIP_1) | instid1(VALU_DEP_4)
	v_add_nc_u32_e32 v35, s5, v33
	v_add_co_ci_u32_e32 v30, vcc_lo, s3, v65, vcc_lo
	v_lshlrev_b64 v[64:65], 3, v[27:28]
	v_ashrrev_i32_e32 v32, 31, v31
	s_delay_alu instid0(VALU_DEP_4) | instskip(SKIP_3) | instid1(VALU_DEP_4)
	v_add_nc_u32_e32 v37, s5, v35
	v_add_co_u32 v27, vcc_lo, s2, v58
	v_ashrrev_i32_e32 v34, 31, v33
	v_add_co_ci_u32_e32 v28, vcc_lo, s3, v59, vcc_lo
	v_add_nc_u32_e32 v39, s5, v37
	v_lshlrev_b64 v[58:59], 3, v[31:32]
	v_add_co_u32 v31, vcc_lo, s2, v64
	v_add_co_ci_u32_e32 v32, vcc_lo, s3, v65, vcc_lo
	s_delay_alu instid0(VALU_DEP_4) | instskip(SKIP_3) | instid1(VALU_DEP_4)
	v_add_nc_u32_e32 v41, s5, v39
	v_lshlrev_b64 v[64:65], 3, v[33:34]
	v_ashrrev_i32_e32 v36, 31, v35
	v_add_co_u32 v33, vcc_lo, s2, v58
	v_add_nc_u32_e32 v43, s5, v41
	v_ashrrev_i32_e32 v38, 31, v37
	s_clause 0x1
	global_load_b64 v[9:10], v[21:22], off
	global_load_b64 v[11:12], v[23:24], off
	v_add_co_ci_u32_e32 v34, vcc_lo, s3, v59, vcc_lo
	v_add_nc_u32_e32 v45, s5, v43
	v_lshlrev_b64 v[58:59], 3, v[35:36]
	v_add_co_u32 v35, vcc_lo, s2, v64
	v_add_co_ci_u32_e32 v36, vcc_lo, s3, v65, vcc_lo
	s_delay_alu instid0(VALU_DEP_4) | instskip(SKIP_3) | instid1(VALU_DEP_4)
	v_add_nc_u32_e32 v47, s5, v45
	v_lshlrev_b64 v[64:65], 3, v[37:38]
	v_ashrrev_i32_e32 v40, 31, v39
	v_add_co_u32 v37, vcc_lo, s2, v58
	v_add_nc_u32_e32 v49, s5, v47
	v_ashrrev_i32_e32 v42, 31, v41
	v_add_co_ci_u32_e32 v38, vcc_lo, s3, v59, vcc_lo
	v_lshlrev_b64 v[58:59], 3, v[39:40]
	s_delay_alu instid0(VALU_DEP_4)
	v_add_nc_u32_e32 v51, s5, v49
	v_add_co_u32 v39, vcc_lo, s2, v64
	s_clause 0x3
	global_load_b64 v[88:89], v[25:26], off
	global_load_b64 v[90:91], v[29:30], off
	;; [unrolled: 1-line block ×4, first 2 shown]
	v_add_nc_u32_e32 v53, s5, v51
	v_add_co_ci_u32_e32 v40, vcc_lo, s3, v65, vcc_lo
	v_lshlrev_b64 v[64:65], 3, v[41:42]
	v_ashrrev_i32_e32 v44, 31, v43
	s_delay_alu instid0(VALU_DEP_4) | instskip(SKIP_3) | instid1(VALU_DEP_4)
	v_add_nc_u32_e32 v55, s5, v53
	v_add_co_u32 v41, vcc_lo, s2, v58
	v_ashrrev_i32_e32 v46, 31, v45
	v_add_co_ci_u32_e32 v42, vcc_lo, s3, v59, vcc_lo
	v_add_nc_u32_e32 v57, s5, v55
	v_lshlrev_b64 v[58:59], 3, v[43:44]
	v_add_co_u32 v43, vcc_lo, s2, v64
	v_add_co_ci_u32_e32 v44, vcc_lo, s3, v65, vcc_lo
	s_delay_alu instid0(VALU_DEP_4) | instskip(SKIP_3) | instid1(VALU_DEP_4)
	v_add_nc_u32_e32 v61, s5, v57
	v_lshlrev_b64 v[64:65], 3, v[45:46]
	v_ashrrev_i32_e32 v48, 31, v47
	v_add_co_u32 v45, vcc_lo, s2, v58
	v_add_nc_u32_e32 v63, s5, v61
	v_ashrrev_i32_e32 v50, 31, v49
	v_add_co_ci_u32_e32 v46, vcc_lo, s3, v59, vcc_lo
	v_lshlrev_b64 v[58:59], 3, v[47:48]
	s_delay_alu instid0(VALU_DEP_4) | instskip(SKIP_2) | instid1(VALU_DEP_3)
	v_add_nc_u32_e32 v67, s5, v63
	v_add_co_u32 v47, vcc_lo, s2, v64
	v_add_co_ci_u32_e32 v48, vcc_lo, s3, v65, vcc_lo
	v_add_nc_u32_e32 v69, s5, v67
	v_lshlrev_b64 v[64:65], 3, v[49:50]
	v_ashrrev_i32_e32 v52, 31, v51
	v_add_co_u32 v49, vcc_lo, s2, v58
	s_delay_alu instid0(VALU_DEP_4) | instskip(SKIP_3) | instid1(VALU_DEP_4)
	v_add_nc_u32_e32 v71, s5, v69
	v_ashrrev_i32_e32 v54, 31, v53
	v_add_co_ci_u32_e32 v50, vcc_lo, s3, v59, vcc_lo
	v_lshlrev_b64 v[58:59], 3, v[51:52]
	v_add_nc_u32_e32 v73, s5, v71
	v_add_co_u32 v51, vcc_lo, s2, v64
	v_add_co_ci_u32_e32 v52, vcc_lo, s3, v65, vcc_lo
	s_delay_alu instid0(VALU_DEP_3) | instskip(SKIP_3) | instid1(VALU_DEP_4)
	v_add_nc_u32_e32 v75, s5, v73
	v_lshlrev_b64 v[64:65], 3, v[53:54]
	v_ashrrev_i32_e32 v56, 31, v55
	v_add_co_u32 v53, vcc_lo, s2, v58
	v_add_nc_u32_e32 v77, s5, v75
	v_add_co_ci_u32_e32 v54, vcc_lo, s3, v59, vcc_lo
	v_ashrrev_i32_e32 v58, 31, v57
	v_lshlrev_b64 v[59:60], 3, v[55:56]
	s_delay_alu instid0(VALU_DEP_4) | instskip(SKIP_2) | instid1(VALU_DEP_3)
	v_add_nc_u32_e32 v79, s5, v77
	v_add_co_u32 v55, vcc_lo, s2, v64
	v_add_co_ci_u32_e32 v56, vcc_lo, s3, v65, vcc_lo
	v_add_nc_u32_e32 v81, s5, v79
	s_clause 0x2
	global_load_b64 v[96:97], v[33:34], off
	global_load_b64 v[98:99], v[35:36], off
	;; [unrolled: 1-line block ×3, first 2 shown]
	v_lshlrev_b64 v[57:58], 3, v[57:58]
	v_ashrrev_i32_e32 v62, 31, v61
	global_load_b64 v[102:103], v[39:40], off
	v_add_nc_u32_e32 v83, s5, v81
	v_add_co_u32 v59, vcc_lo, s2, v59
	v_add_co_ci_u32_e32 v60, vcc_lo, s3, v60, vcc_lo
	s_delay_alu instid0(VALU_DEP_3) | instskip(SKIP_3) | instid1(VALU_DEP_4)
	v_add_nc_u32_e32 v85, s5, v83
	v_lshlrev_b64 v[109:110], 3, v[61:62]
	v_ashrrev_i32_e32 v64, 31, v63
	v_add_co_u32 v61, vcc_lo, s2, v57
	v_add_nc_u32_e32 v87, s5, v85
	v_add_co_ci_u32_e32 v62, vcc_lo, s3, v58, vcc_lo
	v_ashrrev_i32_e32 v68, 31, v67
	v_lshlrev_b64 v[124:125], 3, v[63:64]
	s_delay_alu instid0(VALU_DEP_4) | instskip(SKIP_3) | instid1(VALU_DEP_4)
	v_add_nc_u32_e32 v108, s5, v87
	v_add_co_u32 v63, vcc_lo, s2, v109
	v_ashrrev_i32_e32 v70, 31, v69
	v_add_co_ci_u32_e32 v64, vcc_lo, s3, v110, vcc_lo
	v_add_nc_u32_e32 v148, s5, v108
	s_clause 0x7
	global_load_b64 v[104:105], v[41:42], off
	global_load_b64 v[106:107], v[43:44], off
	;; [unrolled: 1-line block ×8, first 2 shown]
	v_add_nc_u32_e32 v156, s5, v148
	v_ashrrev_i32_e32 v72, 31, v71
	v_ashrrev_i32_e32 v74, 31, v73
	v_ashrrev_i32_e32 v76, 31, v75
	v_ashrrev_i32_e32 v78, 31, v77
	v_add_nc_u32_e32 v158, s5, v156
	v_ashrrev_i32_e32 v80, 31, v79
	v_ashrrev_i32_e32 v82, 31, v81
	v_ashrrev_i32_e32 v84, 31, v83
	v_ashrrev_i32_e32 v86, 31, v85
	;; [unrolled: 5-line block ×3, first 2 shown]
	v_add_nc_u32_e32 v162, s5, v160
	v_ashrrev_i32_e32 v161, 31, v160
	s_delay_alu instid0(VALU_DEP_2) | instskip(SKIP_1) | instid1(VALU_DEP_2)
	v_add_nc_u32_e32 v164, s5, v162
	v_ashrrev_i32_e32 v163, 31, v162
	v_add_nc_u32_e32 v166, s5, v164
	v_ashrrev_i32_e32 v165, 31, v164
	s_delay_alu instid0(VALU_DEP_2) | instskip(SKIP_1) | instid1(VALU_DEP_2)
	v_add_nc_u32_e32 v168, s5, v166
	v_ashrrev_i32_e32 v167, 31, v166
	;; [unrolled: 5-line block ×6, first 2 shown]
	v_ashrrev_i32_e32 v66, 31, v65
	s_delay_alu instid0(VALU_DEP_1) | instskip(NEXT) | instid1(VALU_DEP_1)
	v_lshlrev_b64 v[57:58], 3, v[65:66]
	v_add_co_u32 v57, vcc_lo, s2, v57
	s_delay_alu instid0(VALU_DEP_2)
	v_add_co_ci_u32_e32 v58, vcc_lo, s3, v58, vcc_lo
	v_add_co_u32 v65, vcc_lo, s2, v124
	v_add_co_ci_u32_e32 v66, vcc_lo, s3, v125, vcc_lo
	global_load_b64 v[124:125], v[57:58], off
	s_waitcnt vmcnt(21)
	scratch_store_b128 off, v[1:4], off
	v_lshlrev_b64 v[1:2], 3, v[67:68]
	v_lshlrev_b64 v[3:4], 3, v[69:70]
	s_clause 0x3
	global_load_b64 v[126:127], v[59:60], off
	global_load_b64 v[128:129], v[61:62], off
	;; [unrolled: 1-line block ×4, first 2 shown]
	v_lshlrev_b64 v[67:68], 3, v[75:76]
	v_lshlrev_b64 v[69:70], 3, v[81:82]
	;; [unrolled: 1-line block ×3, first 2 shown]
	v_add_co_u32 v1, vcc_lo, s2, v1
	v_add_co_ci_u32_e32 v2, vcc_lo, s3, v2, vcc_lo
	v_add_co_u32 v3, vcc_lo, s2, v3
	v_add_co_ci_u32_e32 v4, vcc_lo, s3, v4, vcc_lo
	s_waitcnt vmcnt(23)
	scratch_store_b128 off, v[5:8], off offset:16
	s_clause 0x1
	global_load_b64 v[134:135], v[1:2], off
	global_load_b64 v[136:137], v[3:4], off
	v_lshlrev_b64 v[5:6], 3, v[71:72]
	v_lshlrev_b64 v[7:8], 3, v[73:74]
	;; [unrolled: 1-line block ×6, first 2 shown]
	v_add_co_u32 v5, vcc_lo, s2, v5
	v_add_co_ci_u32_e32 v6, vcc_lo, s3, v6, vcc_lo
	v_add_co_u32 v7, vcc_lo, s2, v7
	v_add_co_ci_u32_e32 v8, vcc_lo, s3, v8, vcc_lo
	global_load_b64 v[138:139], v[5:6], off
	s_waitcnt vmcnt(24)
	scratch_store_b128 off, v[9:12], off offset:32
	v_lshlrev_b64 v[11:12], 3, v[77:78]
	v_add_co_u32 v9, vcc_lo, s2, v67
	v_add_co_ci_u32_e32 v10, vcc_lo, s3, v68, vcc_lo
	v_lshlrev_b64 v[67:68], 3, v[79:80]
	s_delay_alu instid0(VALU_DEP_4)
	v_add_co_u32 v11, vcc_lo, s2, v11
	v_add_co_ci_u32_e32 v12, vcc_lo, s3, v12, vcc_lo
	s_waitcnt vmcnt(22)
	scratch_store_b128 off, v[88:91], off offset:48
	s_waitcnt vmcnt(20)
	scratch_store_b128 off, v[92:95], off offset:64
	v_add_co_u32 v67, vcc_lo, s2, v67
	v_ashrrev_i32_e32 v88, 31, v87
	v_add_co_ci_u32_e32 v68, vcc_lo, s3, v68, vcc_lo
	v_add_co_u32 v69, vcc_lo, s2, v69
	v_add_co_ci_u32_e32 v70, vcc_lo, s3, v70, vcc_lo
	v_add_co_u32 v71, vcc_lo, s2, v71
	v_lshlrev_b64 v[75:76], 3, v[87:88]
	v_add_co_ci_u32_e32 v72, vcc_lo, s3, v72, vcc_lo
	v_add_co_u32 v73, vcc_lo, s2, v73
	v_lshlrev_b64 v[77:78], 3, v[108:109]
	;; [unrolled: 3-line block ×3, first 2 shown]
	v_add_co_ci_u32_e32 v76, vcc_lo, s3, v76, vcc_lo
	v_add_co_u32 v77, vcc_lo, s2, v77
	v_add_co_ci_u32_e32 v78, vcc_lo, s3, v78, vcc_lo
	s_delay_alu instid0(VALU_DEP_4)
	v_add_co_u32 v79, vcc_lo, s2, v79
	v_add_co_ci_u32_e32 v80, vcc_lo, s3, v80, vcc_lo
	v_add_co_u32 v81, vcc_lo, s2, v81
	v_add_co_ci_u32_e32 v82, vcc_lo, s3, v82, vcc_lo
	v_add_co_u32 v83, vcc_lo, s2, v83
	v_lshlrev_b64 v[87:88], 3, v[162:163]
	v_add_co_ci_u32_e32 v84, vcc_lo, s3, v84, vcc_lo
	v_add_co_u32 v85, vcc_lo, s2, v85
	v_lshlrev_b64 v[89:90], 3, v[164:165]
	;; [unrolled: 3-line block ×4, first 2 shown]
	v_add_co_ci_u32_e32 v90, vcc_lo, s3, v90, vcc_lo
	s_clause 0x3
	global_load_b64 v[140:141], v[7:8], off
	global_load_b64 v[142:143], v[9:10], off
	global_load_b64 v[144:145], v[11:12], off
	global_load_b64 v[146:147], v[67:68], off
	s_waitcnt vmcnt(22)
	scratch_store_b128 off, v[96:99], off offset:80
	s_waitcnt vmcnt(20)
	scratch_store_b128 off, v[100:103], off offset:96
	v_add_co_u32 v91, vcc_lo, s2, v91
	v_lshlrev_b64 v[95:96], 3, v[170:171]
	v_add_co_ci_u32_e32 v92, vcc_lo, s3, v92, vcc_lo
	v_add_co_u32 v93, vcc_lo, s2, v93
	v_lshlrev_b64 v[97:98], 3, v[172:173]
	v_add_co_ci_u32_e32 v94, vcc_lo, s3, v94, vcc_lo
	;; [unrolled: 3-line block ×4, first 2 shown]
	v_add_co_u32 v99, vcc_lo, s2, v99
	s_clause 0x3
	global_load_b64 v[148:149], v[69:70], off
	global_load_b64 v[150:151], v[71:72], off
	;; [unrolled: 1-line block ×4, first 2 shown]
	s_waitcnt vmcnt(22)
	scratch_store_b128 off, v[104:107], off offset:112
	s_waitcnt vmcnt(20)
	scratch_store_b128 off, v[112:115], off offset:128
	v_add_co_ci_u32_e32 v100, vcc_lo, s3, v100, vcc_lo
	v_lshlrev_b64 v[105:106], 3, v[178:179]
	v_add_co_u32 v103, vcc_lo, s2, v101
	v_add_co_ci_u32_e32 v104, vcc_lo, s3, v102, vcc_lo
	v_lshlrev_b64 v[101:102], 3, v[180:181]
	s_delay_alu instid0(VALU_DEP_4) | instskip(SKIP_2) | instid1(VALU_DEP_4)
	v_add_co_u32 v105, vcc_lo, s2, v105
	v_lshlrev_b64 v[109:110], 3, v[182:183]
	v_add_co_ci_u32_e32 v106, vcc_lo, s3, v106, vcc_lo
	v_add_co_u32 v107, vcc_lo, s2, v101
	v_add_co_ci_u32_e32 v108, vcc_lo, s3, v102, vcc_lo
	s_delay_alu instid0(VALU_DEP_4)
	v_add_co_u32 v101, vcc_lo, s2, v109
	s_clause 0x3
	global_load_b64 v[156:157], v[77:78], off
	global_load_b64 v[112:113], v[79:80], off
	global_load_b64 v[114:115], v[81:82], off
	global_load_b64 v[158:159], v[83:84], off
	s_waitcnt vmcnt(22)
	scratch_store_b128 off, v[116:119], off offset:144
	s_waitcnt vmcnt(20)
	scratch_store_b128 off, v[120:123], off offset:160
	s_clause 0x3
	global_load_b64 v[160:161], v[85:86], off
	global_load_b64 v[116:117], v[87:88], off
	;; [unrolled: 1-line block ×4, first 2 shown]
	v_add_co_ci_u32_e32 v102, vcc_lo, s3, v110, vcc_lo
	v_mov_b32_e32 v109, 0
	v_mov_b32_e32 v110, 0xbff00000
	s_cselect_b32 s2, -1, 0
	s_cmpk_eq_i32 s1, 0x84
	s_waitcnt vmcnt(21)
	scratch_store_b128 off, v[126:129], off offset:176
	s_waitcnt vmcnt(19)
	scratch_store_b128 off, v[130:133], off offset:192
	s_clause 0x3
	global_load_b64 v[164:165], v[93:94], off
	global_load_b64 v[126:127], v[95:96], off
	;; [unrolled: 1-line block ×4, first 2 shown]
	s_waitcnt vmcnt(21)
	scratch_store_b128 off, v[134:137], off offset:208
	s_clause 0x3
	global_load_b64 v[132:133], v[103:104], off
	global_load_b64 v[134:135], v[105:106], off
	global_load_b64 v[136:137], v[107:108], off
	global_load_b64 v[122:123], v[101:102], off
	s_waitcnt vmcnt(23)
	scratch_store_b128 off, v[138:141], off offset:224
	s_waitcnt vmcnt(21)
	scratch_store_b128 off, v[142:145], off offset:240
	;; [unrolled: 2-line block ×13, first 2 shown]
	s_cbranch_scc1 .LBB53_3
; %bb.2:
	scratch_load_b64 v[109:110], v111, off
	s_waitcnt vmcnt(0)
	v_div_scale_f64 v[112:113], null, v[109:110], v[109:110], 1.0
	v_div_scale_f64 v[118:119], vcc_lo, 1.0, v[109:110], 1.0
	s_delay_alu instid0(VALU_DEP_2) | instskip(SKIP_2) | instid1(VALU_DEP_1)
	v_rcp_f64_e32 v[114:115], v[112:113]
	s_waitcnt_depctr 0xfff
	v_fma_f64 v[116:117], -v[112:113], v[114:115], 1.0
	v_fma_f64 v[114:115], v[114:115], v[116:117], v[114:115]
	s_delay_alu instid0(VALU_DEP_1) | instskip(NEXT) | instid1(VALU_DEP_1)
	v_fma_f64 v[116:117], -v[112:113], v[114:115], 1.0
	v_fma_f64 v[114:115], v[114:115], v[116:117], v[114:115]
	s_delay_alu instid0(VALU_DEP_1) | instskip(NEXT) | instid1(VALU_DEP_1)
	v_mul_f64 v[116:117], v[118:119], v[114:115]
	v_fma_f64 v[112:113], -v[112:113], v[116:117], v[118:119]
	s_delay_alu instid0(VALU_DEP_1) | instskip(NEXT) | instid1(VALU_DEP_1)
	v_div_fmas_f64 v[112:113], v[112:113], v[114:115], v[116:117]
	v_div_fixup_f64 v[109:110], v[112:113], v[109:110], 1.0
	scratch_store_b64 v111, v[109:110], off
	v_xor_b32_e32 v110, 0x80000000, v110
.LBB53_3:
	v_add_nc_u32_e32 v112, 0x1b0, v111
	v_add_nc_u32_e32 v113, 0, v111
	s_cmpk_eq_i32 s0, 0x79
	s_mov_b32 s0, -1
	ds_store_b64 v111, v[109:110]
	s_cbranch_scc1 .LBB53_529
; %bb.4:
	scratch_load_b64 v[109:110], off, off offset:416
	v_cmp_eq_u32_e64 s0, 53, v0
	s_movk_i32 s1, 0x50
	s_movk_i32 s3, 0x60
	;; [unrolled: 1-line block ×21, first 2 shown]
	s_waitcnt vmcnt(0)
	ds_store_b64 v112, v[109:110]
	s_waitcnt lgkmcnt(0)
	s_waitcnt_vscnt null, 0x0
	s_barrier
	buffer_gl0_inv
	s_and_saveexec_b32 s23, s0
	s_cbranch_execz .LBB53_10
; %bb.5:
	s_and_b32 vcc_lo, exec_lo, s2
	s_cbranch_vccz .LBB53_7
; %bb.6:
	scratch_load_b64 v[109:110], v113, off
	ds_load_b64 v[114:115], v112
	s_waitcnt vmcnt(0) lgkmcnt(0)
	v_mul_f64 v[109:110], v[109:110], v[114:115]
	s_cbranch_execz .LBB53_8
	s_branch .LBB53_9
.LBB53_7:
                                        ; implicit-def: $vgpr109_vgpr110
.LBB53_8:
	ds_load_b64 v[109:110], v112
.LBB53_9:
	v_mov_b32_e32 v114, 0
	ds_load_b64 v[114:115], v114 offset:416
	s_waitcnt lgkmcnt(0)
	v_mul_f64 v[109:110], v[109:110], v[114:115]
	scratch_store_b64 off, v[109:110], off offset:416
.LBB53_10:
	s_or_b32 exec_lo, exec_lo, s23
	scratch_load_b64 v[109:110], off, off offset:408
	v_add_nc_u32_e64 v114, 0, 16
	v_add_nc_u32_e64 v115, 0, 32
	;; [unrolled: 1-line block ×25, first 2 shown]
	v_cmp_lt_u32_e64 s1, 51, v0
	s_waitcnt vmcnt(0)
	ds_store_b64 v112, v[109:110]
	s_waitcnt lgkmcnt(0)
	s_waitcnt_vscnt null, 0x0
	s_barrier
	buffer_gl0_inv
	s_and_saveexec_b32 s3, s1
	s_cbranch_execz .LBB53_18
; %bb.11:
	s_and_not1_b32 vcc_lo, exec_lo, s2
	s_cbranch_vccnz .LBB53_13
; %bb.12:
	scratch_load_b64 v[109:110], v113, off
	ds_load_b64 v[139:140], v112
	s_waitcnt vmcnt(0) lgkmcnt(0)
	v_mul_f64 v[109:110], v[109:110], v[139:140]
	s_cbranch_execz .LBB53_14
	s_branch .LBB53_15
.LBB53_13:
                                        ; implicit-def: $vgpr109_vgpr110
.LBB53_14:
	ds_load_b64 v[109:110], v112
.LBB53_15:
	s_and_saveexec_b32 s4, s0
	s_cbranch_execz .LBB53_17
; %bb.16:
	scratch_load_b64 v[139:140], off, off offset:416
	v_mov_b32_e32 v141, 0
	ds_load_b64 v[141:142], v141 offset:848
	s_waitcnt vmcnt(0) lgkmcnt(0)
	v_fma_f64 v[109:110], v[139:140], v[141:142], v[109:110]
.LBB53_17:
	s_or_b32 exec_lo, exec_lo, s4
	v_mov_b32_e32 v139, 0
	ds_load_b64 v[139:140], v139 offset:408
	s_waitcnt lgkmcnt(0)
	v_mul_f64 v[109:110], v[109:110], v[139:140]
	scratch_store_b64 off, v[109:110], off offset:408
.LBB53_18:
	s_or_b32 exec_lo, exec_lo, s3
	scratch_load_b64 v[109:110], off, off offset:400
	v_cmp_lt_u32_e64 s0, 50, v0
	s_waitcnt vmcnt(0)
	ds_store_b64 v112, v[109:110]
	s_waitcnt lgkmcnt(0)
	s_waitcnt_vscnt null, 0x0
	s_barrier
	buffer_gl0_inv
	s_and_saveexec_b32 s3, s0
	s_cbranch_execz .LBB53_28
; %bb.19:
	s_and_not1_b32 vcc_lo, exec_lo, s2
	s_cbranch_vccnz .LBB53_21
; %bb.20:
	scratch_load_b64 v[109:110], v113, off
	ds_load_b64 v[139:140], v112
	s_waitcnt vmcnt(0) lgkmcnt(0)
	v_mul_f64 v[109:110], v[109:110], v[139:140]
	s_cbranch_execz .LBB53_22
	s_branch .LBB53_23
.LBB53_21:
                                        ; implicit-def: $vgpr109_vgpr110
.LBB53_22:
	ds_load_b64 v[109:110], v112
.LBB53_23:
	s_and_saveexec_b32 s4, s1
	s_cbranch_execz .LBB53_27
; %bb.24:
	v_mov_b32_e32 v139, 0
	v_subrev_nc_u32_e32 v140, 51, v0
	s_movk_i32 s5, 0x348
	s_mov_b32 s1, 0
	s_delay_alu instid0(VALU_DEP_2)
	v_add_nc_u32_e32 v139, 0x198, v139
.LBB53_25:                              ; =>This Inner Loop Header: Depth=1
	scratch_load_b64 v[141:142], v139, off
	v_dual_mov_b32 v143, s5 :: v_dual_add_nc_u32 v140, -1, v140
	v_add_nc_u32_e32 v139, 8, v139
	s_add_i32 s5, s5, 8
	ds_load_b64 v[143:144], v143
	v_cmp_eq_u32_e32 vcc_lo, 0, v140
	s_or_b32 s1, vcc_lo, s1
	s_waitcnt vmcnt(0) lgkmcnt(0)
	v_fma_f64 v[109:110], v[141:142], v[143:144], v[109:110]
	s_and_not1_b32 exec_lo, exec_lo, s1
	s_cbranch_execnz .LBB53_25
; %bb.26:
	s_or_b32 exec_lo, exec_lo, s1
.LBB53_27:
	s_delay_alu instid0(SALU_CYCLE_1)
	s_or_b32 exec_lo, exec_lo, s4
	v_mov_b32_e32 v139, 0
	ds_load_b64 v[139:140], v139 offset:400
	s_waitcnt lgkmcnt(0)
	v_mul_f64 v[109:110], v[109:110], v[139:140]
	scratch_store_b64 off, v[109:110], off offset:400
.LBB53_28:
	s_or_b32 exec_lo, exec_lo, s3
	scratch_load_b64 v[109:110], off, off offset:392
	v_cmp_lt_u32_e64 s1, 49, v0
	s_waitcnt vmcnt(0)
	ds_store_b64 v112, v[109:110]
	s_waitcnt lgkmcnt(0)
	s_waitcnt_vscnt null, 0x0
	s_barrier
	buffer_gl0_inv
	s_and_saveexec_b32 s3, s1
	s_cbranch_execz .LBB53_38
; %bb.29:
	s_and_not1_b32 vcc_lo, exec_lo, s2
	s_cbranch_vccnz .LBB53_31
; %bb.30:
	scratch_load_b64 v[109:110], v113, off
	ds_load_b64 v[139:140], v112
	s_waitcnt vmcnt(0) lgkmcnt(0)
	v_mul_f64 v[109:110], v[109:110], v[139:140]
	s_cbranch_execz .LBB53_32
	s_branch .LBB53_33
.LBB53_31:
                                        ; implicit-def: $vgpr109_vgpr110
.LBB53_32:
	ds_load_b64 v[109:110], v112
.LBB53_33:
	s_and_saveexec_b32 s4, s0
	s_cbranch_execz .LBB53_37
; %bb.34:
	v_subrev_nc_u32_e32 v139, 50, v0
	s_movk_i32 s5, 0x340
	s_mov_b32 s0, 0
.LBB53_35:                              ; =>This Inner Loop Header: Depth=1
	scratch_load_b64 v[140:141], v138, off
	v_dual_mov_b32 v142, s5 :: v_dual_add_nc_u32 v139, -1, v139
	v_add_nc_u32_e32 v138, 8, v138
	s_add_i32 s5, s5, 8
	ds_load_b64 v[142:143], v142
	v_cmp_eq_u32_e32 vcc_lo, 0, v139
	s_or_b32 s0, vcc_lo, s0
	s_waitcnt vmcnt(0) lgkmcnt(0)
	v_fma_f64 v[109:110], v[140:141], v[142:143], v[109:110]
	s_and_not1_b32 exec_lo, exec_lo, s0
	s_cbranch_execnz .LBB53_35
; %bb.36:
	s_or_b32 exec_lo, exec_lo, s0
.LBB53_37:
	s_delay_alu instid0(SALU_CYCLE_1)
	s_or_b32 exec_lo, exec_lo, s4
	v_mov_b32_e32 v138, 0
	ds_load_b64 v[138:139], v138 offset:392
	s_waitcnt lgkmcnt(0)
	v_mul_f64 v[109:110], v[109:110], v[138:139]
	scratch_store_b64 off, v[109:110], off offset:392
.LBB53_38:
	s_or_b32 exec_lo, exec_lo, s3
	scratch_load_b64 v[109:110], off, off offset:384
	v_cmp_lt_u32_e64 s0, 48, v0
	s_waitcnt vmcnt(0)
	ds_store_b64 v112, v[109:110]
	s_waitcnt lgkmcnt(0)
	s_waitcnt_vscnt null, 0x0
	s_barrier
	buffer_gl0_inv
	s_and_saveexec_b32 s3, s0
	s_cbranch_execz .LBB53_48
; %bb.39:
	s_and_not1_b32 vcc_lo, exec_lo, s2
	s_cbranch_vccnz .LBB53_41
; %bb.40:
	scratch_load_b64 v[109:110], v113, off
	ds_load_b64 v[138:139], v112
	s_waitcnt vmcnt(0) lgkmcnt(0)
	v_mul_f64 v[109:110], v[109:110], v[138:139]
	s_cbranch_execz .LBB53_42
	s_branch .LBB53_43
.LBB53_41:
                                        ; implicit-def: $vgpr109_vgpr110
.LBB53_42:
	ds_load_b64 v[109:110], v112
.LBB53_43:
	s_and_saveexec_b32 s4, s1
	s_cbranch_execz .LBB53_47
; %bb.44:
	v_mov_b32_e32 v138, 0
	v_subrev_nc_u32_e32 v139, 49, v0
	s_movk_i32 s5, 0x338
	s_mov_b32 s1, 0
	s_delay_alu instid0(VALU_DEP_2)
	v_add_nc_u32_e32 v138, 0x188, v138
.LBB53_45:                              ; =>This Inner Loop Header: Depth=1
	scratch_load_b64 v[140:141], v138, off
	v_dual_mov_b32 v142, s5 :: v_dual_add_nc_u32 v139, -1, v139
	v_add_nc_u32_e32 v138, 8, v138
	s_add_i32 s5, s5, 8
	ds_load_b64 v[142:143], v142
	v_cmp_eq_u32_e32 vcc_lo, 0, v139
	s_or_b32 s1, vcc_lo, s1
	s_waitcnt vmcnt(0) lgkmcnt(0)
	v_fma_f64 v[109:110], v[140:141], v[142:143], v[109:110]
	s_and_not1_b32 exec_lo, exec_lo, s1
	s_cbranch_execnz .LBB53_45
; %bb.46:
	s_or_b32 exec_lo, exec_lo, s1
.LBB53_47:
	s_delay_alu instid0(SALU_CYCLE_1)
	s_or_b32 exec_lo, exec_lo, s4
	v_mov_b32_e32 v138, 0
	ds_load_b64 v[138:139], v138 offset:384
	s_waitcnt lgkmcnt(0)
	v_mul_f64 v[109:110], v[109:110], v[138:139]
	scratch_store_b64 off, v[109:110], off offset:384
.LBB53_48:
	s_or_b32 exec_lo, exec_lo, s3
	scratch_load_b64 v[109:110], off, off offset:376
	v_cmp_lt_u32_e64 s1, 47, v0
	s_waitcnt vmcnt(0)
	ds_store_b64 v112, v[109:110]
	s_waitcnt lgkmcnt(0)
	s_waitcnt_vscnt null, 0x0
	s_barrier
	buffer_gl0_inv
	s_and_saveexec_b32 s3, s1
	s_cbranch_execz .LBB53_58
; %bb.49:
	s_and_not1_b32 vcc_lo, exec_lo, s2
	s_cbranch_vccnz .LBB53_51
; %bb.50:
	scratch_load_b64 v[109:110], v113, off
	ds_load_b64 v[138:139], v112
	s_waitcnt vmcnt(0) lgkmcnt(0)
	v_mul_f64 v[109:110], v[109:110], v[138:139]
	s_cbranch_execz .LBB53_52
	s_branch .LBB53_53
.LBB53_51:
                                        ; implicit-def: $vgpr109_vgpr110
.LBB53_52:
	ds_load_b64 v[109:110], v112
.LBB53_53:
	s_and_saveexec_b32 s4, s0
	s_cbranch_execz .LBB53_57
; %bb.54:
	v_subrev_nc_u32_e32 v138, 48, v0
	s_movk_i32 s5, 0x330
	s_mov_b32 s0, 0
.LBB53_55:                              ; =>This Inner Loop Header: Depth=1
	scratch_load_b64 v[139:140], v137, off
	v_dual_mov_b32 v141, s5 :: v_dual_add_nc_u32 v138, -1, v138
	v_add_nc_u32_e32 v137, 8, v137
	s_add_i32 s5, s5, 8
	ds_load_b64 v[141:142], v141
	v_cmp_eq_u32_e32 vcc_lo, 0, v138
	s_or_b32 s0, vcc_lo, s0
	s_waitcnt vmcnt(0) lgkmcnt(0)
	v_fma_f64 v[109:110], v[139:140], v[141:142], v[109:110]
	s_and_not1_b32 exec_lo, exec_lo, s0
	s_cbranch_execnz .LBB53_55
; %bb.56:
	s_or_b32 exec_lo, exec_lo, s0
.LBB53_57:
	s_delay_alu instid0(SALU_CYCLE_1)
	s_or_b32 exec_lo, exec_lo, s4
	v_mov_b32_e32 v137, 0
	ds_load_b64 v[137:138], v137 offset:376
	s_waitcnt lgkmcnt(0)
	v_mul_f64 v[109:110], v[109:110], v[137:138]
	scratch_store_b64 off, v[109:110], off offset:376
.LBB53_58:
	s_or_b32 exec_lo, exec_lo, s3
	scratch_load_b64 v[109:110], off, off offset:368
	v_cmp_lt_u32_e64 s0, 46, v0
	s_waitcnt vmcnt(0)
	ds_store_b64 v112, v[109:110]
	s_waitcnt lgkmcnt(0)
	s_waitcnt_vscnt null, 0x0
	s_barrier
	buffer_gl0_inv
	s_and_saveexec_b32 s3, s0
	s_cbranch_execz .LBB53_68
; %bb.59:
	s_and_not1_b32 vcc_lo, exec_lo, s2
	s_cbranch_vccnz .LBB53_61
; %bb.60:
	scratch_load_b64 v[109:110], v113, off
	ds_load_b64 v[137:138], v112
	s_waitcnt vmcnt(0) lgkmcnt(0)
	v_mul_f64 v[109:110], v[109:110], v[137:138]
	s_cbranch_execz .LBB53_62
	s_branch .LBB53_63
.LBB53_61:
                                        ; implicit-def: $vgpr109_vgpr110
.LBB53_62:
	ds_load_b64 v[109:110], v112
.LBB53_63:
	s_and_saveexec_b32 s4, s1
	s_cbranch_execz .LBB53_67
; %bb.64:
	v_mov_b32_e32 v137, 0
	v_subrev_nc_u32_e32 v138, 47, v0
	s_movk_i32 s5, 0x328
	s_mov_b32 s1, 0
	s_delay_alu instid0(VALU_DEP_2)
	v_add_nc_u32_e32 v137, 0x178, v137
.LBB53_65:                              ; =>This Inner Loop Header: Depth=1
	scratch_load_b64 v[139:140], v137, off
	v_dual_mov_b32 v141, s5 :: v_dual_add_nc_u32 v138, -1, v138
	v_add_nc_u32_e32 v137, 8, v137
	s_add_i32 s5, s5, 8
	ds_load_b64 v[141:142], v141
	v_cmp_eq_u32_e32 vcc_lo, 0, v138
	s_or_b32 s1, vcc_lo, s1
	s_waitcnt vmcnt(0) lgkmcnt(0)
	v_fma_f64 v[109:110], v[139:140], v[141:142], v[109:110]
	s_and_not1_b32 exec_lo, exec_lo, s1
	s_cbranch_execnz .LBB53_65
; %bb.66:
	s_or_b32 exec_lo, exec_lo, s1
.LBB53_67:
	s_delay_alu instid0(SALU_CYCLE_1)
	s_or_b32 exec_lo, exec_lo, s4
	v_mov_b32_e32 v137, 0
	ds_load_b64 v[137:138], v137 offset:368
	s_waitcnt lgkmcnt(0)
	v_mul_f64 v[109:110], v[109:110], v[137:138]
	scratch_store_b64 off, v[109:110], off offset:368
.LBB53_68:
	s_or_b32 exec_lo, exec_lo, s3
	scratch_load_b64 v[109:110], off, off offset:360
	v_cmp_lt_u32_e64 s1, 45, v0
	s_waitcnt vmcnt(0)
	ds_store_b64 v112, v[109:110]
	s_waitcnt lgkmcnt(0)
	s_waitcnt_vscnt null, 0x0
	s_barrier
	buffer_gl0_inv
	s_and_saveexec_b32 s3, s1
	s_cbranch_execz .LBB53_78
; %bb.69:
	s_and_not1_b32 vcc_lo, exec_lo, s2
	s_cbranch_vccnz .LBB53_71
; %bb.70:
	scratch_load_b64 v[109:110], v113, off
	ds_load_b64 v[137:138], v112
	s_waitcnt vmcnt(0) lgkmcnt(0)
	v_mul_f64 v[109:110], v[109:110], v[137:138]
	s_cbranch_execz .LBB53_72
	s_branch .LBB53_73
.LBB53_71:
                                        ; implicit-def: $vgpr109_vgpr110
.LBB53_72:
	ds_load_b64 v[109:110], v112
.LBB53_73:
	s_and_saveexec_b32 s4, s0
	s_cbranch_execz .LBB53_77
; %bb.74:
	v_subrev_nc_u32_e32 v137, 46, v0
	s_movk_i32 s5, 0x320
	s_mov_b32 s0, 0
.LBB53_75:                              ; =>This Inner Loop Header: Depth=1
	scratch_load_b64 v[138:139], v136, off
	v_dual_mov_b32 v140, s5 :: v_dual_add_nc_u32 v137, -1, v137
	v_add_nc_u32_e32 v136, 8, v136
	s_add_i32 s5, s5, 8
	ds_load_b64 v[140:141], v140
	v_cmp_eq_u32_e32 vcc_lo, 0, v137
	s_or_b32 s0, vcc_lo, s0
	s_waitcnt vmcnt(0) lgkmcnt(0)
	v_fma_f64 v[109:110], v[138:139], v[140:141], v[109:110]
	s_and_not1_b32 exec_lo, exec_lo, s0
	s_cbranch_execnz .LBB53_75
; %bb.76:
	s_or_b32 exec_lo, exec_lo, s0
.LBB53_77:
	s_delay_alu instid0(SALU_CYCLE_1)
	s_or_b32 exec_lo, exec_lo, s4
	v_mov_b32_e32 v136, 0
	ds_load_b64 v[136:137], v136 offset:360
	s_waitcnt lgkmcnt(0)
	v_mul_f64 v[109:110], v[109:110], v[136:137]
	scratch_store_b64 off, v[109:110], off offset:360
.LBB53_78:
	s_or_b32 exec_lo, exec_lo, s3
	scratch_load_b64 v[109:110], off, off offset:352
	v_cmp_lt_u32_e64 s0, 44, v0
	s_waitcnt vmcnt(0)
	ds_store_b64 v112, v[109:110]
	s_waitcnt lgkmcnt(0)
	s_waitcnt_vscnt null, 0x0
	s_barrier
	buffer_gl0_inv
	s_and_saveexec_b32 s3, s0
	s_cbranch_execz .LBB53_88
; %bb.79:
	s_and_not1_b32 vcc_lo, exec_lo, s2
	s_cbranch_vccnz .LBB53_81
; %bb.80:
	scratch_load_b64 v[109:110], v113, off
	ds_load_b64 v[136:137], v112
	s_waitcnt vmcnt(0) lgkmcnt(0)
	v_mul_f64 v[109:110], v[109:110], v[136:137]
	s_cbranch_execz .LBB53_82
	s_branch .LBB53_83
.LBB53_81:
                                        ; implicit-def: $vgpr109_vgpr110
.LBB53_82:
	ds_load_b64 v[109:110], v112
.LBB53_83:
	s_and_saveexec_b32 s4, s1
	s_cbranch_execz .LBB53_87
; %bb.84:
	v_mov_b32_e32 v136, 0
	v_subrev_nc_u32_e32 v137, 45, v0
	s_movk_i32 s5, 0x318
	s_mov_b32 s1, 0
	s_delay_alu instid0(VALU_DEP_2)
	v_add_nc_u32_e32 v136, 0x168, v136
.LBB53_85:                              ; =>This Inner Loop Header: Depth=1
	scratch_load_b64 v[138:139], v136, off
	v_dual_mov_b32 v140, s5 :: v_dual_add_nc_u32 v137, -1, v137
	v_add_nc_u32_e32 v136, 8, v136
	s_add_i32 s5, s5, 8
	ds_load_b64 v[140:141], v140
	v_cmp_eq_u32_e32 vcc_lo, 0, v137
	s_or_b32 s1, vcc_lo, s1
	s_waitcnt vmcnt(0) lgkmcnt(0)
	v_fma_f64 v[109:110], v[138:139], v[140:141], v[109:110]
	s_and_not1_b32 exec_lo, exec_lo, s1
	s_cbranch_execnz .LBB53_85
; %bb.86:
	s_or_b32 exec_lo, exec_lo, s1
.LBB53_87:
	s_delay_alu instid0(SALU_CYCLE_1)
	s_or_b32 exec_lo, exec_lo, s4
	v_mov_b32_e32 v136, 0
	ds_load_b64 v[136:137], v136 offset:352
	s_waitcnt lgkmcnt(0)
	v_mul_f64 v[109:110], v[109:110], v[136:137]
	scratch_store_b64 off, v[109:110], off offset:352
.LBB53_88:
	s_or_b32 exec_lo, exec_lo, s3
	scratch_load_b64 v[109:110], off, off offset:344
	v_cmp_lt_u32_e64 s1, 43, v0
	s_waitcnt vmcnt(0)
	ds_store_b64 v112, v[109:110]
	s_waitcnt lgkmcnt(0)
	s_waitcnt_vscnt null, 0x0
	s_barrier
	buffer_gl0_inv
	s_and_saveexec_b32 s3, s1
	s_cbranch_execz .LBB53_98
; %bb.89:
	s_and_not1_b32 vcc_lo, exec_lo, s2
	s_cbranch_vccnz .LBB53_91
; %bb.90:
	scratch_load_b64 v[109:110], v113, off
	ds_load_b64 v[136:137], v112
	s_waitcnt vmcnt(0) lgkmcnt(0)
	v_mul_f64 v[109:110], v[109:110], v[136:137]
	s_cbranch_execz .LBB53_92
	s_branch .LBB53_93
.LBB53_91:
                                        ; implicit-def: $vgpr109_vgpr110
.LBB53_92:
	ds_load_b64 v[109:110], v112
.LBB53_93:
	s_and_saveexec_b32 s4, s0
	s_cbranch_execz .LBB53_97
; %bb.94:
	v_subrev_nc_u32_e32 v136, 44, v0
	s_movk_i32 s5, 0x310
	s_mov_b32 s0, 0
.LBB53_95:                              ; =>This Inner Loop Header: Depth=1
	scratch_load_b64 v[137:138], v135, off
	v_dual_mov_b32 v139, s5 :: v_dual_add_nc_u32 v136, -1, v136
	v_add_nc_u32_e32 v135, 8, v135
	s_add_i32 s5, s5, 8
	ds_load_b64 v[139:140], v139
	v_cmp_eq_u32_e32 vcc_lo, 0, v136
	s_or_b32 s0, vcc_lo, s0
	s_waitcnt vmcnt(0) lgkmcnt(0)
	v_fma_f64 v[109:110], v[137:138], v[139:140], v[109:110]
	s_and_not1_b32 exec_lo, exec_lo, s0
	s_cbranch_execnz .LBB53_95
; %bb.96:
	s_or_b32 exec_lo, exec_lo, s0
.LBB53_97:
	s_delay_alu instid0(SALU_CYCLE_1)
	s_or_b32 exec_lo, exec_lo, s4
	v_mov_b32_e32 v135, 0
	ds_load_b64 v[135:136], v135 offset:344
	s_waitcnt lgkmcnt(0)
	v_mul_f64 v[109:110], v[109:110], v[135:136]
	scratch_store_b64 off, v[109:110], off offset:344
.LBB53_98:
	s_or_b32 exec_lo, exec_lo, s3
	scratch_load_b64 v[109:110], off, off offset:336
	v_cmp_lt_u32_e64 s0, 42, v0
	s_waitcnt vmcnt(0)
	ds_store_b64 v112, v[109:110]
	s_waitcnt lgkmcnt(0)
	s_waitcnt_vscnt null, 0x0
	s_barrier
	buffer_gl0_inv
	s_and_saveexec_b32 s3, s0
	s_cbranch_execz .LBB53_108
; %bb.99:
	s_and_not1_b32 vcc_lo, exec_lo, s2
	s_cbranch_vccnz .LBB53_101
; %bb.100:
	scratch_load_b64 v[109:110], v113, off
	ds_load_b64 v[135:136], v112
	s_waitcnt vmcnt(0) lgkmcnt(0)
	v_mul_f64 v[109:110], v[109:110], v[135:136]
	s_cbranch_execz .LBB53_102
	s_branch .LBB53_103
.LBB53_101:
                                        ; implicit-def: $vgpr109_vgpr110
.LBB53_102:
	ds_load_b64 v[109:110], v112
.LBB53_103:
	s_and_saveexec_b32 s4, s1
	s_cbranch_execz .LBB53_107
; %bb.104:
	v_mov_b32_e32 v135, 0
	v_subrev_nc_u32_e32 v136, 43, v0
	s_movk_i32 s5, 0x308
	s_mov_b32 s1, 0
	s_delay_alu instid0(VALU_DEP_2)
	v_add_nc_u32_e32 v135, 0x158, v135
.LBB53_105:                             ; =>This Inner Loop Header: Depth=1
	scratch_load_b64 v[137:138], v135, off
	v_dual_mov_b32 v139, s5 :: v_dual_add_nc_u32 v136, -1, v136
	v_add_nc_u32_e32 v135, 8, v135
	s_add_i32 s5, s5, 8
	ds_load_b64 v[139:140], v139
	v_cmp_eq_u32_e32 vcc_lo, 0, v136
	s_or_b32 s1, vcc_lo, s1
	s_waitcnt vmcnt(0) lgkmcnt(0)
	v_fma_f64 v[109:110], v[137:138], v[139:140], v[109:110]
	s_and_not1_b32 exec_lo, exec_lo, s1
	s_cbranch_execnz .LBB53_105
; %bb.106:
	s_or_b32 exec_lo, exec_lo, s1
.LBB53_107:
	s_delay_alu instid0(SALU_CYCLE_1)
	s_or_b32 exec_lo, exec_lo, s4
	v_mov_b32_e32 v135, 0
	ds_load_b64 v[135:136], v135 offset:336
	s_waitcnt lgkmcnt(0)
	v_mul_f64 v[109:110], v[109:110], v[135:136]
	scratch_store_b64 off, v[109:110], off offset:336
.LBB53_108:
	s_or_b32 exec_lo, exec_lo, s3
	scratch_load_b64 v[109:110], off, off offset:328
	v_cmp_lt_u32_e64 s1, 41, v0
	s_waitcnt vmcnt(0)
	ds_store_b64 v112, v[109:110]
	s_waitcnt lgkmcnt(0)
	s_waitcnt_vscnt null, 0x0
	s_barrier
	buffer_gl0_inv
	s_and_saveexec_b32 s3, s1
	s_cbranch_execz .LBB53_118
; %bb.109:
	s_and_not1_b32 vcc_lo, exec_lo, s2
	s_cbranch_vccnz .LBB53_111
; %bb.110:
	scratch_load_b64 v[109:110], v113, off
	ds_load_b64 v[135:136], v112
	s_waitcnt vmcnt(0) lgkmcnt(0)
	v_mul_f64 v[109:110], v[109:110], v[135:136]
	s_cbranch_execz .LBB53_112
	s_branch .LBB53_113
.LBB53_111:
                                        ; implicit-def: $vgpr109_vgpr110
.LBB53_112:
	ds_load_b64 v[109:110], v112
.LBB53_113:
	s_and_saveexec_b32 s4, s0
	s_cbranch_execz .LBB53_117
; %bb.114:
	v_subrev_nc_u32_e32 v135, 42, v0
	s_movk_i32 s5, 0x300
	s_mov_b32 s0, 0
.LBB53_115:                             ; =>This Inner Loop Header: Depth=1
	scratch_load_b64 v[136:137], v134, off
	v_dual_mov_b32 v138, s5 :: v_dual_add_nc_u32 v135, -1, v135
	v_add_nc_u32_e32 v134, 8, v134
	s_add_i32 s5, s5, 8
	ds_load_b64 v[138:139], v138
	v_cmp_eq_u32_e32 vcc_lo, 0, v135
	s_or_b32 s0, vcc_lo, s0
	s_waitcnt vmcnt(0) lgkmcnt(0)
	v_fma_f64 v[109:110], v[136:137], v[138:139], v[109:110]
	s_and_not1_b32 exec_lo, exec_lo, s0
	s_cbranch_execnz .LBB53_115
; %bb.116:
	s_or_b32 exec_lo, exec_lo, s0
.LBB53_117:
	s_delay_alu instid0(SALU_CYCLE_1)
	s_or_b32 exec_lo, exec_lo, s4
	v_mov_b32_e32 v134, 0
	ds_load_b64 v[134:135], v134 offset:328
	s_waitcnt lgkmcnt(0)
	v_mul_f64 v[109:110], v[109:110], v[134:135]
	scratch_store_b64 off, v[109:110], off offset:328
.LBB53_118:
	s_or_b32 exec_lo, exec_lo, s3
	scratch_load_b64 v[109:110], off, off offset:320
	v_cmp_lt_u32_e64 s0, 40, v0
	s_waitcnt vmcnt(0)
	ds_store_b64 v112, v[109:110]
	s_waitcnt lgkmcnt(0)
	s_waitcnt_vscnt null, 0x0
	s_barrier
	buffer_gl0_inv
	s_and_saveexec_b32 s3, s0
	s_cbranch_execz .LBB53_128
; %bb.119:
	s_and_not1_b32 vcc_lo, exec_lo, s2
	s_cbranch_vccnz .LBB53_121
; %bb.120:
	scratch_load_b64 v[109:110], v113, off
	ds_load_b64 v[134:135], v112
	s_waitcnt vmcnt(0) lgkmcnt(0)
	v_mul_f64 v[109:110], v[109:110], v[134:135]
	s_cbranch_execz .LBB53_122
	s_branch .LBB53_123
.LBB53_121:
                                        ; implicit-def: $vgpr109_vgpr110
.LBB53_122:
	ds_load_b64 v[109:110], v112
.LBB53_123:
	s_and_saveexec_b32 s4, s1
	s_cbranch_execz .LBB53_127
; %bb.124:
	v_mov_b32_e32 v134, 0
	v_subrev_nc_u32_e32 v135, 41, v0
	s_movk_i32 s5, 0x2f8
	s_mov_b32 s1, 0
	s_delay_alu instid0(VALU_DEP_2)
	v_add_nc_u32_e32 v134, 0x148, v134
.LBB53_125:                             ; =>This Inner Loop Header: Depth=1
	scratch_load_b64 v[136:137], v134, off
	v_dual_mov_b32 v138, s5 :: v_dual_add_nc_u32 v135, -1, v135
	v_add_nc_u32_e32 v134, 8, v134
	s_add_i32 s5, s5, 8
	ds_load_b64 v[138:139], v138
	v_cmp_eq_u32_e32 vcc_lo, 0, v135
	s_or_b32 s1, vcc_lo, s1
	s_waitcnt vmcnt(0) lgkmcnt(0)
	v_fma_f64 v[109:110], v[136:137], v[138:139], v[109:110]
	s_and_not1_b32 exec_lo, exec_lo, s1
	s_cbranch_execnz .LBB53_125
; %bb.126:
	s_or_b32 exec_lo, exec_lo, s1
.LBB53_127:
	s_delay_alu instid0(SALU_CYCLE_1)
	s_or_b32 exec_lo, exec_lo, s4
	v_mov_b32_e32 v134, 0
	ds_load_b64 v[134:135], v134 offset:320
	s_waitcnt lgkmcnt(0)
	v_mul_f64 v[109:110], v[109:110], v[134:135]
	scratch_store_b64 off, v[109:110], off offset:320
.LBB53_128:
	s_or_b32 exec_lo, exec_lo, s3
	scratch_load_b64 v[109:110], off, off offset:312
	v_cmp_lt_u32_e64 s1, 39, v0
	s_waitcnt vmcnt(0)
	ds_store_b64 v112, v[109:110]
	s_waitcnt lgkmcnt(0)
	s_waitcnt_vscnt null, 0x0
	s_barrier
	buffer_gl0_inv
	s_and_saveexec_b32 s3, s1
	s_cbranch_execz .LBB53_138
; %bb.129:
	s_and_not1_b32 vcc_lo, exec_lo, s2
	s_cbranch_vccnz .LBB53_131
; %bb.130:
	scratch_load_b64 v[109:110], v113, off
	ds_load_b64 v[134:135], v112
	s_waitcnt vmcnt(0) lgkmcnt(0)
	v_mul_f64 v[109:110], v[109:110], v[134:135]
	s_cbranch_execz .LBB53_132
	s_branch .LBB53_133
.LBB53_131:
                                        ; implicit-def: $vgpr109_vgpr110
.LBB53_132:
	ds_load_b64 v[109:110], v112
.LBB53_133:
	s_and_saveexec_b32 s4, s0
	s_cbranch_execz .LBB53_137
; %bb.134:
	v_subrev_nc_u32_e32 v134, 40, v0
	s_movk_i32 s5, 0x2f0
	s_mov_b32 s0, 0
.LBB53_135:                             ; =>This Inner Loop Header: Depth=1
	scratch_load_b64 v[135:136], v133, off
	v_dual_mov_b32 v137, s5 :: v_dual_add_nc_u32 v134, -1, v134
	v_add_nc_u32_e32 v133, 8, v133
	s_add_i32 s5, s5, 8
	ds_load_b64 v[137:138], v137
	v_cmp_eq_u32_e32 vcc_lo, 0, v134
	s_or_b32 s0, vcc_lo, s0
	s_waitcnt vmcnt(0) lgkmcnt(0)
	v_fma_f64 v[109:110], v[135:136], v[137:138], v[109:110]
	s_and_not1_b32 exec_lo, exec_lo, s0
	s_cbranch_execnz .LBB53_135
; %bb.136:
	s_or_b32 exec_lo, exec_lo, s0
.LBB53_137:
	s_delay_alu instid0(SALU_CYCLE_1)
	s_or_b32 exec_lo, exec_lo, s4
	v_mov_b32_e32 v133, 0
	ds_load_b64 v[133:134], v133 offset:312
	s_waitcnt lgkmcnt(0)
	v_mul_f64 v[109:110], v[109:110], v[133:134]
	scratch_store_b64 off, v[109:110], off offset:312
.LBB53_138:
	s_or_b32 exec_lo, exec_lo, s3
	scratch_load_b64 v[109:110], off, off offset:304
	v_cmp_lt_u32_e64 s0, 38, v0
	s_waitcnt vmcnt(0)
	ds_store_b64 v112, v[109:110]
	s_waitcnt lgkmcnt(0)
	s_waitcnt_vscnt null, 0x0
	s_barrier
	buffer_gl0_inv
	s_and_saveexec_b32 s3, s0
	s_cbranch_execz .LBB53_148
; %bb.139:
	s_and_not1_b32 vcc_lo, exec_lo, s2
	s_cbranch_vccnz .LBB53_141
; %bb.140:
	scratch_load_b64 v[109:110], v113, off
	ds_load_b64 v[133:134], v112
	s_waitcnt vmcnt(0) lgkmcnt(0)
	v_mul_f64 v[109:110], v[109:110], v[133:134]
	s_cbranch_execz .LBB53_142
	s_branch .LBB53_143
.LBB53_141:
                                        ; implicit-def: $vgpr109_vgpr110
.LBB53_142:
	ds_load_b64 v[109:110], v112
.LBB53_143:
	s_and_saveexec_b32 s4, s1
	s_cbranch_execz .LBB53_147
; %bb.144:
	v_mov_b32_e32 v133, 0
	v_subrev_nc_u32_e32 v134, 39, v0
	s_movk_i32 s5, 0x2e8
	s_mov_b32 s1, 0
	s_delay_alu instid0(VALU_DEP_2)
	v_add_nc_u32_e32 v133, 0x138, v133
.LBB53_145:                             ; =>This Inner Loop Header: Depth=1
	scratch_load_b64 v[135:136], v133, off
	v_dual_mov_b32 v137, s5 :: v_dual_add_nc_u32 v134, -1, v134
	v_add_nc_u32_e32 v133, 8, v133
	s_add_i32 s5, s5, 8
	ds_load_b64 v[137:138], v137
	v_cmp_eq_u32_e32 vcc_lo, 0, v134
	s_or_b32 s1, vcc_lo, s1
	s_waitcnt vmcnt(0) lgkmcnt(0)
	v_fma_f64 v[109:110], v[135:136], v[137:138], v[109:110]
	s_and_not1_b32 exec_lo, exec_lo, s1
	s_cbranch_execnz .LBB53_145
; %bb.146:
	s_or_b32 exec_lo, exec_lo, s1
.LBB53_147:
	s_delay_alu instid0(SALU_CYCLE_1)
	s_or_b32 exec_lo, exec_lo, s4
	v_mov_b32_e32 v133, 0
	ds_load_b64 v[133:134], v133 offset:304
	s_waitcnt lgkmcnt(0)
	v_mul_f64 v[109:110], v[109:110], v[133:134]
	scratch_store_b64 off, v[109:110], off offset:304
.LBB53_148:
	s_or_b32 exec_lo, exec_lo, s3
	scratch_load_b64 v[109:110], off, off offset:296
	v_cmp_lt_u32_e64 s1, 37, v0
	s_waitcnt vmcnt(0)
	ds_store_b64 v112, v[109:110]
	s_waitcnt lgkmcnt(0)
	s_waitcnt_vscnt null, 0x0
	s_barrier
	buffer_gl0_inv
	s_and_saveexec_b32 s3, s1
	s_cbranch_execz .LBB53_158
; %bb.149:
	s_and_not1_b32 vcc_lo, exec_lo, s2
	s_cbranch_vccnz .LBB53_151
; %bb.150:
	scratch_load_b64 v[109:110], v113, off
	ds_load_b64 v[133:134], v112
	s_waitcnt vmcnt(0) lgkmcnt(0)
	v_mul_f64 v[109:110], v[109:110], v[133:134]
	s_cbranch_execz .LBB53_152
	s_branch .LBB53_153
.LBB53_151:
                                        ; implicit-def: $vgpr109_vgpr110
.LBB53_152:
	ds_load_b64 v[109:110], v112
.LBB53_153:
	s_and_saveexec_b32 s4, s0
	s_cbranch_execz .LBB53_157
; %bb.154:
	v_subrev_nc_u32_e32 v133, 38, v0
	s_movk_i32 s5, 0x2e0
	s_mov_b32 s0, 0
.LBB53_155:                             ; =>This Inner Loop Header: Depth=1
	scratch_load_b64 v[134:135], v132, off
	v_dual_mov_b32 v136, s5 :: v_dual_add_nc_u32 v133, -1, v133
	v_add_nc_u32_e32 v132, 8, v132
	s_add_i32 s5, s5, 8
	ds_load_b64 v[136:137], v136
	v_cmp_eq_u32_e32 vcc_lo, 0, v133
	s_or_b32 s0, vcc_lo, s0
	s_waitcnt vmcnt(0) lgkmcnt(0)
	v_fma_f64 v[109:110], v[134:135], v[136:137], v[109:110]
	s_and_not1_b32 exec_lo, exec_lo, s0
	s_cbranch_execnz .LBB53_155
; %bb.156:
	s_or_b32 exec_lo, exec_lo, s0
.LBB53_157:
	s_delay_alu instid0(SALU_CYCLE_1)
	s_or_b32 exec_lo, exec_lo, s4
	v_mov_b32_e32 v132, 0
	ds_load_b64 v[132:133], v132 offset:296
	s_waitcnt lgkmcnt(0)
	v_mul_f64 v[109:110], v[109:110], v[132:133]
	scratch_store_b64 off, v[109:110], off offset:296
.LBB53_158:
	s_or_b32 exec_lo, exec_lo, s3
	scratch_load_b64 v[109:110], off, off offset:288
	v_cmp_lt_u32_e64 s0, 36, v0
	s_waitcnt vmcnt(0)
	ds_store_b64 v112, v[109:110]
	s_waitcnt lgkmcnt(0)
	s_waitcnt_vscnt null, 0x0
	s_barrier
	buffer_gl0_inv
	s_and_saveexec_b32 s3, s0
	s_cbranch_execz .LBB53_168
; %bb.159:
	s_and_not1_b32 vcc_lo, exec_lo, s2
	s_cbranch_vccnz .LBB53_161
; %bb.160:
	scratch_load_b64 v[109:110], v113, off
	ds_load_b64 v[132:133], v112
	s_waitcnt vmcnt(0) lgkmcnt(0)
	v_mul_f64 v[109:110], v[109:110], v[132:133]
	s_cbranch_execz .LBB53_162
	s_branch .LBB53_163
.LBB53_161:
                                        ; implicit-def: $vgpr109_vgpr110
.LBB53_162:
	ds_load_b64 v[109:110], v112
.LBB53_163:
	s_and_saveexec_b32 s4, s1
	s_cbranch_execz .LBB53_167
; %bb.164:
	v_mov_b32_e32 v132, 0
	v_subrev_nc_u32_e32 v133, 37, v0
	s_movk_i32 s5, 0x2d8
	s_mov_b32 s1, 0
	s_delay_alu instid0(VALU_DEP_2)
	v_add_nc_u32_e32 v132, 0x128, v132
.LBB53_165:                             ; =>This Inner Loop Header: Depth=1
	scratch_load_b64 v[134:135], v132, off
	v_dual_mov_b32 v136, s5 :: v_dual_add_nc_u32 v133, -1, v133
	v_add_nc_u32_e32 v132, 8, v132
	s_add_i32 s5, s5, 8
	ds_load_b64 v[136:137], v136
	v_cmp_eq_u32_e32 vcc_lo, 0, v133
	s_or_b32 s1, vcc_lo, s1
	s_waitcnt vmcnt(0) lgkmcnt(0)
	v_fma_f64 v[109:110], v[134:135], v[136:137], v[109:110]
	s_and_not1_b32 exec_lo, exec_lo, s1
	s_cbranch_execnz .LBB53_165
; %bb.166:
	s_or_b32 exec_lo, exec_lo, s1
.LBB53_167:
	s_delay_alu instid0(SALU_CYCLE_1)
	s_or_b32 exec_lo, exec_lo, s4
	v_mov_b32_e32 v132, 0
	ds_load_b64 v[132:133], v132 offset:288
	s_waitcnt lgkmcnt(0)
	v_mul_f64 v[109:110], v[109:110], v[132:133]
	scratch_store_b64 off, v[109:110], off offset:288
.LBB53_168:
	s_or_b32 exec_lo, exec_lo, s3
	scratch_load_b64 v[109:110], off, off offset:280
	v_cmp_lt_u32_e64 s1, 35, v0
	s_waitcnt vmcnt(0)
	ds_store_b64 v112, v[109:110]
	s_waitcnt lgkmcnt(0)
	s_waitcnt_vscnt null, 0x0
	s_barrier
	buffer_gl0_inv
	s_and_saveexec_b32 s3, s1
	s_cbranch_execz .LBB53_178
; %bb.169:
	s_and_not1_b32 vcc_lo, exec_lo, s2
	s_cbranch_vccnz .LBB53_171
; %bb.170:
	scratch_load_b64 v[109:110], v113, off
	ds_load_b64 v[132:133], v112
	s_waitcnt vmcnt(0) lgkmcnt(0)
	v_mul_f64 v[109:110], v[109:110], v[132:133]
	s_cbranch_execz .LBB53_172
	s_branch .LBB53_173
.LBB53_171:
                                        ; implicit-def: $vgpr109_vgpr110
.LBB53_172:
	ds_load_b64 v[109:110], v112
.LBB53_173:
	s_and_saveexec_b32 s4, s0
	s_cbranch_execz .LBB53_177
; %bb.174:
	v_subrev_nc_u32_e32 v132, 36, v0
	s_movk_i32 s5, 0x2d0
	s_mov_b32 s0, 0
.LBB53_175:                             ; =>This Inner Loop Header: Depth=1
	scratch_load_b64 v[133:134], v131, off
	v_dual_mov_b32 v135, s5 :: v_dual_add_nc_u32 v132, -1, v132
	v_add_nc_u32_e32 v131, 8, v131
	s_add_i32 s5, s5, 8
	ds_load_b64 v[135:136], v135
	v_cmp_eq_u32_e32 vcc_lo, 0, v132
	s_or_b32 s0, vcc_lo, s0
	s_waitcnt vmcnt(0) lgkmcnt(0)
	v_fma_f64 v[109:110], v[133:134], v[135:136], v[109:110]
	s_and_not1_b32 exec_lo, exec_lo, s0
	s_cbranch_execnz .LBB53_175
; %bb.176:
	s_or_b32 exec_lo, exec_lo, s0
.LBB53_177:
	s_delay_alu instid0(SALU_CYCLE_1)
	s_or_b32 exec_lo, exec_lo, s4
	v_mov_b32_e32 v131, 0
	ds_load_b64 v[131:132], v131 offset:280
	s_waitcnt lgkmcnt(0)
	v_mul_f64 v[109:110], v[109:110], v[131:132]
	scratch_store_b64 off, v[109:110], off offset:280
.LBB53_178:
	s_or_b32 exec_lo, exec_lo, s3
	scratch_load_b64 v[109:110], off, off offset:272
	v_cmp_lt_u32_e64 s0, 34, v0
	s_waitcnt vmcnt(0)
	ds_store_b64 v112, v[109:110]
	s_waitcnt lgkmcnt(0)
	s_waitcnt_vscnt null, 0x0
	s_barrier
	buffer_gl0_inv
	s_and_saveexec_b32 s3, s0
	s_cbranch_execz .LBB53_188
; %bb.179:
	s_and_not1_b32 vcc_lo, exec_lo, s2
	s_cbranch_vccnz .LBB53_181
; %bb.180:
	scratch_load_b64 v[109:110], v113, off
	ds_load_b64 v[131:132], v112
	s_waitcnt vmcnt(0) lgkmcnt(0)
	v_mul_f64 v[109:110], v[109:110], v[131:132]
	s_cbranch_execz .LBB53_182
	s_branch .LBB53_183
.LBB53_181:
                                        ; implicit-def: $vgpr109_vgpr110
.LBB53_182:
	ds_load_b64 v[109:110], v112
.LBB53_183:
	s_and_saveexec_b32 s4, s1
	s_cbranch_execz .LBB53_187
; %bb.184:
	v_mov_b32_e32 v131, 0
	v_subrev_nc_u32_e32 v132, 35, v0
	s_movk_i32 s5, 0x2c8
	s_mov_b32 s1, 0
	s_delay_alu instid0(VALU_DEP_2)
	v_add_nc_u32_e32 v131, 0x118, v131
.LBB53_185:                             ; =>This Inner Loop Header: Depth=1
	scratch_load_b64 v[133:134], v131, off
	v_dual_mov_b32 v135, s5 :: v_dual_add_nc_u32 v132, -1, v132
	v_add_nc_u32_e32 v131, 8, v131
	s_add_i32 s5, s5, 8
	ds_load_b64 v[135:136], v135
	v_cmp_eq_u32_e32 vcc_lo, 0, v132
	s_or_b32 s1, vcc_lo, s1
	s_waitcnt vmcnt(0) lgkmcnt(0)
	v_fma_f64 v[109:110], v[133:134], v[135:136], v[109:110]
	s_and_not1_b32 exec_lo, exec_lo, s1
	s_cbranch_execnz .LBB53_185
; %bb.186:
	s_or_b32 exec_lo, exec_lo, s1
.LBB53_187:
	s_delay_alu instid0(SALU_CYCLE_1)
	s_or_b32 exec_lo, exec_lo, s4
	v_mov_b32_e32 v131, 0
	ds_load_b64 v[131:132], v131 offset:272
	s_waitcnt lgkmcnt(0)
	v_mul_f64 v[109:110], v[109:110], v[131:132]
	scratch_store_b64 off, v[109:110], off offset:272
.LBB53_188:
	s_or_b32 exec_lo, exec_lo, s3
	scratch_load_b64 v[109:110], off, off offset:264
	v_cmp_lt_u32_e64 s1, 33, v0
	s_waitcnt vmcnt(0)
	ds_store_b64 v112, v[109:110]
	s_waitcnt lgkmcnt(0)
	s_waitcnt_vscnt null, 0x0
	s_barrier
	buffer_gl0_inv
	s_and_saveexec_b32 s3, s1
	s_cbranch_execz .LBB53_198
; %bb.189:
	s_and_not1_b32 vcc_lo, exec_lo, s2
	s_cbranch_vccnz .LBB53_191
; %bb.190:
	scratch_load_b64 v[109:110], v113, off
	ds_load_b64 v[131:132], v112
	s_waitcnt vmcnt(0) lgkmcnt(0)
	v_mul_f64 v[109:110], v[109:110], v[131:132]
	s_cbranch_execz .LBB53_192
	s_branch .LBB53_193
.LBB53_191:
                                        ; implicit-def: $vgpr109_vgpr110
.LBB53_192:
	ds_load_b64 v[109:110], v112
.LBB53_193:
	s_and_saveexec_b32 s4, s0
	s_cbranch_execz .LBB53_197
; %bb.194:
	v_subrev_nc_u32_e32 v131, 34, v0
	s_movk_i32 s5, 0x2c0
	s_mov_b32 s0, 0
.LBB53_195:                             ; =>This Inner Loop Header: Depth=1
	scratch_load_b64 v[132:133], v130, off
	v_dual_mov_b32 v134, s5 :: v_dual_add_nc_u32 v131, -1, v131
	v_add_nc_u32_e32 v130, 8, v130
	s_add_i32 s5, s5, 8
	ds_load_b64 v[134:135], v134
	v_cmp_eq_u32_e32 vcc_lo, 0, v131
	s_or_b32 s0, vcc_lo, s0
	s_waitcnt vmcnt(0) lgkmcnt(0)
	v_fma_f64 v[109:110], v[132:133], v[134:135], v[109:110]
	s_and_not1_b32 exec_lo, exec_lo, s0
	s_cbranch_execnz .LBB53_195
; %bb.196:
	s_or_b32 exec_lo, exec_lo, s0
.LBB53_197:
	s_delay_alu instid0(SALU_CYCLE_1)
	s_or_b32 exec_lo, exec_lo, s4
	v_mov_b32_e32 v130, 0
	ds_load_b64 v[130:131], v130 offset:264
	s_waitcnt lgkmcnt(0)
	v_mul_f64 v[109:110], v[109:110], v[130:131]
	scratch_store_b64 off, v[109:110], off offset:264
.LBB53_198:
	s_or_b32 exec_lo, exec_lo, s3
	scratch_load_b64 v[109:110], off, off offset:256
	v_cmp_lt_u32_e64 s0, 32, v0
	s_waitcnt vmcnt(0)
	ds_store_b64 v112, v[109:110]
	s_waitcnt lgkmcnt(0)
	s_waitcnt_vscnt null, 0x0
	s_barrier
	buffer_gl0_inv
	s_and_saveexec_b32 s3, s0
	s_cbranch_execz .LBB53_208
; %bb.199:
	s_and_not1_b32 vcc_lo, exec_lo, s2
	s_cbranch_vccnz .LBB53_201
; %bb.200:
	scratch_load_b64 v[109:110], v113, off
	ds_load_b64 v[130:131], v112
	s_waitcnt vmcnt(0) lgkmcnt(0)
	v_mul_f64 v[109:110], v[109:110], v[130:131]
	s_cbranch_execz .LBB53_202
	s_branch .LBB53_203
.LBB53_201:
                                        ; implicit-def: $vgpr109_vgpr110
.LBB53_202:
	ds_load_b64 v[109:110], v112
.LBB53_203:
	s_and_saveexec_b32 s4, s1
	s_cbranch_execz .LBB53_207
; %bb.204:
	v_mov_b32_e32 v130, 0
	v_subrev_nc_u32_e32 v131, 33, v0
	s_movk_i32 s5, 0x2b8
	s_mov_b32 s1, 0
	s_delay_alu instid0(VALU_DEP_2)
	v_add_nc_u32_e32 v130, 0x108, v130
.LBB53_205:                             ; =>This Inner Loop Header: Depth=1
	scratch_load_b64 v[132:133], v130, off
	v_dual_mov_b32 v134, s5 :: v_dual_add_nc_u32 v131, -1, v131
	v_add_nc_u32_e32 v130, 8, v130
	s_add_i32 s5, s5, 8
	ds_load_b64 v[134:135], v134
	v_cmp_eq_u32_e32 vcc_lo, 0, v131
	s_or_b32 s1, vcc_lo, s1
	s_waitcnt vmcnt(0) lgkmcnt(0)
	v_fma_f64 v[109:110], v[132:133], v[134:135], v[109:110]
	s_and_not1_b32 exec_lo, exec_lo, s1
	s_cbranch_execnz .LBB53_205
; %bb.206:
	s_or_b32 exec_lo, exec_lo, s1
.LBB53_207:
	s_delay_alu instid0(SALU_CYCLE_1)
	s_or_b32 exec_lo, exec_lo, s4
	v_mov_b32_e32 v130, 0
	ds_load_b64 v[130:131], v130 offset:256
	s_waitcnt lgkmcnt(0)
	v_mul_f64 v[109:110], v[109:110], v[130:131]
	scratch_store_b64 off, v[109:110], off offset:256
.LBB53_208:
	s_or_b32 exec_lo, exec_lo, s3
	scratch_load_b64 v[109:110], off, off offset:248
	v_cmp_lt_u32_e64 s1, 31, v0
	s_waitcnt vmcnt(0)
	ds_store_b64 v112, v[109:110]
	s_waitcnt lgkmcnt(0)
	s_waitcnt_vscnt null, 0x0
	s_barrier
	buffer_gl0_inv
	s_and_saveexec_b32 s3, s1
	s_cbranch_execz .LBB53_218
; %bb.209:
	s_and_not1_b32 vcc_lo, exec_lo, s2
	s_cbranch_vccnz .LBB53_211
; %bb.210:
	scratch_load_b64 v[109:110], v113, off
	ds_load_b64 v[130:131], v112
	s_waitcnt vmcnt(0) lgkmcnt(0)
	v_mul_f64 v[109:110], v[109:110], v[130:131]
	s_cbranch_execz .LBB53_212
	s_branch .LBB53_213
.LBB53_211:
                                        ; implicit-def: $vgpr109_vgpr110
.LBB53_212:
	ds_load_b64 v[109:110], v112
.LBB53_213:
	s_and_saveexec_b32 s4, s0
	s_cbranch_execz .LBB53_217
; %bb.214:
	v_subrev_nc_u32_e32 v130, 32, v0
	s_movk_i32 s5, 0x2b0
	s_mov_b32 s0, 0
.LBB53_215:                             ; =>This Inner Loop Header: Depth=1
	scratch_load_b64 v[131:132], v129, off
	v_dual_mov_b32 v133, s5 :: v_dual_add_nc_u32 v130, -1, v130
	v_add_nc_u32_e32 v129, 8, v129
	s_add_i32 s5, s5, 8
	ds_load_b64 v[133:134], v133
	v_cmp_eq_u32_e32 vcc_lo, 0, v130
	s_or_b32 s0, vcc_lo, s0
	s_waitcnt vmcnt(0) lgkmcnt(0)
	v_fma_f64 v[109:110], v[131:132], v[133:134], v[109:110]
	s_and_not1_b32 exec_lo, exec_lo, s0
	s_cbranch_execnz .LBB53_215
; %bb.216:
	s_or_b32 exec_lo, exec_lo, s0
.LBB53_217:
	s_delay_alu instid0(SALU_CYCLE_1)
	s_or_b32 exec_lo, exec_lo, s4
	v_mov_b32_e32 v129, 0
	ds_load_b64 v[129:130], v129 offset:248
	s_waitcnt lgkmcnt(0)
	v_mul_f64 v[109:110], v[109:110], v[129:130]
	scratch_store_b64 off, v[109:110], off offset:248
.LBB53_218:
	s_or_b32 exec_lo, exec_lo, s3
	scratch_load_b64 v[109:110], off, off offset:240
	v_cmp_lt_u32_e64 s0, 30, v0
	s_waitcnt vmcnt(0)
	ds_store_b64 v112, v[109:110]
	s_waitcnt lgkmcnt(0)
	s_waitcnt_vscnt null, 0x0
	s_barrier
	buffer_gl0_inv
	s_and_saveexec_b32 s3, s0
	s_cbranch_execz .LBB53_228
; %bb.219:
	s_and_not1_b32 vcc_lo, exec_lo, s2
	s_cbranch_vccnz .LBB53_221
; %bb.220:
	scratch_load_b64 v[109:110], v113, off
	ds_load_b64 v[129:130], v112
	s_waitcnt vmcnt(0) lgkmcnt(0)
	v_mul_f64 v[109:110], v[109:110], v[129:130]
	s_cbranch_execz .LBB53_222
	s_branch .LBB53_223
.LBB53_221:
                                        ; implicit-def: $vgpr109_vgpr110
.LBB53_222:
	ds_load_b64 v[109:110], v112
.LBB53_223:
	s_and_saveexec_b32 s4, s1
	s_cbranch_execz .LBB53_227
; %bb.224:
	v_mov_b32_e32 v129, 0
	v_subrev_nc_u32_e32 v130, 31, v0
	s_movk_i32 s5, 0x2a8
	s_mov_b32 s1, 0
	s_delay_alu instid0(VALU_DEP_2)
	v_add_nc_u32_e32 v129, 0xf8, v129
.LBB53_225:                             ; =>This Inner Loop Header: Depth=1
	scratch_load_b64 v[131:132], v129, off
	v_dual_mov_b32 v133, s5 :: v_dual_add_nc_u32 v130, -1, v130
	v_add_nc_u32_e32 v129, 8, v129
	s_add_i32 s5, s5, 8
	ds_load_b64 v[133:134], v133
	v_cmp_eq_u32_e32 vcc_lo, 0, v130
	s_or_b32 s1, vcc_lo, s1
	s_waitcnt vmcnt(0) lgkmcnt(0)
	v_fma_f64 v[109:110], v[131:132], v[133:134], v[109:110]
	s_and_not1_b32 exec_lo, exec_lo, s1
	s_cbranch_execnz .LBB53_225
; %bb.226:
	s_or_b32 exec_lo, exec_lo, s1
.LBB53_227:
	s_delay_alu instid0(SALU_CYCLE_1)
	s_or_b32 exec_lo, exec_lo, s4
	v_mov_b32_e32 v129, 0
	ds_load_b64 v[129:130], v129 offset:240
	s_waitcnt lgkmcnt(0)
	v_mul_f64 v[109:110], v[109:110], v[129:130]
	scratch_store_b64 off, v[109:110], off offset:240
.LBB53_228:
	s_or_b32 exec_lo, exec_lo, s3
	scratch_load_b64 v[109:110], off, off offset:232
	v_cmp_lt_u32_e64 s1, 29, v0
	s_waitcnt vmcnt(0)
	ds_store_b64 v112, v[109:110]
	s_waitcnt lgkmcnt(0)
	s_waitcnt_vscnt null, 0x0
	s_barrier
	buffer_gl0_inv
	s_and_saveexec_b32 s3, s1
	s_cbranch_execz .LBB53_238
; %bb.229:
	s_and_not1_b32 vcc_lo, exec_lo, s2
	s_cbranch_vccnz .LBB53_231
; %bb.230:
	scratch_load_b64 v[109:110], v113, off
	ds_load_b64 v[129:130], v112
	s_waitcnt vmcnt(0) lgkmcnt(0)
	v_mul_f64 v[109:110], v[109:110], v[129:130]
	s_cbranch_execz .LBB53_232
	s_branch .LBB53_233
.LBB53_231:
                                        ; implicit-def: $vgpr109_vgpr110
.LBB53_232:
	ds_load_b64 v[109:110], v112
.LBB53_233:
	s_and_saveexec_b32 s4, s0
	s_cbranch_execz .LBB53_237
; %bb.234:
	v_subrev_nc_u32_e32 v129, 30, v0
	s_movk_i32 s5, 0x2a0
	s_mov_b32 s0, 0
.LBB53_235:                             ; =>This Inner Loop Header: Depth=1
	scratch_load_b64 v[130:131], v128, off
	v_dual_mov_b32 v132, s5 :: v_dual_add_nc_u32 v129, -1, v129
	v_add_nc_u32_e32 v128, 8, v128
	s_add_i32 s5, s5, 8
	ds_load_b64 v[132:133], v132
	v_cmp_eq_u32_e32 vcc_lo, 0, v129
	s_or_b32 s0, vcc_lo, s0
	s_waitcnt vmcnt(0) lgkmcnt(0)
	v_fma_f64 v[109:110], v[130:131], v[132:133], v[109:110]
	s_and_not1_b32 exec_lo, exec_lo, s0
	s_cbranch_execnz .LBB53_235
; %bb.236:
	s_or_b32 exec_lo, exec_lo, s0
.LBB53_237:
	s_delay_alu instid0(SALU_CYCLE_1)
	s_or_b32 exec_lo, exec_lo, s4
	v_mov_b32_e32 v128, 0
	ds_load_b64 v[128:129], v128 offset:232
	s_waitcnt lgkmcnt(0)
	v_mul_f64 v[109:110], v[109:110], v[128:129]
	scratch_store_b64 off, v[109:110], off offset:232
.LBB53_238:
	s_or_b32 exec_lo, exec_lo, s3
	scratch_load_b64 v[109:110], off, off offset:224
	v_cmp_lt_u32_e64 s0, 28, v0
	s_waitcnt vmcnt(0)
	ds_store_b64 v112, v[109:110]
	s_waitcnt lgkmcnt(0)
	s_waitcnt_vscnt null, 0x0
	s_barrier
	buffer_gl0_inv
	s_and_saveexec_b32 s3, s0
	s_cbranch_execz .LBB53_248
; %bb.239:
	s_and_not1_b32 vcc_lo, exec_lo, s2
	s_cbranch_vccnz .LBB53_241
; %bb.240:
	scratch_load_b64 v[109:110], v113, off
	ds_load_b64 v[128:129], v112
	s_waitcnt vmcnt(0) lgkmcnt(0)
	v_mul_f64 v[109:110], v[109:110], v[128:129]
	s_cbranch_execz .LBB53_242
	s_branch .LBB53_243
.LBB53_241:
                                        ; implicit-def: $vgpr109_vgpr110
.LBB53_242:
	ds_load_b64 v[109:110], v112
.LBB53_243:
	s_and_saveexec_b32 s4, s1
	s_cbranch_execz .LBB53_247
; %bb.244:
	v_mov_b32_e32 v128, 0
	v_subrev_nc_u32_e32 v129, 29, v0
	s_movk_i32 s5, 0x298
	s_mov_b32 s1, 0
	s_delay_alu instid0(VALU_DEP_2)
	v_add_nc_u32_e32 v128, 0xe8, v128
.LBB53_245:                             ; =>This Inner Loop Header: Depth=1
	scratch_load_b64 v[130:131], v128, off
	v_dual_mov_b32 v132, s5 :: v_dual_add_nc_u32 v129, -1, v129
	v_add_nc_u32_e32 v128, 8, v128
	s_add_i32 s5, s5, 8
	ds_load_b64 v[132:133], v132
	v_cmp_eq_u32_e32 vcc_lo, 0, v129
	s_or_b32 s1, vcc_lo, s1
	s_waitcnt vmcnt(0) lgkmcnt(0)
	v_fma_f64 v[109:110], v[130:131], v[132:133], v[109:110]
	s_and_not1_b32 exec_lo, exec_lo, s1
	s_cbranch_execnz .LBB53_245
; %bb.246:
	s_or_b32 exec_lo, exec_lo, s1
.LBB53_247:
	s_delay_alu instid0(SALU_CYCLE_1)
	s_or_b32 exec_lo, exec_lo, s4
	v_mov_b32_e32 v128, 0
	ds_load_b64 v[128:129], v128 offset:224
	s_waitcnt lgkmcnt(0)
	v_mul_f64 v[109:110], v[109:110], v[128:129]
	scratch_store_b64 off, v[109:110], off offset:224
.LBB53_248:
	s_or_b32 exec_lo, exec_lo, s3
	scratch_load_b64 v[109:110], off, off offset:216
	v_cmp_lt_u32_e64 s1, 27, v0
	s_waitcnt vmcnt(0)
	ds_store_b64 v112, v[109:110]
	s_waitcnt lgkmcnt(0)
	s_waitcnt_vscnt null, 0x0
	s_barrier
	buffer_gl0_inv
	s_and_saveexec_b32 s3, s1
	s_cbranch_execz .LBB53_258
; %bb.249:
	s_and_not1_b32 vcc_lo, exec_lo, s2
	s_cbranch_vccnz .LBB53_251
; %bb.250:
	scratch_load_b64 v[109:110], v113, off
	ds_load_b64 v[128:129], v112
	s_waitcnt vmcnt(0) lgkmcnt(0)
	v_mul_f64 v[109:110], v[109:110], v[128:129]
	s_cbranch_execz .LBB53_252
	s_branch .LBB53_253
.LBB53_251:
                                        ; implicit-def: $vgpr109_vgpr110
.LBB53_252:
	ds_load_b64 v[109:110], v112
.LBB53_253:
	s_and_saveexec_b32 s4, s0
	s_cbranch_execz .LBB53_257
; %bb.254:
	v_subrev_nc_u32_e32 v128, 28, v0
	s_movk_i32 s5, 0x290
	s_mov_b32 s0, 0
.LBB53_255:                             ; =>This Inner Loop Header: Depth=1
	scratch_load_b64 v[129:130], v127, off
	v_dual_mov_b32 v131, s5 :: v_dual_add_nc_u32 v128, -1, v128
	v_add_nc_u32_e32 v127, 8, v127
	s_add_i32 s5, s5, 8
	ds_load_b64 v[131:132], v131
	v_cmp_eq_u32_e32 vcc_lo, 0, v128
	s_or_b32 s0, vcc_lo, s0
	s_waitcnt vmcnt(0) lgkmcnt(0)
	v_fma_f64 v[109:110], v[129:130], v[131:132], v[109:110]
	s_and_not1_b32 exec_lo, exec_lo, s0
	s_cbranch_execnz .LBB53_255
; %bb.256:
	s_or_b32 exec_lo, exec_lo, s0
.LBB53_257:
	s_delay_alu instid0(SALU_CYCLE_1)
	s_or_b32 exec_lo, exec_lo, s4
	v_mov_b32_e32 v127, 0
	ds_load_b64 v[127:128], v127 offset:216
	s_waitcnt lgkmcnt(0)
	v_mul_f64 v[109:110], v[109:110], v[127:128]
	scratch_store_b64 off, v[109:110], off offset:216
.LBB53_258:
	s_or_b32 exec_lo, exec_lo, s3
	scratch_load_b64 v[109:110], off, off offset:208
	v_cmp_lt_u32_e64 s0, 26, v0
	s_waitcnt vmcnt(0)
	ds_store_b64 v112, v[109:110]
	s_waitcnt lgkmcnt(0)
	s_waitcnt_vscnt null, 0x0
	s_barrier
	buffer_gl0_inv
	s_and_saveexec_b32 s3, s0
	s_cbranch_execz .LBB53_268
; %bb.259:
	s_and_not1_b32 vcc_lo, exec_lo, s2
	s_cbranch_vccnz .LBB53_261
; %bb.260:
	scratch_load_b64 v[109:110], v113, off
	ds_load_b64 v[127:128], v112
	s_waitcnt vmcnt(0) lgkmcnt(0)
	v_mul_f64 v[109:110], v[109:110], v[127:128]
	s_cbranch_execz .LBB53_262
	s_branch .LBB53_263
.LBB53_261:
                                        ; implicit-def: $vgpr109_vgpr110
.LBB53_262:
	ds_load_b64 v[109:110], v112
.LBB53_263:
	s_and_saveexec_b32 s4, s1
	s_cbranch_execz .LBB53_267
; %bb.264:
	v_mov_b32_e32 v127, 0
	v_subrev_nc_u32_e32 v128, 27, v0
	s_movk_i32 s5, 0x288
	s_mov_b32 s1, 0
	s_delay_alu instid0(VALU_DEP_2)
	v_add_nc_u32_e32 v127, 0xd8, v127
.LBB53_265:                             ; =>This Inner Loop Header: Depth=1
	scratch_load_b64 v[129:130], v127, off
	v_dual_mov_b32 v131, s5 :: v_dual_add_nc_u32 v128, -1, v128
	v_add_nc_u32_e32 v127, 8, v127
	s_add_i32 s5, s5, 8
	ds_load_b64 v[131:132], v131
	v_cmp_eq_u32_e32 vcc_lo, 0, v128
	s_or_b32 s1, vcc_lo, s1
	s_waitcnt vmcnt(0) lgkmcnt(0)
	v_fma_f64 v[109:110], v[129:130], v[131:132], v[109:110]
	s_and_not1_b32 exec_lo, exec_lo, s1
	s_cbranch_execnz .LBB53_265
; %bb.266:
	s_or_b32 exec_lo, exec_lo, s1
.LBB53_267:
	s_delay_alu instid0(SALU_CYCLE_1)
	s_or_b32 exec_lo, exec_lo, s4
	v_mov_b32_e32 v127, 0
	ds_load_b64 v[127:128], v127 offset:208
	s_waitcnt lgkmcnt(0)
	v_mul_f64 v[109:110], v[109:110], v[127:128]
	scratch_store_b64 off, v[109:110], off offset:208
.LBB53_268:
	s_or_b32 exec_lo, exec_lo, s3
	scratch_load_b64 v[109:110], off, off offset:200
	v_cmp_lt_u32_e64 s1, 25, v0
	s_waitcnt vmcnt(0)
	ds_store_b64 v112, v[109:110]
	s_waitcnt lgkmcnt(0)
	s_waitcnt_vscnt null, 0x0
	s_barrier
	buffer_gl0_inv
	s_and_saveexec_b32 s3, s1
	s_cbranch_execz .LBB53_278
; %bb.269:
	s_and_not1_b32 vcc_lo, exec_lo, s2
	s_cbranch_vccnz .LBB53_271
; %bb.270:
	scratch_load_b64 v[109:110], v113, off
	ds_load_b64 v[127:128], v112
	s_waitcnt vmcnt(0) lgkmcnt(0)
	v_mul_f64 v[109:110], v[109:110], v[127:128]
	s_cbranch_execz .LBB53_272
	s_branch .LBB53_273
.LBB53_271:
                                        ; implicit-def: $vgpr109_vgpr110
.LBB53_272:
	ds_load_b64 v[109:110], v112
.LBB53_273:
	s_and_saveexec_b32 s4, s0
	s_cbranch_execz .LBB53_277
; %bb.274:
	v_subrev_nc_u32_e32 v127, 26, v0
	s_movk_i32 s5, 0x280
	s_mov_b32 s0, 0
.LBB53_275:                             ; =>This Inner Loop Header: Depth=1
	scratch_load_b64 v[128:129], v126, off
	v_dual_mov_b32 v130, s5 :: v_dual_add_nc_u32 v127, -1, v127
	v_add_nc_u32_e32 v126, 8, v126
	s_add_i32 s5, s5, 8
	ds_load_b64 v[130:131], v130
	v_cmp_eq_u32_e32 vcc_lo, 0, v127
	s_or_b32 s0, vcc_lo, s0
	s_waitcnt vmcnt(0) lgkmcnt(0)
	v_fma_f64 v[109:110], v[128:129], v[130:131], v[109:110]
	s_and_not1_b32 exec_lo, exec_lo, s0
	s_cbranch_execnz .LBB53_275
; %bb.276:
	s_or_b32 exec_lo, exec_lo, s0
.LBB53_277:
	s_delay_alu instid0(SALU_CYCLE_1)
	s_or_b32 exec_lo, exec_lo, s4
	v_mov_b32_e32 v126, 0
	ds_load_b64 v[126:127], v126 offset:200
	s_waitcnt lgkmcnt(0)
	v_mul_f64 v[109:110], v[109:110], v[126:127]
	scratch_store_b64 off, v[109:110], off offset:200
.LBB53_278:
	s_or_b32 exec_lo, exec_lo, s3
	scratch_load_b64 v[109:110], off, off offset:192
	v_cmp_lt_u32_e64 s0, 24, v0
	s_waitcnt vmcnt(0)
	ds_store_b64 v112, v[109:110]
	s_waitcnt lgkmcnt(0)
	s_waitcnt_vscnt null, 0x0
	s_barrier
	buffer_gl0_inv
	s_and_saveexec_b32 s3, s0
	s_cbranch_execz .LBB53_288
; %bb.279:
	s_and_not1_b32 vcc_lo, exec_lo, s2
	s_cbranch_vccnz .LBB53_281
; %bb.280:
	scratch_load_b64 v[109:110], v113, off
	ds_load_b64 v[126:127], v112
	s_waitcnt vmcnt(0) lgkmcnt(0)
	v_mul_f64 v[109:110], v[109:110], v[126:127]
	s_cbranch_execz .LBB53_282
	s_branch .LBB53_283
.LBB53_281:
                                        ; implicit-def: $vgpr109_vgpr110
.LBB53_282:
	ds_load_b64 v[109:110], v112
.LBB53_283:
	s_and_saveexec_b32 s4, s1
	s_cbranch_execz .LBB53_287
; %bb.284:
	v_mov_b32_e32 v126, 0
	v_subrev_nc_u32_e32 v127, 25, v0
	s_movk_i32 s5, 0x278
	s_mov_b32 s1, 0
	s_delay_alu instid0(VALU_DEP_2)
	v_add_nc_u32_e32 v126, 0xc8, v126
.LBB53_285:                             ; =>This Inner Loop Header: Depth=1
	scratch_load_b64 v[128:129], v126, off
	v_dual_mov_b32 v130, s5 :: v_dual_add_nc_u32 v127, -1, v127
	v_add_nc_u32_e32 v126, 8, v126
	s_add_i32 s5, s5, 8
	ds_load_b64 v[130:131], v130
	v_cmp_eq_u32_e32 vcc_lo, 0, v127
	s_or_b32 s1, vcc_lo, s1
	s_waitcnt vmcnt(0) lgkmcnt(0)
	v_fma_f64 v[109:110], v[128:129], v[130:131], v[109:110]
	s_and_not1_b32 exec_lo, exec_lo, s1
	s_cbranch_execnz .LBB53_285
; %bb.286:
	s_or_b32 exec_lo, exec_lo, s1
.LBB53_287:
	s_delay_alu instid0(SALU_CYCLE_1)
	s_or_b32 exec_lo, exec_lo, s4
	v_mov_b32_e32 v126, 0
	ds_load_b64 v[126:127], v126 offset:192
	s_waitcnt lgkmcnt(0)
	v_mul_f64 v[109:110], v[109:110], v[126:127]
	scratch_store_b64 off, v[109:110], off offset:192
.LBB53_288:
	s_or_b32 exec_lo, exec_lo, s3
	scratch_load_b64 v[109:110], off, off offset:184
	v_cmp_lt_u32_e64 s1, 23, v0
	s_waitcnt vmcnt(0)
	ds_store_b64 v112, v[109:110]
	s_waitcnt lgkmcnt(0)
	s_waitcnt_vscnt null, 0x0
	s_barrier
	buffer_gl0_inv
	s_and_saveexec_b32 s3, s1
	s_cbranch_execz .LBB53_298
; %bb.289:
	s_and_not1_b32 vcc_lo, exec_lo, s2
	s_cbranch_vccnz .LBB53_291
; %bb.290:
	scratch_load_b64 v[109:110], v113, off
	ds_load_b64 v[126:127], v112
	s_waitcnt vmcnt(0) lgkmcnt(0)
	v_mul_f64 v[109:110], v[109:110], v[126:127]
	s_cbranch_execz .LBB53_292
	s_branch .LBB53_293
.LBB53_291:
                                        ; implicit-def: $vgpr109_vgpr110
.LBB53_292:
	ds_load_b64 v[109:110], v112
.LBB53_293:
	s_and_saveexec_b32 s4, s0
	s_cbranch_execz .LBB53_297
; %bb.294:
	v_subrev_nc_u32_e32 v126, 24, v0
	s_movk_i32 s5, 0x270
	s_mov_b32 s0, 0
.LBB53_295:                             ; =>This Inner Loop Header: Depth=1
	scratch_load_b64 v[127:128], v125, off
	v_dual_mov_b32 v129, s5 :: v_dual_add_nc_u32 v126, -1, v126
	v_add_nc_u32_e32 v125, 8, v125
	s_add_i32 s5, s5, 8
	ds_load_b64 v[129:130], v129
	v_cmp_eq_u32_e32 vcc_lo, 0, v126
	s_or_b32 s0, vcc_lo, s0
	s_waitcnt vmcnt(0) lgkmcnt(0)
	v_fma_f64 v[109:110], v[127:128], v[129:130], v[109:110]
	s_and_not1_b32 exec_lo, exec_lo, s0
	s_cbranch_execnz .LBB53_295
; %bb.296:
	s_or_b32 exec_lo, exec_lo, s0
.LBB53_297:
	s_delay_alu instid0(SALU_CYCLE_1)
	s_or_b32 exec_lo, exec_lo, s4
	v_mov_b32_e32 v125, 0
	ds_load_b64 v[125:126], v125 offset:184
	s_waitcnt lgkmcnt(0)
	v_mul_f64 v[109:110], v[109:110], v[125:126]
	scratch_store_b64 off, v[109:110], off offset:184
.LBB53_298:
	s_or_b32 exec_lo, exec_lo, s3
	scratch_load_b64 v[109:110], off, off offset:176
	v_cmp_lt_u32_e64 s0, 22, v0
	s_waitcnt vmcnt(0)
	ds_store_b64 v112, v[109:110]
	s_waitcnt lgkmcnt(0)
	s_waitcnt_vscnt null, 0x0
	s_barrier
	buffer_gl0_inv
	s_and_saveexec_b32 s3, s0
	s_cbranch_execz .LBB53_308
; %bb.299:
	s_and_not1_b32 vcc_lo, exec_lo, s2
	s_cbranch_vccnz .LBB53_301
; %bb.300:
	scratch_load_b64 v[109:110], v113, off
	ds_load_b64 v[125:126], v112
	s_waitcnt vmcnt(0) lgkmcnt(0)
	v_mul_f64 v[109:110], v[109:110], v[125:126]
	s_cbranch_execz .LBB53_302
	s_branch .LBB53_303
.LBB53_301:
                                        ; implicit-def: $vgpr109_vgpr110
.LBB53_302:
	ds_load_b64 v[109:110], v112
.LBB53_303:
	s_and_saveexec_b32 s4, s1
	s_cbranch_execz .LBB53_307
; %bb.304:
	v_mov_b32_e32 v125, 0
	v_subrev_nc_u32_e32 v126, 23, v0
	s_movk_i32 s5, 0x268
	s_mov_b32 s1, 0
	s_delay_alu instid0(VALU_DEP_2)
	v_add_nc_u32_e32 v125, 0xb8, v125
.LBB53_305:                             ; =>This Inner Loop Header: Depth=1
	scratch_load_b64 v[127:128], v125, off
	v_dual_mov_b32 v129, s5 :: v_dual_add_nc_u32 v126, -1, v126
	v_add_nc_u32_e32 v125, 8, v125
	s_add_i32 s5, s5, 8
	ds_load_b64 v[129:130], v129
	v_cmp_eq_u32_e32 vcc_lo, 0, v126
	s_or_b32 s1, vcc_lo, s1
	s_waitcnt vmcnt(0) lgkmcnt(0)
	v_fma_f64 v[109:110], v[127:128], v[129:130], v[109:110]
	s_and_not1_b32 exec_lo, exec_lo, s1
	s_cbranch_execnz .LBB53_305
; %bb.306:
	s_or_b32 exec_lo, exec_lo, s1
.LBB53_307:
	s_delay_alu instid0(SALU_CYCLE_1)
	s_or_b32 exec_lo, exec_lo, s4
	v_mov_b32_e32 v125, 0
	ds_load_b64 v[125:126], v125 offset:176
	s_waitcnt lgkmcnt(0)
	v_mul_f64 v[109:110], v[109:110], v[125:126]
	scratch_store_b64 off, v[109:110], off offset:176
.LBB53_308:
	s_or_b32 exec_lo, exec_lo, s3
	scratch_load_b64 v[109:110], off, off offset:168
	v_cmp_lt_u32_e64 s1, 21, v0
	s_waitcnt vmcnt(0)
	ds_store_b64 v112, v[109:110]
	s_waitcnt lgkmcnt(0)
	s_waitcnt_vscnt null, 0x0
	s_barrier
	buffer_gl0_inv
	s_and_saveexec_b32 s3, s1
	s_cbranch_execz .LBB53_318
; %bb.309:
	s_and_not1_b32 vcc_lo, exec_lo, s2
	s_cbranch_vccnz .LBB53_311
; %bb.310:
	scratch_load_b64 v[109:110], v113, off
	ds_load_b64 v[125:126], v112
	s_waitcnt vmcnt(0) lgkmcnt(0)
	v_mul_f64 v[109:110], v[109:110], v[125:126]
	s_cbranch_execz .LBB53_312
	s_branch .LBB53_313
.LBB53_311:
                                        ; implicit-def: $vgpr109_vgpr110
.LBB53_312:
	ds_load_b64 v[109:110], v112
.LBB53_313:
	s_and_saveexec_b32 s4, s0
	s_cbranch_execz .LBB53_317
; %bb.314:
	v_subrev_nc_u32_e32 v125, 22, v0
	s_movk_i32 s5, 0x260
	s_mov_b32 s0, 0
.LBB53_315:                             ; =>This Inner Loop Header: Depth=1
	scratch_load_b64 v[126:127], v124, off
	v_dual_mov_b32 v128, s5 :: v_dual_add_nc_u32 v125, -1, v125
	v_add_nc_u32_e32 v124, 8, v124
	s_add_i32 s5, s5, 8
	ds_load_b64 v[128:129], v128
	v_cmp_eq_u32_e32 vcc_lo, 0, v125
	s_or_b32 s0, vcc_lo, s0
	s_waitcnt vmcnt(0) lgkmcnt(0)
	v_fma_f64 v[109:110], v[126:127], v[128:129], v[109:110]
	s_and_not1_b32 exec_lo, exec_lo, s0
	s_cbranch_execnz .LBB53_315
; %bb.316:
	s_or_b32 exec_lo, exec_lo, s0
.LBB53_317:
	s_delay_alu instid0(SALU_CYCLE_1)
	s_or_b32 exec_lo, exec_lo, s4
	v_mov_b32_e32 v124, 0
	ds_load_b64 v[124:125], v124 offset:168
	s_waitcnt lgkmcnt(0)
	v_mul_f64 v[109:110], v[109:110], v[124:125]
	scratch_store_b64 off, v[109:110], off offset:168
.LBB53_318:
	s_or_b32 exec_lo, exec_lo, s3
	scratch_load_b64 v[109:110], off, off offset:160
	v_cmp_lt_u32_e64 s0, 20, v0
	s_waitcnt vmcnt(0)
	ds_store_b64 v112, v[109:110]
	s_waitcnt lgkmcnt(0)
	s_waitcnt_vscnt null, 0x0
	s_barrier
	buffer_gl0_inv
	s_and_saveexec_b32 s3, s0
	s_cbranch_execz .LBB53_328
; %bb.319:
	s_and_not1_b32 vcc_lo, exec_lo, s2
	s_cbranch_vccnz .LBB53_321
; %bb.320:
	scratch_load_b64 v[109:110], v113, off
	ds_load_b64 v[124:125], v112
	s_waitcnt vmcnt(0) lgkmcnt(0)
	v_mul_f64 v[109:110], v[109:110], v[124:125]
	s_cbranch_execz .LBB53_322
	s_branch .LBB53_323
.LBB53_321:
                                        ; implicit-def: $vgpr109_vgpr110
.LBB53_322:
	ds_load_b64 v[109:110], v112
.LBB53_323:
	s_and_saveexec_b32 s4, s1
	s_cbranch_execz .LBB53_327
; %bb.324:
	v_mov_b32_e32 v124, 0
	v_subrev_nc_u32_e32 v125, 21, v0
	s_movk_i32 s5, 0x258
	s_mov_b32 s1, 0
	s_delay_alu instid0(VALU_DEP_2)
	v_add_nc_u32_e32 v124, 0xa8, v124
.LBB53_325:                             ; =>This Inner Loop Header: Depth=1
	scratch_load_b64 v[126:127], v124, off
	v_dual_mov_b32 v128, s5 :: v_dual_add_nc_u32 v125, -1, v125
	v_add_nc_u32_e32 v124, 8, v124
	s_add_i32 s5, s5, 8
	ds_load_b64 v[128:129], v128
	v_cmp_eq_u32_e32 vcc_lo, 0, v125
	s_or_b32 s1, vcc_lo, s1
	s_waitcnt vmcnt(0) lgkmcnt(0)
	v_fma_f64 v[109:110], v[126:127], v[128:129], v[109:110]
	s_and_not1_b32 exec_lo, exec_lo, s1
	s_cbranch_execnz .LBB53_325
; %bb.326:
	s_or_b32 exec_lo, exec_lo, s1
.LBB53_327:
	s_delay_alu instid0(SALU_CYCLE_1)
	s_or_b32 exec_lo, exec_lo, s4
	v_mov_b32_e32 v124, 0
	ds_load_b64 v[124:125], v124 offset:160
	s_waitcnt lgkmcnt(0)
	v_mul_f64 v[109:110], v[109:110], v[124:125]
	scratch_store_b64 off, v[109:110], off offset:160
.LBB53_328:
	s_or_b32 exec_lo, exec_lo, s3
	scratch_load_b64 v[109:110], off, off offset:152
	v_cmp_lt_u32_e64 s1, 19, v0
	s_waitcnt vmcnt(0)
	ds_store_b64 v112, v[109:110]
	s_waitcnt lgkmcnt(0)
	s_waitcnt_vscnt null, 0x0
	s_barrier
	buffer_gl0_inv
	s_and_saveexec_b32 s3, s1
	s_cbranch_execz .LBB53_338
; %bb.329:
	s_and_not1_b32 vcc_lo, exec_lo, s2
	s_cbranch_vccnz .LBB53_331
; %bb.330:
	scratch_load_b64 v[109:110], v113, off
	ds_load_b64 v[124:125], v112
	s_waitcnt vmcnt(0) lgkmcnt(0)
	v_mul_f64 v[109:110], v[109:110], v[124:125]
	s_cbranch_execz .LBB53_332
	s_branch .LBB53_333
.LBB53_331:
                                        ; implicit-def: $vgpr109_vgpr110
.LBB53_332:
	ds_load_b64 v[109:110], v112
.LBB53_333:
	s_and_saveexec_b32 s4, s0
	s_cbranch_execz .LBB53_337
; %bb.334:
	v_subrev_nc_u32_e32 v124, 20, v0
	s_movk_i32 s5, 0x250
	s_mov_b32 s0, 0
.LBB53_335:                             ; =>This Inner Loop Header: Depth=1
	scratch_load_b64 v[125:126], v123, off
	v_dual_mov_b32 v127, s5 :: v_dual_add_nc_u32 v124, -1, v124
	v_add_nc_u32_e32 v123, 8, v123
	s_add_i32 s5, s5, 8
	ds_load_b64 v[127:128], v127
	v_cmp_eq_u32_e32 vcc_lo, 0, v124
	s_or_b32 s0, vcc_lo, s0
	s_waitcnt vmcnt(0) lgkmcnt(0)
	v_fma_f64 v[109:110], v[125:126], v[127:128], v[109:110]
	s_and_not1_b32 exec_lo, exec_lo, s0
	s_cbranch_execnz .LBB53_335
; %bb.336:
	s_or_b32 exec_lo, exec_lo, s0
.LBB53_337:
	s_delay_alu instid0(SALU_CYCLE_1)
	s_or_b32 exec_lo, exec_lo, s4
	v_mov_b32_e32 v123, 0
	ds_load_b64 v[123:124], v123 offset:152
	s_waitcnt lgkmcnt(0)
	v_mul_f64 v[109:110], v[109:110], v[123:124]
	scratch_store_b64 off, v[109:110], off offset:152
.LBB53_338:
	s_or_b32 exec_lo, exec_lo, s3
	scratch_load_b64 v[109:110], off, off offset:144
	v_cmp_lt_u32_e64 s0, 18, v0
	s_waitcnt vmcnt(0)
	ds_store_b64 v112, v[109:110]
	s_waitcnt lgkmcnt(0)
	s_waitcnt_vscnt null, 0x0
	s_barrier
	buffer_gl0_inv
	s_and_saveexec_b32 s3, s0
	s_cbranch_execz .LBB53_348
; %bb.339:
	s_and_not1_b32 vcc_lo, exec_lo, s2
	s_cbranch_vccnz .LBB53_341
; %bb.340:
	scratch_load_b64 v[109:110], v113, off
	ds_load_b64 v[123:124], v112
	s_waitcnt vmcnt(0) lgkmcnt(0)
	v_mul_f64 v[109:110], v[109:110], v[123:124]
	s_cbranch_execz .LBB53_342
	s_branch .LBB53_343
.LBB53_341:
                                        ; implicit-def: $vgpr109_vgpr110
.LBB53_342:
	ds_load_b64 v[109:110], v112
.LBB53_343:
	s_and_saveexec_b32 s4, s1
	s_cbranch_execz .LBB53_347
; %bb.344:
	v_mov_b32_e32 v123, 0
	v_subrev_nc_u32_e32 v124, 19, v0
	s_movk_i32 s5, 0x248
	s_mov_b32 s1, 0
	s_delay_alu instid0(VALU_DEP_2)
	v_add_nc_u32_e32 v123, 0x98, v123
.LBB53_345:                             ; =>This Inner Loop Header: Depth=1
	scratch_load_b64 v[125:126], v123, off
	v_dual_mov_b32 v127, s5 :: v_dual_add_nc_u32 v124, -1, v124
	v_add_nc_u32_e32 v123, 8, v123
	s_add_i32 s5, s5, 8
	ds_load_b64 v[127:128], v127
	v_cmp_eq_u32_e32 vcc_lo, 0, v124
	s_or_b32 s1, vcc_lo, s1
	s_waitcnt vmcnt(0) lgkmcnt(0)
	v_fma_f64 v[109:110], v[125:126], v[127:128], v[109:110]
	s_and_not1_b32 exec_lo, exec_lo, s1
	s_cbranch_execnz .LBB53_345
; %bb.346:
	s_or_b32 exec_lo, exec_lo, s1
.LBB53_347:
	s_delay_alu instid0(SALU_CYCLE_1)
	s_or_b32 exec_lo, exec_lo, s4
	v_mov_b32_e32 v123, 0
	ds_load_b64 v[123:124], v123 offset:144
	s_waitcnt lgkmcnt(0)
	v_mul_f64 v[109:110], v[109:110], v[123:124]
	scratch_store_b64 off, v[109:110], off offset:144
.LBB53_348:
	s_or_b32 exec_lo, exec_lo, s3
	scratch_load_b64 v[109:110], off, off offset:136
	v_cmp_lt_u32_e64 s1, 17, v0
	s_waitcnt vmcnt(0)
	ds_store_b64 v112, v[109:110]
	s_waitcnt lgkmcnt(0)
	s_waitcnt_vscnt null, 0x0
	s_barrier
	buffer_gl0_inv
	s_and_saveexec_b32 s3, s1
	s_cbranch_execz .LBB53_358
; %bb.349:
	s_and_not1_b32 vcc_lo, exec_lo, s2
	s_cbranch_vccnz .LBB53_351
; %bb.350:
	scratch_load_b64 v[109:110], v113, off
	ds_load_b64 v[123:124], v112
	s_waitcnt vmcnt(0) lgkmcnt(0)
	v_mul_f64 v[109:110], v[109:110], v[123:124]
	s_cbranch_execz .LBB53_352
	s_branch .LBB53_353
.LBB53_351:
                                        ; implicit-def: $vgpr109_vgpr110
.LBB53_352:
	ds_load_b64 v[109:110], v112
.LBB53_353:
	s_and_saveexec_b32 s4, s0
	s_cbranch_execz .LBB53_357
; %bb.354:
	v_subrev_nc_u32_e32 v123, 18, v0
	s_movk_i32 s5, 0x240
	s_mov_b32 s0, 0
.LBB53_355:                             ; =>This Inner Loop Header: Depth=1
	scratch_load_b64 v[124:125], v122, off
	v_dual_mov_b32 v126, s5 :: v_dual_add_nc_u32 v123, -1, v123
	v_add_nc_u32_e32 v122, 8, v122
	s_add_i32 s5, s5, 8
	ds_load_b64 v[126:127], v126
	v_cmp_eq_u32_e32 vcc_lo, 0, v123
	s_or_b32 s0, vcc_lo, s0
	s_waitcnt vmcnt(0) lgkmcnt(0)
	v_fma_f64 v[109:110], v[124:125], v[126:127], v[109:110]
	s_and_not1_b32 exec_lo, exec_lo, s0
	s_cbranch_execnz .LBB53_355
; %bb.356:
	s_or_b32 exec_lo, exec_lo, s0
.LBB53_357:
	s_delay_alu instid0(SALU_CYCLE_1)
	s_or_b32 exec_lo, exec_lo, s4
	v_mov_b32_e32 v122, 0
	ds_load_b64 v[122:123], v122 offset:136
	s_waitcnt lgkmcnt(0)
	v_mul_f64 v[109:110], v[109:110], v[122:123]
	scratch_store_b64 off, v[109:110], off offset:136
.LBB53_358:
	s_or_b32 exec_lo, exec_lo, s3
	scratch_load_b64 v[109:110], off, off offset:128
	v_cmp_lt_u32_e64 s0, 16, v0
	s_waitcnt vmcnt(0)
	ds_store_b64 v112, v[109:110]
	s_waitcnt lgkmcnt(0)
	s_waitcnt_vscnt null, 0x0
	s_barrier
	buffer_gl0_inv
	s_and_saveexec_b32 s3, s0
	s_cbranch_execz .LBB53_368
; %bb.359:
	s_and_not1_b32 vcc_lo, exec_lo, s2
	s_cbranch_vccnz .LBB53_361
; %bb.360:
	scratch_load_b64 v[109:110], v113, off
	ds_load_b64 v[122:123], v112
	s_waitcnt vmcnt(0) lgkmcnt(0)
	v_mul_f64 v[109:110], v[109:110], v[122:123]
	s_cbranch_execz .LBB53_362
	s_branch .LBB53_363
.LBB53_361:
                                        ; implicit-def: $vgpr109_vgpr110
.LBB53_362:
	ds_load_b64 v[109:110], v112
.LBB53_363:
	s_and_saveexec_b32 s4, s1
	s_cbranch_execz .LBB53_367
; %bb.364:
	v_mov_b32_e32 v122, 0
	v_subrev_nc_u32_e32 v123, 17, v0
	s_movk_i32 s5, 0x238
	s_mov_b32 s1, 0
	s_delay_alu instid0(VALU_DEP_2)
	v_add_nc_u32_e32 v122, 0x88, v122
.LBB53_365:                             ; =>This Inner Loop Header: Depth=1
	scratch_load_b64 v[124:125], v122, off
	v_dual_mov_b32 v126, s5 :: v_dual_add_nc_u32 v123, -1, v123
	v_add_nc_u32_e32 v122, 8, v122
	s_add_i32 s5, s5, 8
	ds_load_b64 v[126:127], v126
	v_cmp_eq_u32_e32 vcc_lo, 0, v123
	s_or_b32 s1, vcc_lo, s1
	s_waitcnt vmcnt(0) lgkmcnt(0)
	v_fma_f64 v[109:110], v[124:125], v[126:127], v[109:110]
	s_and_not1_b32 exec_lo, exec_lo, s1
	s_cbranch_execnz .LBB53_365
; %bb.366:
	s_or_b32 exec_lo, exec_lo, s1
.LBB53_367:
	s_delay_alu instid0(SALU_CYCLE_1)
	s_or_b32 exec_lo, exec_lo, s4
	v_mov_b32_e32 v122, 0
	ds_load_b64 v[122:123], v122 offset:128
	s_waitcnt lgkmcnt(0)
	v_mul_f64 v[109:110], v[109:110], v[122:123]
	scratch_store_b64 off, v[109:110], off offset:128
.LBB53_368:
	s_or_b32 exec_lo, exec_lo, s3
	scratch_load_b64 v[109:110], off, off offset:120
	v_cmp_lt_u32_e64 s1, 15, v0
	s_waitcnt vmcnt(0)
	ds_store_b64 v112, v[109:110]
	s_waitcnt lgkmcnt(0)
	s_waitcnt_vscnt null, 0x0
	s_barrier
	buffer_gl0_inv
	s_and_saveexec_b32 s3, s1
	s_cbranch_execz .LBB53_378
; %bb.369:
	s_and_not1_b32 vcc_lo, exec_lo, s2
	s_cbranch_vccnz .LBB53_371
; %bb.370:
	scratch_load_b64 v[109:110], v113, off
	ds_load_b64 v[122:123], v112
	s_waitcnt vmcnt(0) lgkmcnt(0)
	v_mul_f64 v[109:110], v[109:110], v[122:123]
	s_cbranch_execz .LBB53_372
	s_branch .LBB53_373
.LBB53_371:
                                        ; implicit-def: $vgpr109_vgpr110
.LBB53_372:
	ds_load_b64 v[109:110], v112
.LBB53_373:
	s_and_saveexec_b32 s4, s0
	s_cbranch_execz .LBB53_377
; %bb.374:
	v_add_nc_u32_e32 v122, -16, v0
	s_movk_i32 s5, 0x230
	s_mov_b32 s0, 0
.LBB53_375:                             ; =>This Inner Loop Header: Depth=1
	scratch_load_b64 v[123:124], v121, off
	v_dual_mov_b32 v125, s5 :: v_dual_add_nc_u32 v122, -1, v122
	v_add_nc_u32_e32 v121, 8, v121
	s_add_i32 s5, s5, 8
	ds_load_b64 v[125:126], v125
	v_cmp_eq_u32_e32 vcc_lo, 0, v122
	s_or_b32 s0, vcc_lo, s0
	s_waitcnt vmcnt(0) lgkmcnt(0)
	v_fma_f64 v[109:110], v[123:124], v[125:126], v[109:110]
	s_and_not1_b32 exec_lo, exec_lo, s0
	s_cbranch_execnz .LBB53_375
; %bb.376:
	s_or_b32 exec_lo, exec_lo, s0
.LBB53_377:
	s_delay_alu instid0(SALU_CYCLE_1)
	s_or_b32 exec_lo, exec_lo, s4
	v_mov_b32_e32 v121, 0
	ds_load_b64 v[121:122], v121 offset:120
	s_waitcnt lgkmcnt(0)
	v_mul_f64 v[109:110], v[109:110], v[121:122]
	scratch_store_b64 off, v[109:110], off offset:120
.LBB53_378:
	s_or_b32 exec_lo, exec_lo, s3
	scratch_load_b64 v[109:110], off, off offset:112
	v_cmp_lt_u32_e64 s0, 14, v0
	s_waitcnt vmcnt(0)
	ds_store_b64 v112, v[109:110]
	s_waitcnt lgkmcnt(0)
	s_waitcnt_vscnt null, 0x0
	s_barrier
	buffer_gl0_inv
	s_and_saveexec_b32 s3, s0
	s_cbranch_execz .LBB53_388
; %bb.379:
	s_and_not1_b32 vcc_lo, exec_lo, s2
	s_cbranch_vccnz .LBB53_381
; %bb.380:
	scratch_load_b64 v[109:110], v113, off
	ds_load_b64 v[121:122], v112
	s_waitcnt vmcnt(0) lgkmcnt(0)
	v_mul_f64 v[109:110], v[109:110], v[121:122]
	s_cbranch_execz .LBB53_382
	s_branch .LBB53_383
.LBB53_381:
                                        ; implicit-def: $vgpr109_vgpr110
.LBB53_382:
	ds_load_b64 v[109:110], v112
.LBB53_383:
	s_and_saveexec_b32 s4, s1
	s_cbranch_execz .LBB53_387
; %bb.384:
	v_dual_mov_b32 v121, 0 :: v_dual_add_nc_u32 v122, -15, v0
	s_movk_i32 s5, 0x228
	s_mov_b32 s1, 0
	s_delay_alu instid0(VALU_DEP_1)
	v_add_nc_u32_e32 v121, 0x78, v121
.LBB53_385:                             ; =>This Inner Loop Header: Depth=1
	scratch_load_b64 v[123:124], v121, off
	v_dual_mov_b32 v125, s5 :: v_dual_add_nc_u32 v122, -1, v122
	v_add_nc_u32_e32 v121, 8, v121
	s_add_i32 s5, s5, 8
	ds_load_b64 v[125:126], v125
	v_cmp_eq_u32_e32 vcc_lo, 0, v122
	s_or_b32 s1, vcc_lo, s1
	s_waitcnt vmcnt(0) lgkmcnt(0)
	v_fma_f64 v[109:110], v[123:124], v[125:126], v[109:110]
	s_and_not1_b32 exec_lo, exec_lo, s1
	s_cbranch_execnz .LBB53_385
; %bb.386:
	s_or_b32 exec_lo, exec_lo, s1
.LBB53_387:
	s_delay_alu instid0(SALU_CYCLE_1)
	s_or_b32 exec_lo, exec_lo, s4
	v_mov_b32_e32 v121, 0
	ds_load_b64 v[121:122], v121 offset:112
	s_waitcnt lgkmcnt(0)
	v_mul_f64 v[109:110], v[109:110], v[121:122]
	scratch_store_b64 off, v[109:110], off offset:112
.LBB53_388:
	s_or_b32 exec_lo, exec_lo, s3
	scratch_load_b64 v[109:110], off, off offset:104
	v_cmp_lt_u32_e64 s1, 13, v0
	s_waitcnt vmcnt(0)
	ds_store_b64 v112, v[109:110]
	s_waitcnt lgkmcnt(0)
	s_waitcnt_vscnt null, 0x0
	s_barrier
	buffer_gl0_inv
	s_and_saveexec_b32 s3, s1
	s_cbranch_execz .LBB53_398
; %bb.389:
	s_and_not1_b32 vcc_lo, exec_lo, s2
	s_cbranch_vccnz .LBB53_391
; %bb.390:
	scratch_load_b64 v[109:110], v113, off
	ds_load_b64 v[121:122], v112
	s_waitcnt vmcnt(0) lgkmcnt(0)
	v_mul_f64 v[109:110], v[109:110], v[121:122]
	s_cbranch_execz .LBB53_392
	s_branch .LBB53_393
.LBB53_391:
                                        ; implicit-def: $vgpr109_vgpr110
.LBB53_392:
	ds_load_b64 v[109:110], v112
.LBB53_393:
	s_and_saveexec_b32 s4, s0
	s_cbranch_execz .LBB53_397
; %bb.394:
	v_add_nc_u32_e32 v121, -14, v0
	s_movk_i32 s5, 0x220
	s_mov_b32 s0, 0
.LBB53_395:                             ; =>This Inner Loop Header: Depth=1
	scratch_load_b64 v[122:123], v120, off
	v_dual_mov_b32 v124, s5 :: v_dual_add_nc_u32 v121, -1, v121
	v_add_nc_u32_e32 v120, 8, v120
	s_add_i32 s5, s5, 8
	ds_load_b64 v[124:125], v124
	v_cmp_eq_u32_e32 vcc_lo, 0, v121
	s_or_b32 s0, vcc_lo, s0
	s_waitcnt vmcnt(0) lgkmcnt(0)
	v_fma_f64 v[109:110], v[122:123], v[124:125], v[109:110]
	s_and_not1_b32 exec_lo, exec_lo, s0
	s_cbranch_execnz .LBB53_395
; %bb.396:
	s_or_b32 exec_lo, exec_lo, s0
.LBB53_397:
	s_delay_alu instid0(SALU_CYCLE_1)
	s_or_b32 exec_lo, exec_lo, s4
	v_mov_b32_e32 v120, 0
	ds_load_b64 v[120:121], v120 offset:104
	s_waitcnt lgkmcnt(0)
	v_mul_f64 v[109:110], v[109:110], v[120:121]
	scratch_store_b64 off, v[109:110], off offset:104
.LBB53_398:
	s_or_b32 exec_lo, exec_lo, s3
	scratch_load_b64 v[109:110], off, off offset:96
	v_cmp_lt_u32_e64 s0, 12, v0
	s_waitcnt vmcnt(0)
	ds_store_b64 v112, v[109:110]
	s_waitcnt lgkmcnt(0)
	s_waitcnt_vscnt null, 0x0
	s_barrier
	buffer_gl0_inv
	s_and_saveexec_b32 s3, s0
	s_cbranch_execz .LBB53_408
; %bb.399:
	s_and_not1_b32 vcc_lo, exec_lo, s2
	s_cbranch_vccnz .LBB53_401
; %bb.400:
	scratch_load_b64 v[109:110], v113, off
	ds_load_b64 v[120:121], v112
	s_waitcnt vmcnt(0) lgkmcnt(0)
	v_mul_f64 v[109:110], v[109:110], v[120:121]
	s_cbranch_execz .LBB53_402
	s_branch .LBB53_403
.LBB53_401:
                                        ; implicit-def: $vgpr109_vgpr110
.LBB53_402:
	ds_load_b64 v[109:110], v112
.LBB53_403:
	s_and_saveexec_b32 s4, s1
	s_cbranch_execz .LBB53_407
; %bb.404:
	v_dual_mov_b32 v120, 0 :: v_dual_add_nc_u32 v121, -13, v0
	s_movk_i32 s5, 0x218
	s_mov_b32 s1, 0
	s_delay_alu instid0(VALU_DEP_1)
	v_add_nc_u32_e32 v120, 0x68, v120
.LBB53_405:                             ; =>This Inner Loop Header: Depth=1
	scratch_load_b64 v[122:123], v120, off
	v_dual_mov_b32 v124, s5 :: v_dual_add_nc_u32 v121, -1, v121
	v_add_nc_u32_e32 v120, 8, v120
	s_add_i32 s5, s5, 8
	ds_load_b64 v[124:125], v124
	v_cmp_eq_u32_e32 vcc_lo, 0, v121
	s_or_b32 s1, vcc_lo, s1
	s_waitcnt vmcnt(0) lgkmcnt(0)
	v_fma_f64 v[109:110], v[122:123], v[124:125], v[109:110]
	s_and_not1_b32 exec_lo, exec_lo, s1
	s_cbranch_execnz .LBB53_405
; %bb.406:
	s_or_b32 exec_lo, exec_lo, s1
.LBB53_407:
	s_delay_alu instid0(SALU_CYCLE_1)
	s_or_b32 exec_lo, exec_lo, s4
	v_mov_b32_e32 v120, 0
	ds_load_b64 v[120:121], v120 offset:96
	s_waitcnt lgkmcnt(0)
	v_mul_f64 v[109:110], v[109:110], v[120:121]
	scratch_store_b64 off, v[109:110], off offset:96
.LBB53_408:
	s_or_b32 exec_lo, exec_lo, s3
	scratch_load_b64 v[109:110], off, off offset:88
	v_cmp_lt_u32_e64 s1, 11, v0
	s_waitcnt vmcnt(0)
	ds_store_b64 v112, v[109:110]
	s_waitcnt lgkmcnt(0)
	s_waitcnt_vscnt null, 0x0
	s_barrier
	buffer_gl0_inv
	s_and_saveexec_b32 s3, s1
	s_cbranch_execz .LBB53_418
; %bb.409:
	s_and_not1_b32 vcc_lo, exec_lo, s2
	s_cbranch_vccnz .LBB53_411
; %bb.410:
	scratch_load_b64 v[109:110], v113, off
	ds_load_b64 v[120:121], v112
	s_waitcnt vmcnt(0) lgkmcnt(0)
	v_mul_f64 v[109:110], v[109:110], v[120:121]
	s_cbranch_execz .LBB53_412
	s_branch .LBB53_413
.LBB53_411:
                                        ; implicit-def: $vgpr109_vgpr110
.LBB53_412:
	ds_load_b64 v[109:110], v112
.LBB53_413:
	s_and_saveexec_b32 s4, s0
	s_cbranch_execz .LBB53_417
; %bb.414:
	v_add_nc_u32_e32 v120, -12, v0
	s_movk_i32 s5, 0x210
	s_mov_b32 s0, 0
.LBB53_415:                             ; =>This Inner Loop Header: Depth=1
	scratch_load_b64 v[121:122], v119, off
	v_dual_mov_b32 v123, s5 :: v_dual_add_nc_u32 v120, -1, v120
	v_add_nc_u32_e32 v119, 8, v119
	s_add_i32 s5, s5, 8
	ds_load_b64 v[123:124], v123
	v_cmp_eq_u32_e32 vcc_lo, 0, v120
	s_or_b32 s0, vcc_lo, s0
	s_waitcnt vmcnt(0) lgkmcnt(0)
	v_fma_f64 v[109:110], v[121:122], v[123:124], v[109:110]
	s_and_not1_b32 exec_lo, exec_lo, s0
	s_cbranch_execnz .LBB53_415
; %bb.416:
	s_or_b32 exec_lo, exec_lo, s0
.LBB53_417:
	s_delay_alu instid0(SALU_CYCLE_1)
	s_or_b32 exec_lo, exec_lo, s4
	v_mov_b32_e32 v119, 0
	ds_load_b64 v[119:120], v119 offset:88
	s_waitcnt lgkmcnt(0)
	v_mul_f64 v[109:110], v[109:110], v[119:120]
	scratch_store_b64 off, v[109:110], off offset:88
.LBB53_418:
	s_or_b32 exec_lo, exec_lo, s3
	scratch_load_b64 v[109:110], off, off offset:80
	v_cmp_lt_u32_e64 s0, 10, v0
	s_waitcnt vmcnt(0)
	ds_store_b64 v112, v[109:110]
	s_waitcnt lgkmcnt(0)
	s_waitcnt_vscnt null, 0x0
	s_barrier
	buffer_gl0_inv
	s_and_saveexec_b32 s3, s0
	s_cbranch_execz .LBB53_428
; %bb.419:
	s_and_not1_b32 vcc_lo, exec_lo, s2
	s_cbranch_vccnz .LBB53_421
; %bb.420:
	scratch_load_b64 v[109:110], v113, off
	ds_load_b64 v[119:120], v112
	s_waitcnt vmcnt(0) lgkmcnt(0)
	v_mul_f64 v[109:110], v[109:110], v[119:120]
	s_cbranch_execz .LBB53_422
	s_branch .LBB53_423
.LBB53_421:
                                        ; implicit-def: $vgpr109_vgpr110
.LBB53_422:
	ds_load_b64 v[109:110], v112
.LBB53_423:
	s_and_saveexec_b32 s4, s1
	s_cbranch_execz .LBB53_427
; %bb.424:
	v_dual_mov_b32 v119, 0 :: v_dual_add_nc_u32 v120, -11, v0
	s_movk_i32 s5, 0x208
	s_mov_b32 s1, 0
	s_delay_alu instid0(VALU_DEP_1)
	v_add_nc_u32_e32 v119, 0x58, v119
.LBB53_425:                             ; =>This Inner Loop Header: Depth=1
	scratch_load_b64 v[121:122], v119, off
	v_dual_mov_b32 v123, s5 :: v_dual_add_nc_u32 v120, -1, v120
	v_add_nc_u32_e32 v119, 8, v119
	s_add_i32 s5, s5, 8
	ds_load_b64 v[123:124], v123
	v_cmp_eq_u32_e32 vcc_lo, 0, v120
	s_or_b32 s1, vcc_lo, s1
	s_waitcnt vmcnt(0) lgkmcnt(0)
	v_fma_f64 v[109:110], v[121:122], v[123:124], v[109:110]
	s_and_not1_b32 exec_lo, exec_lo, s1
	s_cbranch_execnz .LBB53_425
; %bb.426:
	s_or_b32 exec_lo, exec_lo, s1
.LBB53_427:
	s_delay_alu instid0(SALU_CYCLE_1)
	s_or_b32 exec_lo, exec_lo, s4
	v_mov_b32_e32 v119, 0
	ds_load_b64 v[119:120], v119 offset:80
	s_waitcnt lgkmcnt(0)
	v_mul_f64 v[109:110], v[109:110], v[119:120]
	scratch_store_b64 off, v[109:110], off offset:80
.LBB53_428:
	s_or_b32 exec_lo, exec_lo, s3
	scratch_load_b64 v[109:110], off, off offset:72
	v_cmp_lt_u32_e64 s1, 9, v0
	s_waitcnt vmcnt(0)
	ds_store_b64 v112, v[109:110]
	s_waitcnt lgkmcnt(0)
	s_waitcnt_vscnt null, 0x0
	s_barrier
	buffer_gl0_inv
	s_and_saveexec_b32 s3, s1
	s_cbranch_execz .LBB53_438
; %bb.429:
	s_and_not1_b32 vcc_lo, exec_lo, s2
	s_cbranch_vccnz .LBB53_431
; %bb.430:
	scratch_load_b64 v[109:110], v113, off
	ds_load_b64 v[119:120], v112
	s_waitcnt vmcnt(0) lgkmcnt(0)
	v_mul_f64 v[109:110], v[109:110], v[119:120]
	s_cbranch_execz .LBB53_432
	s_branch .LBB53_433
.LBB53_431:
                                        ; implicit-def: $vgpr109_vgpr110
.LBB53_432:
	ds_load_b64 v[109:110], v112
.LBB53_433:
	s_and_saveexec_b32 s4, s0
	s_cbranch_execz .LBB53_437
; %bb.434:
	v_add_nc_u32_e32 v119, -10, v0
	s_movk_i32 s5, 0x200
	s_mov_b32 s0, 0
.LBB53_435:                             ; =>This Inner Loop Header: Depth=1
	scratch_load_b64 v[120:121], v118, off
	v_dual_mov_b32 v122, s5 :: v_dual_add_nc_u32 v119, -1, v119
	v_add_nc_u32_e32 v118, 8, v118
	s_add_i32 s5, s5, 8
	ds_load_b64 v[122:123], v122
	v_cmp_eq_u32_e32 vcc_lo, 0, v119
	s_or_b32 s0, vcc_lo, s0
	s_waitcnt vmcnt(0) lgkmcnt(0)
	v_fma_f64 v[109:110], v[120:121], v[122:123], v[109:110]
	s_and_not1_b32 exec_lo, exec_lo, s0
	s_cbranch_execnz .LBB53_435
; %bb.436:
	s_or_b32 exec_lo, exec_lo, s0
.LBB53_437:
	s_delay_alu instid0(SALU_CYCLE_1)
	s_or_b32 exec_lo, exec_lo, s4
	v_mov_b32_e32 v118, 0
	ds_load_b64 v[118:119], v118 offset:72
	s_waitcnt lgkmcnt(0)
	v_mul_f64 v[109:110], v[109:110], v[118:119]
	scratch_store_b64 off, v[109:110], off offset:72
.LBB53_438:
	s_or_b32 exec_lo, exec_lo, s3
	scratch_load_b64 v[109:110], off, off offset:64
	v_cmp_lt_u32_e64 s0, 8, v0
	s_waitcnt vmcnt(0)
	ds_store_b64 v112, v[109:110]
	s_waitcnt lgkmcnt(0)
	s_waitcnt_vscnt null, 0x0
	s_barrier
	buffer_gl0_inv
	s_and_saveexec_b32 s3, s0
	s_cbranch_execz .LBB53_448
; %bb.439:
	s_and_not1_b32 vcc_lo, exec_lo, s2
	s_cbranch_vccnz .LBB53_441
; %bb.440:
	scratch_load_b64 v[109:110], v113, off
	ds_load_b64 v[118:119], v112
	s_waitcnt vmcnt(0) lgkmcnt(0)
	v_mul_f64 v[109:110], v[109:110], v[118:119]
	s_cbranch_execz .LBB53_442
	s_branch .LBB53_443
.LBB53_441:
                                        ; implicit-def: $vgpr109_vgpr110
.LBB53_442:
	ds_load_b64 v[109:110], v112
.LBB53_443:
	s_and_saveexec_b32 s4, s1
	s_cbranch_execz .LBB53_447
; %bb.444:
	v_dual_mov_b32 v118, 0 :: v_dual_add_nc_u32 v119, -9, v0
	s_movk_i32 s5, 0x1f8
	s_mov_b32 s1, 0
	s_delay_alu instid0(VALU_DEP_1)
	v_add_nc_u32_e32 v118, 0x48, v118
.LBB53_445:                             ; =>This Inner Loop Header: Depth=1
	scratch_load_b64 v[120:121], v118, off
	v_dual_mov_b32 v122, s5 :: v_dual_add_nc_u32 v119, -1, v119
	v_add_nc_u32_e32 v118, 8, v118
	s_add_i32 s5, s5, 8
	ds_load_b64 v[122:123], v122
	v_cmp_eq_u32_e32 vcc_lo, 0, v119
	s_or_b32 s1, vcc_lo, s1
	s_waitcnt vmcnt(0) lgkmcnt(0)
	v_fma_f64 v[109:110], v[120:121], v[122:123], v[109:110]
	s_and_not1_b32 exec_lo, exec_lo, s1
	s_cbranch_execnz .LBB53_445
; %bb.446:
	s_or_b32 exec_lo, exec_lo, s1
.LBB53_447:
	s_delay_alu instid0(SALU_CYCLE_1)
	s_or_b32 exec_lo, exec_lo, s4
	v_mov_b32_e32 v118, 0
	ds_load_b64 v[118:119], v118 offset:64
	s_waitcnt lgkmcnt(0)
	v_mul_f64 v[109:110], v[109:110], v[118:119]
	scratch_store_b64 off, v[109:110], off offset:64
.LBB53_448:
	s_or_b32 exec_lo, exec_lo, s3
	scratch_load_b64 v[109:110], off, off offset:56
	v_cmp_lt_u32_e64 s1, 7, v0
	s_waitcnt vmcnt(0)
	ds_store_b64 v112, v[109:110]
	s_waitcnt lgkmcnt(0)
	s_waitcnt_vscnt null, 0x0
	s_barrier
	buffer_gl0_inv
	s_and_saveexec_b32 s3, s1
	s_cbranch_execz .LBB53_458
; %bb.449:
	s_and_not1_b32 vcc_lo, exec_lo, s2
	s_cbranch_vccnz .LBB53_451
; %bb.450:
	scratch_load_b64 v[109:110], v113, off
	ds_load_b64 v[118:119], v112
	s_waitcnt vmcnt(0) lgkmcnt(0)
	v_mul_f64 v[109:110], v[109:110], v[118:119]
	s_cbranch_execz .LBB53_452
	s_branch .LBB53_453
.LBB53_451:
                                        ; implicit-def: $vgpr109_vgpr110
.LBB53_452:
	ds_load_b64 v[109:110], v112
.LBB53_453:
	s_and_saveexec_b32 s4, s0
	s_cbranch_execz .LBB53_457
; %bb.454:
	v_add_nc_u32_e32 v118, -8, v0
	s_movk_i32 s5, 0x1f0
	s_mov_b32 s0, 0
.LBB53_455:                             ; =>This Inner Loop Header: Depth=1
	scratch_load_b64 v[119:120], v117, off
	v_dual_mov_b32 v121, s5 :: v_dual_add_nc_u32 v118, -1, v118
	v_add_nc_u32_e32 v117, 8, v117
	s_add_i32 s5, s5, 8
	ds_load_b64 v[121:122], v121
	v_cmp_eq_u32_e32 vcc_lo, 0, v118
	s_or_b32 s0, vcc_lo, s0
	s_waitcnt vmcnt(0) lgkmcnt(0)
	v_fma_f64 v[109:110], v[119:120], v[121:122], v[109:110]
	s_and_not1_b32 exec_lo, exec_lo, s0
	s_cbranch_execnz .LBB53_455
; %bb.456:
	s_or_b32 exec_lo, exec_lo, s0
.LBB53_457:
	s_delay_alu instid0(SALU_CYCLE_1)
	s_or_b32 exec_lo, exec_lo, s4
	v_mov_b32_e32 v117, 0
	ds_load_b64 v[117:118], v117 offset:56
	s_waitcnt lgkmcnt(0)
	v_mul_f64 v[109:110], v[109:110], v[117:118]
	scratch_store_b64 off, v[109:110], off offset:56
.LBB53_458:
	s_or_b32 exec_lo, exec_lo, s3
	scratch_load_b64 v[109:110], off, off offset:48
	v_cmp_lt_u32_e64 s0, 6, v0
	s_waitcnt vmcnt(0)
	ds_store_b64 v112, v[109:110]
	s_waitcnt lgkmcnt(0)
	s_waitcnt_vscnt null, 0x0
	s_barrier
	buffer_gl0_inv
	s_and_saveexec_b32 s3, s0
	s_cbranch_execz .LBB53_468
; %bb.459:
	s_and_not1_b32 vcc_lo, exec_lo, s2
	s_cbranch_vccnz .LBB53_461
; %bb.460:
	scratch_load_b64 v[109:110], v113, off
	ds_load_b64 v[117:118], v112
	s_waitcnt vmcnt(0) lgkmcnt(0)
	v_mul_f64 v[109:110], v[109:110], v[117:118]
	s_cbranch_execz .LBB53_462
	s_branch .LBB53_463
.LBB53_461:
                                        ; implicit-def: $vgpr109_vgpr110
.LBB53_462:
	ds_load_b64 v[109:110], v112
.LBB53_463:
	s_and_saveexec_b32 s4, s1
	s_cbranch_execz .LBB53_467
; %bb.464:
	v_add_nc_u32_e64 v117, 0, 56
	v_add_nc_u32_e32 v118, -7, v0
	s_movk_i32 s5, 0x1e8
	s_mov_b32 s1, 0
.LBB53_465:                             ; =>This Inner Loop Header: Depth=1
	scratch_load_b64 v[119:120], v117, off
	v_dual_mov_b32 v121, s5 :: v_dual_add_nc_u32 v118, -1, v118
	v_add_nc_u32_e32 v117, 8, v117
	s_add_i32 s5, s5, 8
	ds_load_b64 v[121:122], v121
	v_cmp_eq_u32_e32 vcc_lo, 0, v118
	s_or_b32 s1, vcc_lo, s1
	s_waitcnt vmcnt(0) lgkmcnt(0)
	v_fma_f64 v[109:110], v[119:120], v[121:122], v[109:110]
	s_and_not1_b32 exec_lo, exec_lo, s1
	s_cbranch_execnz .LBB53_465
; %bb.466:
	s_or_b32 exec_lo, exec_lo, s1
.LBB53_467:
	s_delay_alu instid0(SALU_CYCLE_1)
	s_or_b32 exec_lo, exec_lo, s4
	v_mov_b32_e32 v117, 0
	ds_load_b64 v[117:118], v117 offset:48
	s_waitcnt lgkmcnt(0)
	v_mul_f64 v[109:110], v[109:110], v[117:118]
	scratch_store_b64 off, v[109:110], off offset:48
.LBB53_468:
	s_or_b32 exec_lo, exec_lo, s3
	scratch_load_b64 v[109:110], off, off offset:40
	v_cmp_lt_u32_e64 s1, 5, v0
	s_waitcnt vmcnt(0)
	ds_store_b64 v112, v[109:110]
	s_waitcnt lgkmcnt(0)
	s_waitcnt_vscnt null, 0x0
	s_barrier
	buffer_gl0_inv
	s_and_saveexec_b32 s3, s1
	s_cbranch_execz .LBB53_478
; %bb.469:
	s_and_not1_b32 vcc_lo, exec_lo, s2
	s_cbranch_vccnz .LBB53_471
; %bb.470:
	scratch_load_b64 v[109:110], v113, off
	ds_load_b64 v[117:118], v112
	s_waitcnt vmcnt(0) lgkmcnt(0)
	v_mul_f64 v[109:110], v[109:110], v[117:118]
	s_cbranch_execz .LBB53_472
	s_branch .LBB53_473
.LBB53_471:
                                        ; implicit-def: $vgpr109_vgpr110
.LBB53_472:
	ds_load_b64 v[109:110], v112
.LBB53_473:
	s_and_saveexec_b32 s4, s0
	s_cbranch_execz .LBB53_477
; %bb.474:
	v_add_nc_u32_e32 v117, -6, v0
	s_movk_i32 s5, 0x1e0
	s_mov_b32 s0, 0
.LBB53_475:                             ; =>This Inner Loop Header: Depth=1
	scratch_load_b64 v[118:119], v116, off
	v_dual_mov_b32 v120, s5 :: v_dual_add_nc_u32 v117, -1, v117
	v_add_nc_u32_e32 v116, 8, v116
	s_add_i32 s5, s5, 8
	ds_load_b64 v[120:121], v120
	v_cmp_eq_u32_e32 vcc_lo, 0, v117
	s_or_b32 s0, vcc_lo, s0
	s_waitcnt vmcnt(0) lgkmcnt(0)
	v_fma_f64 v[109:110], v[118:119], v[120:121], v[109:110]
	s_and_not1_b32 exec_lo, exec_lo, s0
	s_cbranch_execnz .LBB53_475
; %bb.476:
	s_or_b32 exec_lo, exec_lo, s0
.LBB53_477:
	s_delay_alu instid0(SALU_CYCLE_1)
	s_or_b32 exec_lo, exec_lo, s4
	v_mov_b32_e32 v116, 0
	ds_load_b64 v[116:117], v116 offset:40
	s_waitcnt lgkmcnt(0)
	v_mul_f64 v[109:110], v[109:110], v[116:117]
	scratch_store_b64 off, v[109:110], off offset:40
.LBB53_478:
	s_or_b32 exec_lo, exec_lo, s3
	scratch_load_b64 v[109:110], off, off offset:32
	v_cmp_lt_u32_e64 s0, 4, v0
	s_waitcnt vmcnt(0)
	ds_store_b64 v112, v[109:110]
	s_waitcnt lgkmcnt(0)
	s_waitcnt_vscnt null, 0x0
	s_barrier
	buffer_gl0_inv
	s_and_saveexec_b32 s3, s0
	s_cbranch_execz .LBB53_488
; %bb.479:
	s_and_not1_b32 vcc_lo, exec_lo, s2
	s_cbranch_vccnz .LBB53_481
; %bb.480:
	scratch_load_b64 v[109:110], v113, off
	ds_load_b64 v[116:117], v112
	s_waitcnt vmcnt(0) lgkmcnt(0)
	v_mul_f64 v[109:110], v[109:110], v[116:117]
	s_cbranch_execz .LBB53_482
	s_branch .LBB53_483
.LBB53_481:
                                        ; implicit-def: $vgpr109_vgpr110
.LBB53_482:
	ds_load_b64 v[109:110], v112
.LBB53_483:
	s_and_saveexec_b32 s4, s1
	s_cbranch_execz .LBB53_487
; %bb.484:
	v_add_nc_u32_e64 v116, 0, 40
	v_add_nc_u32_e32 v117, -5, v0
	s_movk_i32 s5, 0x1d8
	s_mov_b32 s1, 0
.LBB53_485:                             ; =>This Inner Loop Header: Depth=1
	scratch_load_b64 v[118:119], v116, off
	v_dual_mov_b32 v120, s5 :: v_dual_add_nc_u32 v117, -1, v117
	v_add_nc_u32_e32 v116, 8, v116
	s_add_i32 s5, s5, 8
	ds_load_b64 v[120:121], v120
	v_cmp_eq_u32_e32 vcc_lo, 0, v117
	s_or_b32 s1, vcc_lo, s1
	s_waitcnt vmcnt(0) lgkmcnt(0)
	v_fma_f64 v[109:110], v[118:119], v[120:121], v[109:110]
	s_and_not1_b32 exec_lo, exec_lo, s1
	s_cbranch_execnz .LBB53_485
; %bb.486:
	s_or_b32 exec_lo, exec_lo, s1
.LBB53_487:
	s_delay_alu instid0(SALU_CYCLE_1)
	s_or_b32 exec_lo, exec_lo, s4
	v_mov_b32_e32 v116, 0
	ds_load_b64 v[116:117], v116 offset:32
	s_waitcnt lgkmcnt(0)
	v_mul_f64 v[109:110], v[109:110], v[116:117]
	scratch_store_b64 off, v[109:110], off offset:32
.LBB53_488:
	s_or_b32 exec_lo, exec_lo, s3
	scratch_load_b64 v[109:110], off, off offset:24
	v_cmp_lt_u32_e64 s1, 3, v0
	s_waitcnt vmcnt(0)
	ds_store_b64 v112, v[109:110]
	s_waitcnt lgkmcnt(0)
	s_waitcnt_vscnt null, 0x0
	s_barrier
	buffer_gl0_inv
	s_and_saveexec_b32 s3, s1
	s_cbranch_execz .LBB53_498
; %bb.489:
	s_and_not1_b32 vcc_lo, exec_lo, s2
	s_cbranch_vccnz .LBB53_491
; %bb.490:
	scratch_load_b64 v[109:110], v113, off
	ds_load_b64 v[116:117], v112
	s_waitcnt vmcnt(0) lgkmcnt(0)
	v_mul_f64 v[109:110], v[109:110], v[116:117]
	s_cbranch_execz .LBB53_492
	s_branch .LBB53_493
.LBB53_491:
                                        ; implicit-def: $vgpr109_vgpr110
.LBB53_492:
	ds_load_b64 v[109:110], v112
.LBB53_493:
	s_and_saveexec_b32 s4, s0
	s_cbranch_execz .LBB53_497
; %bb.494:
	v_add_nc_u32_e32 v116, -4, v0
	s_movk_i32 s5, 0x1d0
	s_mov_b32 s0, 0
.LBB53_495:                             ; =>This Inner Loop Header: Depth=1
	scratch_load_b64 v[117:118], v115, off
	v_dual_mov_b32 v119, s5 :: v_dual_add_nc_u32 v116, -1, v116
	v_add_nc_u32_e32 v115, 8, v115
	s_add_i32 s5, s5, 8
	ds_load_b64 v[119:120], v119
	v_cmp_eq_u32_e32 vcc_lo, 0, v116
	s_or_b32 s0, vcc_lo, s0
	s_waitcnt vmcnt(0) lgkmcnt(0)
	v_fma_f64 v[109:110], v[117:118], v[119:120], v[109:110]
	s_and_not1_b32 exec_lo, exec_lo, s0
	s_cbranch_execnz .LBB53_495
; %bb.496:
	s_or_b32 exec_lo, exec_lo, s0
.LBB53_497:
	s_delay_alu instid0(SALU_CYCLE_1)
	s_or_b32 exec_lo, exec_lo, s4
	v_mov_b32_e32 v115, 0
	ds_load_b64 v[115:116], v115 offset:24
	s_waitcnt lgkmcnt(0)
	v_mul_f64 v[109:110], v[109:110], v[115:116]
	scratch_store_b64 off, v[109:110], off offset:24
.LBB53_498:
	s_or_b32 exec_lo, exec_lo, s3
	scratch_load_b64 v[109:110], off, off offset:16
	v_cmp_lt_u32_e64 s0, 2, v0
	s_waitcnt vmcnt(0)
	ds_store_b64 v112, v[109:110]
	s_waitcnt lgkmcnt(0)
	s_waitcnt_vscnt null, 0x0
	s_barrier
	buffer_gl0_inv
	s_and_saveexec_b32 s3, s0
	s_cbranch_execz .LBB53_508
; %bb.499:
	s_and_not1_b32 vcc_lo, exec_lo, s2
	s_cbranch_vccnz .LBB53_501
; %bb.500:
	scratch_load_b64 v[109:110], v113, off
	ds_load_b64 v[115:116], v112
	s_waitcnt vmcnt(0) lgkmcnt(0)
	v_mul_f64 v[109:110], v[109:110], v[115:116]
	s_cbranch_execz .LBB53_502
	s_branch .LBB53_503
.LBB53_501:
                                        ; implicit-def: $vgpr109_vgpr110
.LBB53_502:
	ds_load_b64 v[109:110], v112
.LBB53_503:
	s_and_saveexec_b32 s4, s1
	s_cbranch_execz .LBB53_507
; %bb.504:
	v_add_nc_u32_e64 v115, 0, 24
	v_add_nc_u32_e32 v116, -3, v0
	s_movk_i32 s5, 0x1c8
	s_mov_b32 s1, 0
.LBB53_505:                             ; =>This Inner Loop Header: Depth=1
	scratch_load_b64 v[117:118], v115, off
	v_dual_mov_b32 v119, s5 :: v_dual_add_nc_u32 v116, -1, v116
	v_add_nc_u32_e32 v115, 8, v115
	s_add_i32 s5, s5, 8
	ds_load_b64 v[119:120], v119
	v_cmp_eq_u32_e32 vcc_lo, 0, v116
	s_or_b32 s1, vcc_lo, s1
	s_waitcnt vmcnt(0) lgkmcnt(0)
	v_fma_f64 v[109:110], v[117:118], v[119:120], v[109:110]
	s_and_not1_b32 exec_lo, exec_lo, s1
	s_cbranch_execnz .LBB53_505
; %bb.506:
	s_or_b32 exec_lo, exec_lo, s1
.LBB53_507:
	s_delay_alu instid0(SALU_CYCLE_1)
	s_or_b32 exec_lo, exec_lo, s4
	v_mov_b32_e32 v115, 0
	ds_load_b64 v[115:116], v115 offset:16
	s_waitcnt lgkmcnt(0)
	v_mul_f64 v[109:110], v[109:110], v[115:116]
	scratch_store_b64 off, v[109:110], off offset:16
.LBB53_508:
	s_or_b32 exec_lo, exec_lo, s3
	scratch_load_b64 v[109:110], off, off offset:8
	v_cmp_lt_u32_e64 s1, 1, v0
	s_waitcnt vmcnt(0)
	ds_store_b64 v112, v[109:110]
	s_waitcnt lgkmcnt(0)
	s_waitcnt_vscnt null, 0x0
	s_barrier
	buffer_gl0_inv
	s_and_saveexec_b32 s3, s1
	s_cbranch_execz .LBB53_518
; %bb.509:
	s_and_not1_b32 vcc_lo, exec_lo, s2
	s_cbranch_vccnz .LBB53_511
; %bb.510:
	scratch_load_b64 v[109:110], v113, off
	ds_load_b64 v[115:116], v112
	s_waitcnt vmcnt(0) lgkmcnt(0)
	v_mul_f64 v[109:110], v[109:110], v[115:116]
	s_cbranch_execz .LBB53_512
	s_branch .LBB53_513
.LBB53_511:
                                        ; implicit-def: $vgpr109_vgpr110
.LBB53_512:
	ds_load_b64 v[109:110], v112
.LBB53_513:
	s_and_saveexec_b32 s4, s0
	s_cbranch_execz .LBB53_517
; %bb.514:
	v_add_nc_u32_e32 v115, -2, v0
	s_movk_i32 s5, 0x1c0
	s_mov_b32 s0, 0
.LBB53_515:                             ; =>This Inner Loop Header: Depth=1
	scratch_load_b64 v[116:117], v114, off
	v_dual_mov_b32 v118, s5 :: v_dual_add_nc_u32 v115, -1, v115
	v_add_nc_u32_e32 v114, 8, v114
	s_add_i32 s5, s5, 8
	ds_load_b64 v[118:119], v118
	v_cmp_eq_u32_e32 vcc_lo, 0, v115
	s_or_b32 s0, vcc_lo, s0
	s_waitcnt vmcnt(0) lgkmcnt(0)
	v_fma_f64 v[109:110], v[116:117], v[118:119], v[109:110]
	s_and_not1_b32 exec_lo, exec_lo, s0
	s_cbranch_execnz .LBB53_515
; %bb.516:
	s_or_b32 exec_lo, exec_lo, s0
.LBB53_517:
	s_delay_alu instid0(SALU_CYCLE_1)
	s_or_b32 exec_lo, exec_lo, s4
	v_mov_b32_e32 v114, 0
	ds_load_b64 v[114:115], v114 offset:8
	s_waitcnt lgkmcnt(0)
	v_mul_f64 v[109:110], v[109:110], v[114:115]
	scratch_store_b64 off, v[109:110], off offset:8
.LBB53_518:
	s_or_b32 exec_lo, exec_lo, s3
	scratch_load_b64 v[109:110], off, off
	s_mov_b32 s0, 0
	s_mov_b32 s3, exec_lo
	s_waitcnt vmcnt(0)
	ds_store_b64 v112, v[109:110]
	s_waitcnt lgkmcnt(0)
	s_waitcnt_vscnt null, 0x0
	s_barrier
	buffer_gl0_inv
	v_cmpx_ne_u32_e32 0, v0
	s_cbranch_execz .LBB53_528
; %bb.519:
	s_and_not1_b32 vcc_lo, exec_lo, s2
	s_cbranch_vccnz .LBB53_521
; %bb.520:
	scratch_load_b64 v[109:110], v113, off
	ds_load_b64 v[114:115], v112
	s_waitcnt vmcnt(0) lgkmcnt(0)
	v_mul_f64 v[109:110], v[109:110], v[114:115]
	s_cbranch_execz .LBB53_522
	s_branch .LBB53_523
.LBB53_521:
                                        ; implicit-def: $vgpr109_vgpr110
.LBB53_522:
	ds_load_b64 v[109:110], v112
.LBB53_523:
	s_and_saveexec_b32 s4, s1
	s_cbranch_execz .LBB53_527
; %bb.524:
	v_or_b32_e64 v114, 0, 8
	v_add_nc_u32_e32 v115, -1, v0
	s_movk_i32 s5, 0x1b8
	s_mov_b32 s1, 0
.LBB53_525:                             ; =>This Inner Loop Header: Depth=1
	scratch_load_b64 v[116:117], v114, off
	v_dual_mov_b32 v118, s5 :: v_dual_add_nc_u32 v115, -1, v115
	v_add_nc_u32_e32 v114, 8, v114
	s_add_i32 s5, s5, 8
	ds_load_b64 v[118:119], v118
	v_cmp_eq_u32_e32 vcc_lo, 0, v115
	s_or_b32 s1, vcc_lo, s1
	s_waitcnt vmcnt(0) lgkmcnt(0)
	v_fma_f64 v[109:110], v[116:117], v[118:119], v[109:110]
	s_and_not1_b32 exec_lo, exec_lo, s1
	s_cbranch_execnz .LBB53_525
; %bb.526:
	s_or_b32 exec_lo, exec_lo, s1
.LBB53_527:
	s_delay_alu instid0(SALU_CYCLE_1)
	s_or_b32 exec_lo, exec_lo, s4
	v_mov_b32_e32 v114, 0
	ds_load_b64 v[114:115], v114
	s_waitcnt lgkmcnt(0)
	v_mul_f64 v[109:110], v[109:110], v[114:115]
	scratch_store_b64 off, v[109:110], off
.LBB53_528:
	s_or_b32 exec_lo, exec_lo, s3
.LBB53_529:
	s_delay_alu instid0(SALU_CYCLE_1)
	s_and_b32 vcc_lo, exec_lo, s0
	s_cbranch_vccz .LBB53_1055
; %bb.530:
	scratch_load_b64 v[109:110], off, off offset:8
	v_cmp_eq_u32_e64 s0, 0, v0
	s_waitcnt vmcnt(0)
	ds_store_b64 v112, v[109:110]
	s_waitcnt lgkmcnt(0)
	s_waitcnt_vscnt null, 0x0
	s_barrier
	buffer_gl0_inv
	s_and_saveexec_b32 s1, s0
	s_cbranch_execz .LBB53_536
; %bb.531:
	s_and_b32 vcc_lo, exec_lo, s2
	s_cbranch_vccz .LBB53_533
; %bb.532:
	scratch_load_b64 v[109:110], v113, off
	ds_load_b64 v[114:115], v112
	s_waitcnt vmcnt(0) lgkmcnt(0)
	v_mul_f64 v[109:110], v[109:110], v[114:115]
	s_cbranch_execz .LBB53_534
	s_branch .LBB53_535
.LBB53_533:
                                        ; implicit-def: $vgpr109_vgpr110
.LBB53_534:
	ds_load_b64 v[109:110], v112
.LBB53_535:
	v_mov_b32_e32 v114, 0
	ds_load_b64 v[114:115], v114 offset:8
	s_waitcnt lgkmcnt(0)
	v_mul_f64 v[109:110], v[109:110], v[114:115]
	scratch_store_b64 off, v[109:110], off offset:8
.LBB53_536:
	s_or_b32 exec_lo, exec_lo, s1
	scratch_load_b64 v[109:110], off, off offset:16
	v_cndmask_b32_e64 v114, 0, 1, s2
	s_mov_b32 s1, exec_lo
	s_waitcnt vmcnt(0)
	ds_store_b64 v112, v[109:110]
	s_waitcnt lgkmcnt(0)
	s_waitcnt_vscnt null, 0x0
	s_barrier
	buffer_gl0_inv
	v_cmpx_gt_u32_e32 2, v0
	s_cbranch_execz .LBB53_544
; %bb.537:
	s_and_not1_b32 vcc_lo, exec_lo, s2
	s_cbranch_vccnz .LBB53_539
; %bb.538:
	scratch_load_b64 v[109:110], v113, off
	ds_load_b64 v[115:116], v112
	s_waitcnt vmcnt(0) lgkmcnt(0)
	v_mul_f64 v[109:110], v[109:110], v[115:116]
	s_cbranch_execz .LBB53_540
	s_branch .LBB53_541
.LBB53_539:
                                        ; implicit-def: $vgpr109_vgpr110
.LBB53_540:
	ds_load_b64 v[109:110], v112
.LBB53_541:
	s_and_saveexec_b32 s2, s0
	s_cbranch_execz .LBB53_543
; %bb.542:
	scratch_load_b64 v[115:116], v113, off offset:8
	ds_load_b64 v[117:118], v112 offset:8
	s_waitcnt vmcnt(0) lgkmcnt(0)
	v_fma_f64 v[109:110], v[115:116], v[117:118], v[109:110]
.LBB53_543:
	s_or_b32 exec_lo, exec_lo, s2
	v_mov_b32_e32 v115, 0
	ds_load_b64 v[115:116], v115 offset:16
	s_waitcnt lgkmcnt(0)
	v_mul_f64 v[109:110], v[109:110], v[115:116]
	scratch_store_b64 off, v[109:110], off offset:16
.LBB53_544:
	s_or_b32 exec_lo, exec_lo, s1
	scratch_load_b64 v[109:110], off, off offset:24
	s_mov_b32 s1, exec_lo
	s_waitcnt vmcnt(0)
	ds_store_b64 v112, v[109:110]
	s_waitcnt lgkmcnt(0)
	s_waitcnt_vscnt null, 0x0
	s_barrier
	buffer_gl0_inv
	v_cmpx_gt_u32_e32 3, v0
	s_cbranch_execz .LBB53_554
; %bb.545:
	v_cmp_ne_u32_e32 vcc_lo, 1, v114
	s_cbranch_vccnz .LBB53_547
; %bb.546:
	scratch_load_b64 v[109:110], v113, off
	ds_load_b64 v[115:116], v112
	s_waitcnt vmcnt(0) lgkmcnt(0)
	v_mul_f64 v[109:110], v[109:110], v[115:116]
	s_cbranch_execz .LBB53_548
	s_branch .LBB53_549
.LBB53_547:
                                        ; implicit-def: $vgpr109_vgpr110
.LBB53_548:
	ds_load_b64 v[109:110], v112
.LBB53_549:
	s_mov_b32 s2, exec_lo
	v_cmpx_ne_u32_e32 2, v0
	s_cbranch_execz .LBB53_553
; %bb.550:
	scratch_load_b64 v[115:116], v113, off offset:8
	ds_load_b64 v[117:118], v112 offset:8
	s_waitcnt vmcnt(0) lgkmcnt(0)
	v_fma_f64 v[109:110], v[115:116], v[117:118], v[109:110]
	s_and_saveexec_b32 s3, s0
	s_cbranch_execz .LBB53_552
; %bb.551:
	scratch_load_b64 v[115:116], off, off offset:16
	v_mov_b32_e32 v117, 0
	ds_load_b64 v[117:118], v117 offset:448
	s_waitcnt vmcnt(0) lgkmcnt(0)
	v_fma_f64 v[109:110], v[115:116], v[117:118], v[109:110]
.LBB53_552:
	s_or_b32 exec_lo, exec_lo, s3
.LBB53_553:
	s_delay_alu instid0(SALU_CYCLE_1)
	s_or_b32 exec_lo, exec_lo, s2
	v_mov_b32_e32 v115, 0
	ds_load_b64 v[115:116], v115 offset:24
	s_waitcnt lgkmcnt(0)
	v_mul_f64 v[109:110], v[109:110], v[115:116]
	scratch_store_b64 off, v[109:110], off offset:24
.LBB53_554:
	s_or_b32 exec_lo, exec_lo, s1
	scratch_load_b64 v[109:110], off, off offset:32
	s_mov_b32 s0, exec_lo
	s_waitcnt vmcnt(0)
	ds_store_b64 v112, v[109:110]
	s_waitcnt lgkmcnt(0)
	s_waitcnt_vscnt null, 0x0
	s_barrier
	buffer_gl0_inv
	v_cmpx_gt_u32_e32 4, v0
	s_cbranch_execz .LBB53_564
; %bb.555:
	v_cmp_ne_u32_e32 vcc_lo, 1, v114
	s_cbranch_vccnz .LBB53_557
; %bb.556:
	scratch_load_b64 v[109:110], v113, off
	ds_load_b64 v[115:116], v112
	s_waitcnt vmcnt(0) lgkmcnt(0)
	v_mul_f64 v[109:110], v[109:110], v[115:116]
	s_cbranch_execz .LBB53_558
	s_branch .LBB53_559
.LBB53_557:
                                        ; implicit-def: $vgpr109_vgpr110
.LBB53_558:
	ds_load_b64 v[109:110], v112
.LBB53_559:
	s_mov_b32 s1, exec_lo
	v_cmpx_ne_u32_e32 3, v0
	s_cbranch_execz .LBB53_563
; %bb.560:
	v_add_nc_u32_e32 v115, 0x1b8, v111
	v_add3_u32 v116, 0, v111, 8
	v_mov_b32_e32 v117, v0
	s_mov_b32 s2, 0
.LBB53_561:                             ; =>This Inner Loop Header: Depth=1
	scratch_load_b64 v[118:119], v116, off
	ds_load_b64 v[120:121], v115
	v_add_nc_u32_e32 v117, 1, v117
	v_add_nc_u32_e32 v115, 8, v115
	v_add_nc_u32_e32 v116, 8, v116
	s_delay_alu instid0(VALU_DEP_3)
	v_cmp_lt_u32_e32 vcc_lo, 2, v117
	s_or_b32 s2, vcc_lo, s2
	s_waitcnt vmcnt(0) lgkmcnt(0)
	v_fma_f64 v[109:110], v[118:119], v[120:121], v[109:110]
	s_and_not1_b32 exec_lo, exec_lo, s2
	s_cbranch_execnz .LBB53_561
; %bb.562:
	s_or_b32 exec_lo, exec_lo, s2
.LBB53_563:
	s_delay_alu instid0(SALU_CYCLE_1)
	s_or_b32 exec_lo, exec_lo, s1
	v_mov_b32_e32 v115, 0
	ds_load_b64 v[115:116], v115 offset:32
	s_waitcnt lgkmcnt(0)
	v_mul_f64 v[109:110], v[109:110], v[115:116]
	scratch_store_b64 off, v[109:110], off offset:32
.LBB53_564:
	s_or_b32 exec_lo, exec_lo, s0
	scratch_load_b64 v[109:110], off, off offset:40
	s_mov_b32 s0, exec_lo
	s_waitcnt vmcnt(0)
	ds_store_b64 v112, v[109:110]
	s_waitcnt lgkmcnt(0)
	s_waitcnt_vscnt null, 0x0
	s_barrier
	buffer_gl0_inv
	v_cmpx_gt_u32_e32 5, v0
	s_cbranch_execz .LBB53_574
; %bb.565:
	v_cmp_ne_u32_e32 vcc_lo, 1, v114
	s_cbranch_vccnz .LBB53_567
; %bb.566:
	scratch_load_b64 v[109:110], v113, off
	ds_load_b64 v[115:116], v112
	s_waitcnt vmcnt(0) lgkmcnt(0)
	v_mul_f64 v[109:110], v[109:110], v[115:116]
	s_cbranch_execz .LBB53_568
	s_branch .LBB53_569
.LBB53_567:
                                        ; implicit-def: $vgpr109_vgpr110
.LBB53_568:
	ds_load_b64 v[109:110], v112
.LBB53_569:
	s_mov_b32 s1, exec_lo
	v_cmpx_ne_u32_e32 4, v0
	s_cbranch_execz .LBB53_573
; %bb.570:
	v_add_nc_u32_e32 v115, 0x1b8, v111
	v_add3_u32 v116, 0, v111, 8
	v_mov_b32_e32 v117, v0
	s_mov_b32 s2, 0
.LBB53_571:                             ; =>This Inner Loop Header: Depth=1
	scratch_load_b64 v[118:119], v116, off
	ds_load_b64 v[120:121], v115
	v_add_nc_u32_e32 v117, 1, v117
	v_add_nc_u32_e32 v115, 8, v115
	v_add_nc_u32_e32 v116, 8, v116
	s_delay_alu instid0(VALU_DEP_3)
	v_cmp_lt_u32_e32 vcc_lo, 3, v117
	s_or_b32 s2, vcc_lo, s2
	s_waitcnt vmcnt(0) lgkmcnt(0)
	v_fma_f64 v[109:110], v[118:119], v[120:121], v[109:110]
	s_and_not1_b32 exec_lo, exec_lo, s2
	s_cbranch_execnz .LBB53_571
; %bb.572:
	s_or_b32 exec_lo, exec_lo, s2
.LBB53_573:
	s_delay_alu instid0(SALU_CYCLE_1)
	s_or_b32 exec_lo, exec_lo, s1
	v_mov_b32_e32 v115, 0
	ds_load_b64 v[115:116], v115 offset:40
	s_waitcnt lgkmcnt(0)
	v_mul_f64 v[109:110], v[109:110], v[115:116]
	scratch_store_b64 off, v[109:110], off offset:40
.LBB53_574:
	;; [unrolled: 58-line block ×44, first 2 shown]
	s_or_b32 exec_lo, exec_lo, s0
	scratch_load_b64 v[109:110], off, off offset:384
	s_mov_b32 s0, exec_lo
	s_waitcnt vmcnt(0)
	ds_store_b64 v112, v[109:110]
	s_waitcnt lgkmcnt(0)
	s_waitcnt_vscnt null, 0x0
	s_barrier
	buffer_gl0_inv
	v_cmpx_gt_u32_e32 48, v0
	s_cbranch_execz .LBB53_1004
; %bb.995:
	v_cmp_ne_u32_e32 vcc_lo, 1, v114
	s_cbranch_vccnz .LBB53_997
; %bb.996:
	scratch_load_b64 v[109:110], v113, off
	ds_load_b64 v[115:116], v112
	s_waitcnt vmcnt(0) lgkmcnt(0)
	v_mul_f64 v[109:110], v[109:110], v[115:116]
	s_cbranch_execz .LBB53_998
	s_branch .LBB53_999
.LBB53_997:
                                        ; implicit-def: $vgpr109_vgpr110
.LBB53_998:
	ds_load_b64 v[109:110], v112
.LBB53_999:
	s_mov_b32 s1, exec_lo
	v_cmpx_ne_u32_e32 47, v0
	s_cbranch_execz .LBB53_1003
; %bb.1000:
	v_add_nc_u32_e32 v115, 0x1b8, v111
	v_add3_u32 v116, 0, v111, 8
	v_mov_b32_e32 v117, v0
	s_mov_b32 s2, 0
.LBB53_1001:                            ; =>This Inner Loop Header: Depth=1
	scratch_load_b64 v[118:119], v116, off
	ds_load_b64 v[120:121], v115
	v_add_nc_u32_e32 v117, 1, v117
	v_add_nc_u32_e32 v115, 8, v115
	v_add_nc_u32_e32 v116, 8, v116
	s_delay_alu instid0(VALU_DEP_3)
	v_cmp_lt_u32_e32 vcc_lo, 46, v117
	s_or_b32 s2, vcc_lo, s2
	s_waitcnt vmcnt(0) lgkmcnt(0)
	v_fma_f64 v[109:110], v[118:119], v[120:121], v[109:110]
	s_and_not1_b32 exec_lo, exec_lo, s2
	s_cbranch_execnz .LBB53_1001
; %bb.1002:
	s_or_b32 exec_lo, exec_lo, s2
.LBB53_1003:
	s_delay_alu instid0(SALU_CYCLE_1)
	s_or_b32 exec_lo, exec_lo, s1
	v_mov_b32_e32 v115, 0
	ds_load_b64 v[115:116], v115 offset:384
	s_waitcnt lgkmcnt(0)
	v_mul_f64 v[109:110], v[109:110], v[115:116]
	scratch_store_b64 off, v[109:110], off offset:384
.LBB53_1004:
	s_or_b32 exec_lo, exec_lo, s0
	scratch_load_b64 v[109:110], off, off offset:392
	s_mov_b32 s0, exec_lo
	s_waitcnt vmcnt(0)
	ds_store_b64 v112, v[109:110]
	s_waitcnt lgkmcnt(0)
	s_waitcnt_vscnt null, 0x0
	s_barrier
	buffer_gl0_inv
	v_cmpx_gt_u32_e32 49, v0
	s_cbranch_execz .LBB53_1014
; %bb.1005:
	v_cmp_ne_u32_e32 vcc_lo, 1, v114
	s_cbranch_vccnz .LBB53_1007
; %bb.1006:
	scratch_load_b64 v[109:110], v113, off
	ds_load_b64 v[115:116], v112
	s_waitcnt vmcnt(0) lgkmcnt(0)
	v_mul_f64 v[109:110], v[109:110], v[115:116]
	s_cbranch_execz .LBB53_1008
	s_branch .LBB53_1009
.LBB53_1007:
                                        ; implicit-def: $vgpr109_vgpr110
.LBB53_1008:
	ds_load_b64 v[109:110], v112
.LBB53_1009:
	s_mov_b32 s1, exec_lo
	v_cmpx_ne_u32_e32 48, v0
	s_cbranch_execz .LBB53_1013
; %bb.1010:
	v_add_nc_u32_e32 v115, 0x1b8, v111
	v_add3_u32 v116, 0, v111, 8
	v_mov_b32_e32 v117, v0
	s_mov_b32 s2, 0
.LBB53_1011:                            ; =>This Inner Loop Header: Depth=1
	scratch_load_b64 v[118:119], v116, off
	ds_load_b64 v[120:121], v115
	v_add_nc_u32_e32 v117, 1, v117
	v_add_nc_u32_e32 v115, 8, v115
	v_add_nc_u32_e32 v116, 8, v116
	s_delay_alu instid0(VALU_DEP_3)
	v_cmp_lt_u32_e32 vcc_lo, 47, v117
	s_or_b32 s2, vcc_lo, s2
	s_waitcnt vmcnt(0) lgkmcnt(0)
	v_fma_f64 v[109:110], v[118:119], v[120:121], v[109:110]
	s_and_not1_b32 exec_lo, exec_lo, s2
	s_cbranch_execnz .LBB53_1011
; %bb.1012:
	s_or_b32 exec_lo, exec_lo, s2
.LBB53_1013:
	s_delay_alu instid0(SALU_CYCLE_1)
	s_or_b32 exec_lo, exec_lo, s1
	v_mov_b32_e32 v115, 0
	ds_load_b64 v[115:116], v115 offset:392
	s_waitcnt lgkmcnt(0)
	v_mul_f64 v[109:110], v[109:110], v[115:116]
	scratch_store_b64 off, v[109:110], off offset:392
.LBB53_1014:
	;; [unrolled: 58-line block ×4, first 2 shown]
	s_or_b32 exec_lo, exec_lo, s0
	scratch_load_b64 v[109:110], off, off offset:416
	v_cmp_gt_u32_e64 s0, 52, v0
	s_waitcnt vmcnt(0)
	ds_store_b64 v112, v[109:110]
	s_waitcnt lgkmcnt(0)
	s_waitcnt_vscnt null, 0x0
	s_barrier
	buffer_gl0_inv
	s_and_saveexec_b32 s1, s0
	s_cbranch_execz .LBB53_1044
; %bb.1035:
	v_cmp_ne_u32_e32 vcc_lo, 1, v114
	s_cbranch_vccnz .LBB53_1037
; %bb.1036:
	scratch_load_b64 v[109:110], v113, off
	ds_load_b64 v[115:116], v112
	s_waitcnt vmcnt(0) lgkmcnt(0)
	v_mul_f64 v[109:110], v[109:110], v[115:116]
	s_cbranch_execz .LBB53_1038
	s_branch .LBB53_1039
.LBB53_1037:
                                        ; implicit-def: $vgpr109_vgpr110
.LBB53_1038:
	ds_load_b64 v[109:110], v112
.LBB53_1039:
	s_mov_b32 s2, exec_lo
	v_cmpx_ne_u32_e32 51, v0
	s_cbranch_execz .LBB53_1043
; %bb.1040:
	v_add_nc_u32_e32 v115, 0x1b8, v111
	v_add3_u32 v116, 0, v111, 8
	v_mov_b32_e32 v117, v0
	s_mov_b32 s3, 0
.LBB53_1041:                            ; =>This Inner Loop Header: Depth=1
	scratch_load_b64 v[118:119], v116, off
	ds_load_b64 v[120:121], v115
	v_add_nc_u32_e32 v117, 1, v117
	v_add_nc_u32_e32 v115, 8, v115
	;; [unrolled: 1-line block ×3, first 2 shown]
	s_delay_alu instid0(VALU_DEP_3)
	v_cmp_lt_u32_e32 vcc_lo, 50, v117
	s_or_b32 s3, vcc_lo, s3
	s_waitcnt vmcnt(0) lgkmcnt(0)
	v_fma_f64 v[109:110], v[118:119], v[120:121], v[109:110]
	s_and_not1_b32 exec_lo, exec_lo, s3
	s_cbranch_execnz .LBB53_1041
; %bb.1042:
	s_or_b32 exec_lo, exec_lo, s3
.LBB53_1043:
	s_delay_alu instid0(SALU_CYCLE_1)
	s_or_b32 exec_lo, exec_lo, s2
	v_mov_b32_e32 v115, 0
	ds_load_b64 v[115:116], v115 offset:416
	s_waitcnt lgkmcnt(0)
	v_mul_f64 v[109:110], v[109:110], v[115:116]
	scratch_store_b64 off, v[109:110], off offset:416
.LBB53_1044:
	s_or_b32 exec_lo, exec_lo, s1
	scratch_load_b64 v[109:110], off, off offset:424
	s_mov_b32 s1, exec_lo
	s_waitcnt vmcnt(0)
	ds_store_b64 v112, v[109:110]
	s_waitcnt lgkmcnt(0)
	s_waitcnt_vscnt null, 0x0
	s_barrier
	buffer_gl0_inv
	v_cmpx_ne_u32_e32 53, v0
	s_cbranch_execz .LBB53_1054
; %bb.1045:
	v_cmp_ne_u32_e32 vcc_lo, 1, v114
	s_cbranch_vccnz .LBB53_1047
; %bb.1046:
	scratch_load_b64 v[109:110], v113, off
	ds_load_b64 v[113:114], v112
	s_waitcnt vmcnt(0) lgkmcnt(0)
	v_mul_f64 v[109:110], v[109:110], v[113:114]
	s_cbranch_execz .LBB53_1048
	s_branch .LBB53_1049
.LBB53_1047:
                                        ; implicit-def: $vgpr109_vgpr110
.LBB53_1048:
	ds_load_b64 v[109:110], v112
.LBB53_1049:
	s_and_saveexec_b32 s2, s0
	s_cbranch_execz .LBB53_1053
; %bb.1050:
	v_add_nc_u32_e32 v112, 0x1b8, v111
	v_add3_u32 v111, 0, v111, 8
	s_mov_b32 s0, 0
.LBB53_1051:                            ; =>This Inner Loop Header: Depth=1
	scratch_load_b64 v[113:114], v111, off
	ds_load_b64 v[115:116], v112
	v_add_nc_u32_e32 v0, 1, v0
	v_add_nc_u32_e32 v112, 8, v112
	;; [unrolled: 1-line block ×3, first 2 shown]
	s_delay_alu instid0(VALU_DEP_3)
	v_cmp_lt_u32_e32 vcc_lo, 51, v0
	s_or_b32 s0, vcc_lo, s0
	s_waitcnt vmcnt(0) lgkmcnt(0)
	v_fma_f64 v[109:110], v[113:114], v[115:116], v[109:110]
	s_and_not1_b32 exec_lo, exec_lo, s0
	s_cbranch_execnz .LBB53_1051
; %bb.1052:
	s_or_b32 exec_lo, exec_lo, s0
.LBB53_1053:
	s_delay_alu instid0(SALU_CYCLE_1)
	s_or_b32 exec_lo, exec_lo, s2
	v_mov_b32_e32 v0, 0
	ds_load_b64 v[111:112], v0 offset:424
	s_waitcnt lgkmcnt(0)
	v_mul_f64 v[109:110], v[109:110], v[111:112]
	scratch_store_b64 off, v[109:110], off offset:424
.LBB53_1054:
	s_or_b32 exec_lo, exec_lo, s1
.LBB53_1055:
	s_clause 0xd
	scratch_load_b128 v[109:112], off, off
	scratch_load_b128 v[113:116], off, off offset:16
	scratch_load_b128 v[117:120], off, off offset:32
	;; [unrolled: 1-line block ×13, first 2 shown]
	s_waitcnt vmcnt(13)
	s_clause 0x1
	global_store_b64 v[13:14], v[109:110], off
	global_store_b64 v[15:16], v[111:112], off
	s_clause 0x1
	scratch_load_b128 v[13:16], off, off offset:224
	scratch_load_b128 v[109:112], off, off offset:240
	s_waitcnt vmcnt(14)
	s_clause 0x1
	global_store_b64 v[17:18], v[113:114], off
	global_store_b64 v[19:20], v[115:116], off
	s_clause 0x1
	scratch_load_b128 v[17:20], off, off offset:256
	scratch_load_b128 v[113:116], off, off offset:272
	;; [unrolled: 7-line block ×6, first 2 shown]
	s_waitcnt vmcnt(19)
	s_clause 0x1
	global_store_b64 v[37:38], v[133:134], off
	global_store_b64 v[39:40], v[135:136], off
	scratch_load_b128 v[37:40], off, off offset:416
	s_waitcnt vmcnt(19)
	s_clause 0x1
	global_store_b64 v[41:42], v[137:138], off
	global_store_b64 v[43:44], v[139:140], off
	s_waitcnt vmcnt(18)
	s_clause 0x1
	global_store_b64 v[45:46], v[141:142], off
	global_store_b64 v[47:48], v[143:144], off
	;; [unrolled: 4-line block ×20, first 2 shown]
.LBB53_1056:
	s_endpgm
	.section	.rodata,"a",@progbits
	.p2align	6, 0x0
	.amdhsa_kernel _ZN9rocsolver6v33100L18trti2_kernel_smallILi54EdPdEEv13rocblas_fill_17rocblas_diagonal_T1_iil
		.amdhsa_group_segment_fixed_size 864
		.amdhsa_private_segment_fixed_size 448
		.amdhsa_kernarg_size 32
		.amdhsa_user_sgpr_count 15
		.amdhsa_user_sgpr_dispatch_ptr 0
		.amdhsa_user_sgpr_queue_ptr 0
		.amdhsa_user_sgpr_kernarg_segment_ptr 1
		.amdhsa_user_sgpr_dispatch_id 0
		.amdhsa_user_sgpr_private_segment_size 0
		.amdhsa_wavefront_size32 1
		.amdhsa_uses_dynamic_stack 0
		.amdhsa_enable_private_segment 1
		.amdhsa_system_sgpr_workgroup_id_x 1
		.amdhsa_system_sgpr_workgroup_id_y 0
		.amdhsa_system_sgpr_workgroup_id_z 0
		.amdhsa_system_sgpr_workgroup_info 0
		.amdhsa_system_vgpr_workitem_id 0
		.amdhsa_next_free_vgpr 184
		.amdhsa_next_free_sgpr 24
		.amdhsa_reserve_vcc 1
		.amdhsa_float_round_mode_32 0
		.amdhsa_float_round_mode_16_64 0
		.amdhsa_float_denorm_mode_32 3
		.amdhsa_float_denorm_mode_16_64 3
		.amdhsa_dx10_clamp 1
		.amdhsa_ieee_mode 1
		.amdhsa_fp16_overflow 0
		.amdhsa_workgroup_processor_mode 1
		.amdhsa_memory_ordered 1
		.amdhsa_forward_progress 0
		.amdhsa_shared_vgpr_count 0
		.amdhsa_exception_fp_ieee_invalid_op 0
		.amdhsa_exception_fp_denorm_src 0
		.amdhsa_exception_fp_ieee_div_zero 0
		.amdhsa_exception_fp_ieee_overflow 0
		.amdhsa_exception_fp_ieee_underflow 0
		.amdhsa_exception_fp_ieee_inexact 0
		.amdhsa_exception_int_div_zero 0
	.end_amdhsa_kernel
	.section	.text._ZN9rocsolver6v33100L18trti2_kernel_smallILi54EdPdEEv13rocblas_fill_17rocblas_diagonal_T1_iil,"axG",@progbits,_ZN9rocsolver6v33100L18trti2_kernel_smallILi54EdPdEEv13rocblas_fill_17rocblas_diagonal_T1_iil,comdat
.Lfunc_end53:
	.size	_ZN9rocsolver6v33100L18trti2_kernel_smallILi54EdPdEEv13rocblas_fill_17rocblas_diagonal_T1_iil, .Lfunc_end53-_ZN9rocsolver6v33100L18trti2_kernel_smallILi54EdPdEEv13rocblas_fill_17rocblas_diagonal_T1_iil
                                        ; -- End function
	.section	.AMDGPU.csdata,"",@progbits
; Kernel info:
; codeLenInByte = 29628
; NumSgprs: 26
; NumVgprs: 184
; ScratchSize: 448
; MemoryBound: 0
; FloatMode: 240
; IeeeMode: 1
; LDSByteSize: 864 bytes/workgroup (compile time only)
; SGPRBlocks: 3
; VGPRBlocks: 22
; NumSGPRsForWavesPerEU: 26
; NumVGPRsForWavesPerEU: 184
; Occupancy: 8
; WaveLimiterHint : 0
; COMPUTE_PGM_RSRC2:SCRATCH_EN: 1
; COMPUTE_PGM_RSRC2:USER_SGPR: 15
; COMPUTE_PGM_RSRC2:TRAP_HANDLER: 0
; COMPUTE_PGM_RSRC2:TGID_X_EN: 1
; COMPUTE_PGM_RSRC2:TGID_Y_EN: 0
; COMPUTE_PGM_RSRC2:TGID_Z_EN: 0
; COMPUTE_PGM_RSRC2:TIDIG_COMP_CNT: 0
	.section	.text._ZN9rocsolver6v33100L18trti2_kernel_smallILi55EdPdEEv13rocblas_fill_17rocblas_diagonal_T1_iil,"axG",@progbits,_ZN9rocsolver6v33100L18trti2_kernel_smallILi55EdPdEEv13rocblas_fill_17rocblas_diagonal_T1_iil,comdat
	.globl	_ZN9rocsolver6v33100L18trti2_kernel_smallILi55EdPdEEv13rocblas_fill_17rocblas_diagonal_T1_iil ; -- Begin function _ZN9rocsolver6v33100L18trti2_kernel_smallILi55EdPdEEv13rocblas_fill_17rocblas_diagonal_T1_iil
	.p2align	8
	.type	_ZN9rocsolver6v33100L18trti2_kernel_smallILi55EdPdEEv13rocblas_fill_17rocblas_diagonal_T1_iil,@function
_ZN9rocsolver6v33100L18trti2_kernel_smallILi55EdPdEEv13rocblas_fill_17rocblas_diagonal_T1_iil: ; @_ZN9rocsolver6v33100L18trti2_kernel_smallILi55EdPdEEv13rocblas_fill_17rocblas_diagonal_T1_iil
; %bb.0:
	s_mov_b32 s2, exec_lo
	v_cmpx_gt_u32_e32 55, v0
	s_cbranch_execz .LBB54_1076
; %bb.1:
	s_load_b256 s[0:7], s[0:1], 0x0
	s_ashr_i32 s8, s15, 31
	v_lshlrev_b32_e32 v113, 3, v0
	s_waitcnt lgkmcnt(0)
	s_mul_i32 s7, s15, s7
	s_mul_hi_u32 s10, s15, s6
	s_mul_i32 s8, s8, s6
	s_add_i32 s7, s10, s7
	s_mul_i32 s6, s15, s6
	s_add_i32 s7, s7, s8
	v_add3_u32 v5, s5, s5, v0
	s_lshl_b64 s[6:7], s[6:7], 3
	s_ashr_i32 s9, s4, 31
	s_mov_b32 s8, s4
	s_add_u32 s4, s2, s6
	s_addc_u32 s6, s3, s7
	s_lshl_b64 s[2:3], s[8:9], 3
	v_add_nc_u32_e32 v7, s5, v5
	s_add_u32 s2, s4, s2
	s_addc_u32 s3, s6, s3
	v_add_co_u32 v15, s4, s2, v113
	s_mov_b32 s10, s5
	s_ashr_i32 s11, s5, 31
	v_add_co_ci_u32_e64 v16, null, s3, 0, s4
	v_ashrrev_i32_e32 v6, 31, v5
	s_lshl_b64 s[6:7], s[10:11], 3
	v_add_nc_u32_e32 v9, s5, v7
	v_add_co_u32 v13, vcc_lo, v15, s6
	v_ashrrev_i32_e32 v8, 31, v7
	v_add_co_ci_u32_e32 v14, vcc_lo, s7, v16, vcc_lo
	v_lshlrev_b64 v[5:6], 3, v[5:6]
	v_add_nc_u32_e32 v11, s5, v9
	s_delay_alu instid0(VALU_DEP_4)
	v_lshlrev_b64 v[7:8], 3, v[7:8]
	v_ashrrev_i32_e32 v10, 31, v9
	s_clause 0x1
	global_load_b64 v[1:2], v113, s[2:3]
	global_load_b64 v[3:4], v[13:14], off
	s_cmpk_lg_i32 s1, 0x84
	v_add_co_u32 v17, vcc_lo, s2, v5
	v_ashrrev_i32_e32 v12, 31, v11
	v_add_co_ci_u32_e32 v18, vcc_lo, s3, v6, vcc_lo
	v_lshlrev_b64 v[5:6], 3, v[9:10]
	v_add_co_u32 v19, vcc_lo, s2, v7
	v_add_co_ci_u32_e32 v20, vcc_lo, s3, v8, vcc_lo
	v_lshlrev_b64 v[7:8], 3, v[11:12]
	s_delay_alu instid0(VALU_DEP_4) | instskip(SKIP_2) | instid1(VALU_DEP_4)
	v_add_co_u32 v21, vcc_lo, s2, v5
	v_add_co_ci_u32_e32 v22, vcc_lo, s3, v6, vcc_lo
	v_add_nc_u32_e32 v25, s5, v11
	v_add_co_u32 v23, vcc_lo, s2, v7
	v_add_co_ci_u32_e32 v24, vcc_lo, s3, v8, vcc_lo
	s_clause 0x2
	global_load_b64 v[9:10], v[17:18], off
	global_load_b64 v[11:12], v[19:20], off
	global_load_b64 v[5:6], v[21:22], off
	v_add_nc_u32_e32 v59, s5, v25
	v_ashrrev_i32_e32 v26, 31, v25
	global_load_b64 v[7:8], v[23:24], off
	v_add_nc_u32_e32 v27, s5, v59
	v_ashrrev_i32_e32 v60, 31, v59
	v_lshlrev_b64 v[25:26], 3, v[25:26]
	s_delay_alu instid0(VALU_DEP_3) | instskip(SKIP_1) | instid1(VALU_DEP_4)
	v_add_nc_u32_e32 v29, s5, v27
	v_ashrrev_i32_e32 v28, 31, v27
	v_lshlrev_b64 v[59:60], 3, v[59:60]
	s_delay_alu instid0(VALU_DEP_4) | instskip(NEXT) | instid1(VALU_DEP_4)
	v_add_co_u32 v25, vcc_lo, s2, v25
	v_add_nc_u32_e32 v31, s5, v29
	s_delay_alu instid0(VALU_DEP_4) | instskip(SKIP_2) | instid1(VALU_DEP_4)
	v_lshlrev_b64 v[61:62], 3, v[27:28]
	v_ashrrev_i32_e32 v30, 31, v29
	v_add_co_ci_u32_e32 v26, vcc_lo, s3, v26, vcc_lo
	v_add_nc_u32_e32 v33, s5, v31
	v_add_co_u32 v27, vcc_lo, s2, v59
	v_ashrrev_i32_e32 v32, 31, v31
	v_add_co_ci_u32_e32 v28, vcc_lo, s3, v60, vcc_lo
	s_delay_alu instid0(VALU_DEP_4) | instskip(SKIP_3) | instid1(VALU_DEP_4)
	v_add_nc_u32_e32 v35, s5, v33
	v_lshlrev_b64 v[59:60], 3, v[29:30]
	v_add_co_u32 v29, vcc_lo, s2, v61
	v_add_co_ci_u32_e32 v30, vcc_lo, s3, v62, vcc_lo
	v_add_nc_u32_e32 v37, s5, v35
	v_lshlrev_b64 v[61:62], 3, v[31:32]
	v_ashrrev_i32_e32 v34, 31, v33
	v_add_co_u32 v31, vcc_lo, s2, v59
	s_delay_alu instid0(VALU_DEP_4) | instskip(SKIP_3) | instid1(VALU_DEP_4)
	v_add_nc_u32_e32 v39, s5, v37
	v_ashrrev_i32_e32 v36, 31, v35
	v_add_co_ci_u32_e32 v32, vcc_lo, s3, v60, vcc_lo
	v_lshlrev_b64 v[59:60], 3, v[33:34]
	v_add_nc_u32_e32 v41, s5, v39
	v_add_co_u32 v33, vcc_lo, s2, v61
	v_add_co_ci_u32_e32 v34, vcc_lo, s3, v62, vcc_lo
	s_delay_alu instid0(VALU_DEP_3) | instskip(SKIP_3) | instid1(VALU_DEP_4)
	v_add_nc_u32_e32 v43, s5, v41
	v_lshlrev_b64 v[61:62], 3, v[35:36]
	v_ashrrev_i32_e32 v38, 31, v37
	v_add_co_u32 v35, vcc_lo, s2, v59
	v_add_nc_u32_e32 v45, s5, v43
	v_ashrrev_i32_e32 v40, 31, v39
	v_add_co_ci_u32_e32 v36, vcc_lo, s3, v60, vcc_lo
	v_lshlrev_b64 v[59:60], 3, v[37:38]
	s_delay_alu instid0(VALU_DEP_4) | instskip(SKIP_2) | instid1(VALU_DEP_3)
	v_add_nc_u32_e32 v47, s5, v45
	v_add_co_u32 v37, vcc_lo, s2, v61
	v_add_co_ci_u32_e32 v38, vcc_lo, s3, v62, vcc_lo
	v_add_nc_u32_e32 v49, s5, v47
	v_lshlrev_b64 v[61:62], 3, v[39:40]
	v_ashrrev_i32_e32 v42, 31, v41
	v_add_co_u32 v39, vcc_lo, s2, v59
	s_delay_alu instid0(VALU_DEP_4)
	v_add_nc_u32_e32 v51, s5, v49
	v_ashrrev_i32_e32 v44, 31, v43
	s_clause 0x2
	global_load_b64 v[90:91], v[25:26], off
	global_load_b64 v[92:93], v[27:28], off
	;; [unrolled: 1-line block ×3, first 2 shown]
	v_add_co_ci_u32_e32 v40, vcc_lo, s3, v60, vcc_lo
	v_add_nc_u32_e32 v53, s5, v51
	v_lshlrev_b64 v[59:60], 3, v[41:42]
	global_load_b64 v[96:97], v[31:32], off
	v_add_co_u32 v41, vcc_lo, s2, v61
	v_add_nc_u32_e32 v55, s5, v53
	v_add_co_ci_u32_e32 v42, vcc_lo, s3, v62, vcc_lo
	v_lshlrev_b64 v[61:62], 3, v[43:44]
	v_ashrrev_i32_e32 v46, 31, v45
	s_delay_alu instid0(VALU_DEP_4) | instskip(SKIP_3) | instid1(VALU_DEP_4)
	v_add_nc_u32_e32 v58, s5, v55
	v_add_co_u32 v43, vcc_lo, s2, v59
	v_ashrrev_i32_e32 v48, 31, v47
	v_add_co_ci_u32_e32 v44, vcc_lo, s3, v60, vcc_lo
	v_add_nc_u32_e32 v57, s5, v58
	v_lshlrev_b64 v[59:60], 3, v[45:46]
	v_add_co_u32 v45, vcc_lo, s2, v61
	v_add_co_ci_u32_e32 v46, vcc_lo, s3, v62, vcc_lo
	s_delay_alu instid0(VALU_DEP_4) | instskip(SKIP_3) | instid1(VALU_DEP_4)
	v_add_nc_u32_e32 v63, s5, v57
	v_lshlrev_b64 v[61:62], 3, v[47:48]
	v_ashrrev_i32_e32 v50, 31, v49
	v_add_co_u32 v47, vcc_lo, s2, v59
	v_add_nc_u32_e32 v67, s5, v63
	v_ashrrev_i32_e32 v52, 31, v51
	v_add_co_ci_u32_e32 v48, vcc_lo, s3, v60, vcc_lo
	v_lshlrev_b64 v[59:60], 3, v[49:50]
	s_delay_alu instid0(VALU_DEP_4) | instskip(SKIP_3) | instid1(VALU_DEP_4)
	v_add_nc_u32_e32 v69, s5, v67
	v_add_co_u32 v49, vcc_lo, s2, v61
	v_ashrrev_i32_e32 v54, 31, v53
	v_add_co_ci_u32_e32 v50, vcc_lo, s3, v62, vcc_lo
	v_add_nc_u32_e32 v71, s5, v69
	v_lshlrev_b64 v[61:62], 3, v[51:52]
	v_add_co_u32 v51, vcc_lo, s2, v59
	v_lshlrev_b64 v[64:65], 3, v[53:54]
	s_delay_alu instid0(VALU_DEP_4) | instskip(SKIP_3) | instid1(VALU_DEP_4)
	v_add_nc_u32_e32 v73, s5, v71
	v_ashrrev_i32_e32 v56, 31, v55
	v_add_co_ci_u32_e32 v52, vcc_lo, s3, v60, vcc_lo
	v_add_co_u32 v53, vcc_lo, s2, v61
	v_add_nc_u32_e32 v75, s5, v73
	v_ashrrev_i32_e32 v59, 31, v58
	v_add_co_ci_u32_e32 v54, vcc_lo, s3, v62, vcc_lo
	v_lshlrev_b64 v[60:61], 3, v[55:56]
	s_delay_alu instid0(VALU_DEP_4) | instskip(SKIP_2) | instid1(VALU_DEP_3)
	v_add_nc_u32_e32 v77, s5, v75
	v_add_co_u32 v55, vcc_lo, s2, v64
	v_add_co_ci_u32_e32 v56, vcc_lo, s3, v65, vcc_lo
	v_add_nc_u32_e32 v79, s5, v77
	v_lshlrev_b64 v[65:66], 3, v[58:59]
	v_ashrrev_i32_e32 v58, 31, v57
	s_clause 0x2
	global_load_b64 v[98:99], v[33:34], off
	global_load_b64 v[100:101], v[35:36], off
	global_load_b64 v[102:103], v[37:38], off
	v_add_co_u32 v59, vcc_lo, s2, v60
	v_add_nc_u32_e32 v81, s5, v79
	v_lshlrev_b64 v[57:58], 3, v[57:58]
	global_load_b64 v[104:105], v[39:40], off
	v_ashrrev_i32_e32 v64, 31, v63
	v_add_co_ci_u32_e32 v60, vcc_lo, s3, v61, vcc_lo
	v_add_nc_u32_e32 v83, s5, v81
	v_add_co_u32 v61, vcc_lo, s2, v65
	v_ashrrev_i32_e32 v68, 31, v67
	v_add_co_ci_u32_e32 v62, vcc_lo, s3, v66, vcc_lo
	s_delay_alu instid0(VALU_DEP_4) | instskip(SKIP_3) | instid1(VALU_DEP_4)
	v_add_nc_u32_e32 v85, s5, v83
	v_lshlrev_b64 v[65:66], 3, v[63:64]
	v_add_co_u32 v63, vcc_lo, s2, v57
	v_ashrrev_i32_e32 v70, 31, v69
	v_add_nc_u32_e32 v87, s5, v85
	v_add_co_ci_u32_e32 v64, vcc_lo, s3, v58, vcc_lo
	s_clause 0x3
	global_load_b64 v[106:107], v[41:42], off
	global_load_b64 v[108:109], v[43:44], off
	;; [unrolled: 1-line block ×4, first 2 shown]
	v_add_nc_u32_e32 v89, s5, v87
	s_clause 0x2
	global_load_b64 v[118:119], v[49:50], off
	global_load_b64 v[120:121], v[51:52], off
	;; [unrolled: 1-line block ×3, first 2 shown]
	v_ashrrev_i32_e32 v72, 31, v71
	v_ashrrev_i32_e32 v74, 31, v73
	global_load_b64 v[124:125], v[55:56], off
	v_add_nc_u32_e32 v110, s5, v89
	v_ashrrev_i32_e32 v76, 31, v75
	v_ashrrev_i32_e32 v78, 31, v77
	;; [unrolled: 1-line block ×4, first 2 shown]
	v_add_nc_u32_e32 v156, s5, v110
	v_ashrrev_i32_e32 v84, 31, v83
	v_ashrrev_i32_e32 v86, 31, v85
	;; [unrolled: 1-line block ×3, first 2 shown]
	s_delay_alu instid0(VALU_DEP_4) | instskip(SKIP_1) | instid1(VALU_DEP_2)
	v_add_nc_u32_e32 v158, s5, v156
	v_ashrrev_i32_e32 v157, 31, v156
	v_add_nc_u32_e32 v160, s5, v158
	v_ashrrev_i32_e32 v159, 31, v158
	s_delay_alu instid0(VALU_DEP_2) | instskip(SKIP_1) | instid1(VALU_DEP_2)
	v_add_nc_u32_e32 v162, s5, v160
	v_ashrrev_i32_e32 v161, 31, v160
	v_add_nc_u32_e32 v164, s5, v162
	v_ashrrev_i32_e32 v163, 31, v162
	s_delay_alu instid0(VALU_DEP_2) | instskip(SKIP_1) | instid1(VALU_DEP_2)
	;; [unrolled: 5-line block ×7, first 2 shown]
	v_add_nc_u32_e32 v111, s5, v184
	v_ashrrev_i32_e32 v185, 31, v184
	v_ashrrev_i32_e32 v112, 31, v111
	s_delay_alu instid0(VALU_DEP_1) | instskip(NEXT) | instid1(VALU_DEP_1)
	v_lshlrev_b64 v[111:112], 3, v[111:112]
	v_add_co_u32 v57, vcc_lo, s2, v111
	s_delay_alu instid0(VALU_DEP_2)
	v_add_co_ci_u32_e32 v58, vcc_lo, s3, v112, vcc_lo
	v_add_co_u32 v65, vcc_lo, s2, v65
	v_add_co_ci_u32_e32 v66, vcc_lo, s3, v66, vcc_lo
	global_load_b64 v[186:187], v[57:58], off
	v_ashrrev_i32_e32 v111, 31, v110
	s_waitcnt vmcnt(21)
	scratch_store_b128 off, v[1:4], off
	v_lshlrev_b64 v[1:2], 3, v[67:68]
	v_lshlrev_b64 v[3:4], 3, v[69:70]
	;; [unrolled: 1-line block ×4, first 2 shown]
	s_clause 0x3
	global_load_b64 v[126:127], v[59:60], off
	global_load_b64 v[128:129], v[61:62], off
	;; [unrolled: 1-line block ×4, first 2 shown]
	v_lshlrev_b64 v[71:72], 3, v[83:84]
	v_add_co_u32 v1, vcc_lo, s2, v1
	v_add_co_ci_u32_e32 v2, vcc_lo, s3, v2, vcc_lo
	v_add_co_u32 v3, vcc_lo, s2, v3
	v_add_co_ci_u32_e32 v4, vcc_lo, s3, v4, vcc_lo
	;; [unrolled: 2-line block ×4, first 2 shown]
	s_waitcnt vmcnt(23)
	scratch_store_b128 off, v[9:12], off offset:16
	s_clause 0x1
	global_load_b64 v[134:135], v[1:2], off
	global_load_b64 v[136:137], v[3:4], off
	s_waitcnt vmcnt(23)
	scratch_store_b128 off, v[5:8], off offset:32
	s_clause 0x1
	global_load_b64 v[138:139], v[67:68], off
	global_load_b64 v[140:141], v[69:70], off
	v_lshlrev_b64 v[5:6], 3, v[75:76]
	v_lshlrev_b64 v[7:8], 3, v[77:78]
	;; [unrolled: 1-line block ×5, first 2 shown]
	s_waitcnt vmcnt(23)
	scratch_store_b128 off, v[90:93], off offset:48
	s_waitcnt vmcnt(21)
	scratch_store_b128 off, v[94:97], off offset:64
	v_add_co_u32 v5, vcc_lo, s2, v5
	v_add_co_ci_u32_e32 v6, vcc_lo, s3, v6, vcc_lo
	v_add_co_u32 v7, vcc_lo, s2, v7
	v_add_co_ci_u32_e32 v8, vcc_lo, s3, v8, vcc_lo
	v_add_co_u32 v9, vcc_lo, s2, v9
	v_add_co_ci_u32_e32 v10, vcc_lo, s3, v10, vcc_lo
	v_add_co_u32 v11, vcc_lo, s2, v11
	v_ashrrev_i32_e32 v90, 31, v89
	v_add_co_ci_u32_e32 v12, vcc_lo, s3, v12, vcc_lo
	v_add_co_u32 v71, vcc_lo, s2, v71
	v_lshlrev_b64 v[75:76], 3, v[87:88]
	v_add_co_ci_u32_e32 v72, vcc_lo, s3, v72, vcc_lo
	v_add_co_u32 v73, vcc_lo, s2, v73
	v_lshlrev_b64 v[77:78], 3, v[89:90]
	;; [unrolled: 3-line block ×11, first 2 shown]
	v_add_co_ci_u32_e32 v92, vcc_lo, s3, v92, vcc_lo
	s_clause 0x2
	global_load_b64 v[142:143], v[5:6], off
	global_load_b64 v[144:145], v[7:8], off
	;; [unrolled: 1-line block ×3, first 2 shown]
	s_waitcnt vmcnt(22)
	scratch_store_b128 off, v[98:101], off offset:80
	s_waitcnt vmcnt(20)
	scratch_store_b128 off, v[102:105], off offset:96
	v_add_co_u32 v93, vcc_lo, s2, v93
	v_lshlrev_b64 v[97:98], 3, v[172:173]
	v_add_co_ci_u32_e32 v94, vcc_lo, s3, v94, vcc_lo
	v_add_co_u32 v95, vcc_lo, s2, v95
	v_lshlrev_b64 v[99:100], 3, v[174:175]
	v_add_co_ci_u32_e32 v96, vcc_lo, s3, v96, vcc_lo
	;; [unrolled: 3-line block ×4, first 2 shown]
	s_clause 0x3
	global_load_b64 v[148:149], v[11:12], off
	global_load_b64 v[150:151], v[71:72], off
	;; [unrolled: 1-line block ×4, first 2 shown]
	s_waitcnt vmcnt(22)
	scratch_store_b128 off, v[106:109], off offset:112
	s_waitcnt vmcnt(20)
	scratch_store_b128 off, v[114:117], off offset:128
	v_add_co_u32 v101, vcc_lo, s2, v101
	v_lshlrev_b64 v[105:106], 3, v[180:181]
	v_add_co_ci_u32_e32 v102, vcc_lo, s3, v102, vcc_lo
	v_add_co_u32 v103, vcc_lo, s2, v103
	v_lshlrev_b64 v[107:108], 3, v[182:183]
	v_add_co_ci_u32_e32 v104, vcc_lo, s3, v104, vcc_lo
	;; [unrolled: 3-line block ×3, first 2 shown]
	v_add_co_u32 v107, vcc_lo, s2, v107
	v_add_co_ci_u32_e32 v108, vcc_lo, s3, v108, vcc_lo
	s_delay_alu instid0(VALU_DEP_4)
	v_add_co_u32 v109, vcc_lo, s2, v109
	v_add_co_ci_u32_e32 v110, vcc_lo, s3, v110, vcc_lo
	s_clause 0x3
	global_load_b64 v[156:157], v[77:78], off
	global_load_b64 v[114:115], v[79:80], off
	;; [unrolled: 1-line block ×4, first 2 shown]
	s_waitcnt vmcnt(22)
	scratch_store_b128 off, v[118:121], off offset:144
	s_waitcnt vmcnt(20)
	scratch_store_b128 off, v[122:125], off offset:160
	s_clause 0x3
	global_load_b64 v[160:161], v[85:86], off
	global_load_b64 v[118:119], v[87:88], off
	;; [unrolled: 1-line block ×4, first 2 shown]
	v_mov_b32_e32 v111, 0
	v_mov_b32_e32 v112, 0xbff00000
	s_cselect_b32 s3, -1, 0
	s_cmpk_eq_i32 s1, 0x84
	s_waitcnt vmcnt(21)
	scratch_store_b128 off, v[126:129], off offset:176
	s_waitcnt vmcnt(19)
	scratch_store_b128 off, v[130:133], off offset:192
	s_clause 0x3
	global_load_b64 v[124:125], v[93:94], off
	global_load_b64 v[126:127], v[95:96], off
	;; [unrolled: 1-line block ×4, first 2 shown]
	s_waitcnt vmcnt(21)
	scratch_store_b128 off, v[134:137], off offset:208
	s_clause 0x2
	global_load_b64 v[132:133], v[101:102], off
	global_load_b64 v[134:135], v[103:104], off
	;; [unrolled: 1-line block ×3, first 2 shown]
	s_waitcnt vmcnt(22)
	scratch_store_b128 off, v[138:141], off offset:224
	s_clause 0x1
	global_load_b64 v[140:141], v[109:110], off
	global_load_b64 v[138:139], v[107:108], off
	s_waitcnt vmcnt(22)
	scratch_store_b128 off, v[142:145], off offset:240
	s_waitcnt vmcnt(20)
	scratch_store_b128 off, v[146:149], off offset:256
	;; [unrolled: 2-line block ×11, first 2 shown]
	s_waitcnt vmcnt(0)
	s_clause 0x1
	scratch_store_b128 off, v[138:141], off offset:416
	scratch_store_b64 off, v[186:187], off offset:432
	s_cbranch_scc1 .LBB54_3
; %bb.2:
	scratch_load_b64 v[111:112], v113, off
	s_waitcnt vmcnt(0)
	v_div_scale_f64 v[114:115], null, v[111:112], v[111:112], 1.0
	v_div_scale_f64 v[120:121], vcc_lo, 1.0, v[111:112], 1.0
	s_delay_alu instid0(VALU_DEP_2) | instskip(SKIP_2) | instid1(VALU_DEP_1)
	v_rcp_f64_e32 v[116:117], v[114:115]
	s_waitcnt_depctr 0xfff
	v_fma_f64 v[118:119], -v[114:115], v[116:117], 1.0
	v_fma_f64 v[116:117], v[116:117], v[118:119], v[116:117]
	s_delay_alu instid0(VALU_DEP_1) | instskip(NEXT) | instid1(VALU_DEP_1)
	v_fma_f64 v[118:119], -v[114:115], v[116:117], 1.0
	v_fma_f64 v[116:117], v[116:117], v[118:119], v[116:117]
	s_delay_alu instid0(VALU_DEP_1) | instskip(NEXT) | instid1(VALU_DEP_1)
	v_mul_f64 v[118:119], v[120:121], v[116:117]
	v_fma_f64 v[114:115], -v[114:115], v[118:119], v[120:121]
	s_delay_alu instid0(VALU_DEP_1) | instskip(NEXT) | instid1(VALU_DEP_1)
	v_div_fmas_f64 v[114:115], v[114:115], v[116:117], v[118:119]
	v_div_fixup_f64 v[111:112], v[114:115], v[111:112], 1.0
	scratch_store_b64 v113, v[111:112], off
	v_xor_b32_e32 v112, 0x80000000, v112
.LBB54_3:
	v_add_nc_u32_e32 v114, 0x1c0, v113
	v_add_nc_u32_e32 v115, 0, v113
	s_cmpk_eq_i32 s0, 0x79
	s_mov_b32 s0, -1
	ds_store_b64 v113, v[111:112]
	s_cbranch_scc1 .LBB54_539
; %bb.4:
	scratch_load_b64 v[111:112], off, off offset:424
	v_cmp_eq_u32_e64 s0, 54, v0
	s_movk_i32 s1, 0x50
	s_movk_i32 s2, 0x60
	;; [unrolled: 1-line block ×22, first 2 shown]
	s_waitcnt vmcnt(0)
	ds_store_b64 v114, v[111:112]
	s_waitcnt lgkmcnt(0)
	s_waitcnt_vscnt null, 0x0
	s_barrier
	buffer_gl0_inv
	s_and_saveexec_b32 s24, s0
	s_cbranch_execz .LBB54_10
; %bb.5:
	s_and_b32 vcc_lo, exec_lo, s3
	s_cbranch_vccz .LBB54_7
; %bb.6:
	scratch_load_b64 v[111:112], v115, off
	ds_load_b64 v[116:117], v114
	s_waitcnt vmcnt(0) lgkmcnt(0)
	v_mul_f64 v[111:112], v[111:112], v[116:117]
	s_cbranch_execz .LBB54_8
	s_branch .LBB54_9
.LBB54_7:
                                        ; implicit-def: $vgpr111_vgpr112
.LBB54_8:
	ds_load_b64 v[111:112], v114
.LBB54_9:
	v_mov_b32_e32 v116, 0
	ds_load_b64 v[116:117], v116 offset:424
	s_waitcnt lgkmcnt(0)
	v_mul_f64 v[111:112], v[111:112], v[116:117]
	scratch_store_b64 off, v[111:112], off offset:424
.LBB54_10:
	s_or_b32 exec_lo, exec_lo, s24
	scratch_load_b64 v[111:112], off, off offset:416
	v_add_nc_u32_e64 v116, 0, 16
	v_add_nc_u32_e64 v117, 0, 32
	;; [unrolled: 1-line block ×26, first 2 shown]
	v_cmp_lt_u32_e64 s2, 52, v0
	s_waitcnt vmcnt(0)
	ds_store_b64 v114, v[111:112]
	s_waitcnt lgkmcnt(0)
	s_waitcnt_vscnt null, 0x0
	s_barrier
	buffer_gl0_inv
	s_and_saveexec_b32 s1, s2
	s_cbranch_execz .LBB54_18
; %bb.11:
	s_and_not1_b32 vcc_lo, exec_lo, s3
	s_cbranch_vccnz .LBB54_13
; %bb.12:
	scratch_load_b64 v[111:112], v115, off
	ds_load_b64 v[142:143], v114
	s_waitcnt vmcnt(0) lgkmcnt(0)
	v_mul_f64 v[111:112], v[111:112], v[142:143]
	s_cbranch_execz .LBB54_14
	s_branch .LBB54_15
.LBB54_13:
                                        ; implicit-def: $vgpr111_vgpr112
.LBB54_14:
	ds_load_b64 v[111:112], v114
.LBB54_15:
	s_and_saveexec_b32 s4, s0
	s_cbranch_execz .LBB54_17
; %bb.16:
	scratch_load_b64 v[142:143], off, off offset:424
	v_mov_b32_e32 v144, 0
	ds_load_b64 v[144:145], v144 offset:872
	s_waitcnt vmcnt(0) lgkmcnt(0)
	v_fma_f64 v[111:112], v[142:143], v[144:145], v[111:112]
.LBB54_17:
	s_or_b32 exec_lo, exec_lo, s4
	v_mov_b32_e32 v142, 0
	ds_load_b64 v[142:143], v142 offset:416
	s_waitcnt lgkmcnt(0)
	v_mul_f64 v[111:112], v[111:112], v[142:143]
	scratch_store_b64 off, v[111:112], off offset:416
.LBB54_18:
	s_or_b32 exec_lo, exec_lo, s1
	scratch_load_b64 v[111:112], off, off offset:408
	v_cmp_lt_u32_e64 s1, 51, v0
	s_waitcnt vmcnt(0)
	ds_store_b64 v114, v[111:112]
	s_waitcnt lgkmcnt(0)
	s_waitcnt_vscnt null, 0x0
	s_barrier
	buffer_gl0_inv
	s_and_saveexec_b32 s0, s1
	s_cbranch_execz .LBB54_28
; %bb.19:
	s_and_not1_b32 vcc_lo, exec_lo, s3
	s_cbranch_vccnz .LBB54_21
; %bb.20:
	scratch_load_b64 v[111:112], v115, off
	ds_load_b64 v[142:143], v114
	s_waitcnt vmcnt(0) lgkmcnt(0)
	v_mul_f64 v[111:112], v[111:112], v[142:143]
	s_cbranch_execz .LBB54_22
	s_branch .LBB54_23
.LBB54_21:
                                        ; implicit-def: $vgpr111_vgpr112
.LBB54_22:
	ds_load_b64 v[111:112], v114
.LBB54_23:
	s_and_saveexec_b32 s4, s2
	s_cbranch_execz .LBB54_27
; %bb.24:
	v_subrev_nc_u32_e32 v142, 52, v0
	s_movk_i32 s5, 0x360
	s_mov_b32 s2, 0
.LBB54_25:                              ; =>This Inner Loop Header: Depth=1
	scratch_load_b64 v[143:144], v141, off
	v_dual_mov_b32 v145, s5 :: v_dual_add_nc_u32 v142, -1, v142
	v_add_nc_u32_e32 v141, 8, v141
	s_add_i32 s5, s5, 8
	ds_load_b64 v[145:146], v145
	v_cmp_eq_u32_e32 vcc_lo, 0, v142
	s_or_b32 s2, vcc_lo, s2
	s_waitcnt vmcnt(0) lgkmcnt(0)
	v_fma_f64 v[111:112], v[143:144], v[145:146], v[111:112]
	s_and_not1_b32 exec_lo, exec_lo, s2
	s_cbranch_execnz .LBB54_25
; %bb.26:
	s_or_b32 exec_lo, exec_lo, s2
.LBB54_27:
	s_delay_alu instid0(SALU_CYCLE_1)
	s_or_b32 exec_lo, exec_lo, s4
	v_mov_b32_e32 v141, 0
	ds_load_b64 v[141:142], v141 offset:408
	s_waitcnt lgkmcnt(0)
	v_mul_f64 v[111:112], v[111:112], v[141:142]
	scratch_store_b64 off, v[111:112], off offset:408
.LBB54_28:
	s_or_b32 exec_lo, exec_lo, s0
	scratch_load_b64 v[111:112], off, off offset:400
	v_cmp_lt_u32_e64 s0, 50, v0
	s_waitcnt vmcnt(0)
	ds_store_b64 v114, v[111:112]
	s_waitcnt lgkmcnt(0)
	s_waitcnt_vscnt null, 0x0
	s_barrier
	buffer_gl0_inv
	s_and_saveexec_b32 s2, s0
	s_cbranch_execz .LBB54_38
; %bb.29:
	s_and_not1_b32 vcc_lo, exec_lo, s3
	s_cbranch_vccnz .LBB54_31
; %bb.30:
	scratch_load_b64 v[111:112], v115, off
	ds_load_b64 v[141:142], v114
	s_waitcnt vmcnt(0) lgkmcnt(0)
	v_mul_f64 v[111:112], v[111:112], v[141:142]
	s_cbranch_execz .LBB54_32
	s_branch .LBB54_33
.LBB54_31:
                                        ; implicit-def: $vgpr111_vgpr112
.LBB54_32:
	ds_load_b64 v[111:112], v114
.LBB54_33:
	s_and_saveexec_b32 s4, s1
	s_cbranch_execz .LBB54_37
; %bb.34:
	v_mov_b32_e32 v141, 0
	v_subrev_nc_u32_e32 v142, 51, v0
	s_movk_i32 s5, 0x358
	s_mov_b32 s1, 0
	s_delay_alu instid0(VALU_DEP_2)
	v_add_nc_u32_e32 v141, 0x198, v141
.LBB54_35:                              ; =>This Inner Loop Header: Depth=1
	scratch_load_b64 v[143:144], v141, off
	v_dual_mov_b32 v145, s5 :: v_dual_add_nc_u32 v142, -1, v142
	v_add_nc_u32_e32 v141, 8, v141
	s_add_i32 s5, s5, 8
	ds_load_b64 v[145:146], v145
	v_cmp_eq_u32_e32 vcc_lo, 0, v142
	s_or_b32 s1, vcc_lo, s1
	s_waitcnt vmcnt(0) lgkmcnt(0)
	v_fma_f64 v[111:112], v[143:144], v[145:146], v[111:112]
	s_and_not1_b32 exec_lo, exec_lo, s1
	s_cbranch_execnz .LBB54_35
; %bb.36:
	s_or_b32 exec_lo, exec_lo, s1
.LBB54_37:
	s_delay_alu instid0(SALU_CYCLE_1)
	s_or_b32 exec_lo, exec_lo, s4
	v_mov_b32_e32 v141, 0
	ds_load_b64 v[141:142], v141 offset:400
	s_waitcnt lgkmcnt(0)
	v_mul_f64 v[111:112], v[111:112], v[141:142]
	scratch_store_b64 off, v[111:112], off offset:400
.LBB54_38:
	s_or_b32 exec_lo, exec_lo, s2
	scratch_load_b64 v[111:112], off, off offset:392
	v_cmp_lt_u32_e64 s1, 49, v0
	s_waitcnt vmcnt(0)
	ds_store_b64 v114, v[111:112]
	s_waitcnt lgkmcnt(0)
	s_waitcnt_vscnt null, 0x0
	s_barrier
	buffer_gl0_inv
	s_and_saveexec_b32 s2, s1
	s_cbranch_execz .LBB54_48
; %bb.39:
	s_and_not1_b32 vcc_lo, exec_lo, s3
	s_cbranch_vccnz .LBB54_41
; %bb.40:
	scratch_load_b64 v[111:112], v115, off
	ds_load_b64 v[141:142], v114
	s_waitcnt vmcnt(0) lgkmcnt(0)
	v_mul_f64 v[111:112], v[111:112], v[141:142]
	s_cbranch_execz .LBB54_42
	s_branch .LBB54_43
.LBB54_41:
                                        ; implicit-def: $vgpr111_vgpr112
.LBB54_42:
	ds_load_b64 v[111:112], v114
.LBB54_43:
	s_and_saveexec_b32 s4, s0
	s_cbranch_execz .LBB54_47
; %bb.44:
	v_subrev_nc_u32_e32 v141, 50, v0
	s_movk_i32 s5, 0x350
	s_mov_b32 s0, 0
.LBB54_45:                              ; =>This Inner Loop Header: Depth=1
	scratch_load_b64 v[142:143], v140, off
	v_dual_mov_b32 v144, s5 :: v_dual_add_nc_u32 v141, -1, v141
	v_add_nc_u32_e32 v140, 8, v140
	s_add_i32 s5, s5, 8
	ds_load_b64 v[144:145], v144
	v_cmp_eq_u32_e32 vcc_lo, 0, v141
	s_or_b32 s0, vcc_lo, s0
	s_waitcnt vmcnt(0) lgkmcnt(0)
	v_fma_f64 v[111:112], v[142:143], v[144:145], v[111:112]
	s_and_not1_b32 exec_lo, exec_lo, s0
	s_cbranch_execnz .LBB54_45
; %bb.46:
	s_or_b32 exec_lo, exec_lo, s0
.LBB54_47:
	s_delay_alu instid0(SALU_CYCLE_1)
	s_or_b32 exec_lo, exec_lo, s4
	v_mov_b32_e32 v140, 0
	ds_load_b64 v[140:141], v140 offset:392
	s_waitcnt lgkmcnt(0)
	v_mul_f64 v[111:112], v[111:112], v[140:141]
	scratch_store_b64 off, v[111:112], off offset:392
.LBB54_48:
	s_or_b32 exec_lo, exec_lo, s2
	scratch_load_b64 v[111:112], off, off offset:384
	v_cmp_lt_u32_e64 s0, 48, v0
	s_waitcnt vmcnt(0)
	ds_store_b64 v114, v[111:112]
	s_waitcnt lgkmcnt(0)
	s_waitcnt_vscnt null, 0x0
	s_barrier
	buffer_gl0_inv
	s_and_saveexec_b32 s2, s0
	s_cbranch_execz .LBB54_58
; %bb.49:
	s_and_not1_b32 vcc_lo, exec_lo, s3
	s_cbranch_vccnz .LBB54_51
; %bb.50:
	scratch_load_b64 v[111:112], v115, off
	ds_load_b64 v[140:141], v114
	s_waitcnt vmcnt(0) lgkmcnt(0)
	v_mul_f64 v[111:112], v[111:112], v[140:141]
	s_cbranch_execz .LBB54_52
	s_branch .LBB54_53
.LBB54_51:
                                        ; implicit-def: $vgpr111_vgpr112
.LBB54_52:
	ds_load_b64 v[111:112], v114
.LBB54_53:
	s_and_saveexec_b32 s4, s1
	s_cbranch_execz .LBB54_57
; %bb.54:
	v_mov_b32_e32 v140, 0
	v_subrev_nc_u32_e32 v141, 49, v0
	s_movk_i32 s5, 0x348
	s_mov_b32 s1, 0
	s_delay_alu instid0(VALU_DEP_2)
	v_add_nc_u32_e32 v140, 0x188, v140
.LBB54_55:                              ; =>This Inner Loop Header: Depth=1
	scratch_load_b64 v[142:143], v140, off
	v_dual_mov_b32 v144, s5 :: v_dual_add_nc_u32 v141, -1, v141
	v_add_nc_u32_e32 v140, 8, v140
	s_add_i32 s5, s5, 8
	ds_load_b64 v[144:145], v144
	v_cmp_eq_u32_e32 vcc_lo, 0, v141
	s_or_b32 s1, vcc_lo, s1
	s_waitcnt vmcnt(0) lgkmcnt(0)
	v_fma_f64 v[111:112], v[142:143], v[144:145], v[111:112]
	s_and_not1_b32 exec_lo, exec_lo, s1
	s_cbranch_execnz .LBB54_55
; %bb.56:
	s_or_b32 exec_lo, exec_lo, s1
.LBB54_57:
	s_delay_alu instid0(SALU_CYCLE_1)
	s_or_b32 exec_lo, exec_lo, s4
	v_mov_b32_e32 v140, 0
	ds_load_b64 v[140:141], v140 offset:384
	s_waitcnt lgkmcnt(0)
	v_mul_f64 v[111:112], v[111:112], v[140:141]
	scratch_store_b64 off, v[111:112], off offset:384
.LBB54_58:
	s_or_b32 exec_lo, exec_lo, s2
	scratch_load_b64 v[111:112], off, off offset:376
	v_cmp_lt_u32_e64 s1, 47, v0
	s_waitcnt vmcnt(0)
	ds_store_b64 v114, v[111:112]
	s_waitcnt lgkmcnt(0)
	s_waitcnt_vscnt null, 0x0
	s_barrier
	buffer_gl0_inv
	s_and_saveexec_b32 s2, s1
	s_cbranch_execz .LBB54_68
; %bb.59:
	s_and_not1_b32 vcc_lo, exec_lo, s3
	s_cbranch_vccnz .LBB54_61
; %bb.60:
	scratch_load_b64 v[111:112], v115, off
	ds_load_b64 v[140:141], v114
	s_waitcnt vmcnt(0) lgkmcnt(0)
	v_mul_f64 v[111:112], v[111:112], v[140:141]
	s_cbranch_execz .LBB54_62
	s_branch .LBB54_63
.LBB54_61:
                                        ; implicit-def: $vgpr111_vgpr112
.LBB54_62:
	ds_load_b64 v[111:112], v114
.LBB54_63:
	s_and_saveexec_b32 s4, s0
	s_cbranch_execz .LBB54_67
; %bb.64:
	v_subrev_nc_u32_e32 v140, 48, v0
	s_movk_i32 s5, 0x340
	s_mov_b32 s0, 0
.LBB54_65:                              ; =>This Inner Loop Header: Depth=1
	scratch_load_b64 v[141:142], v139, off
	v_dual_mov_b32 v143, s5 :: v_dual_add_nc_u32 v140, -1, v140
	v_add_nc_u32_e32 v139, 8, v139
	s_add_i32 s5, s5, 8
	ds_load_b64 v[143:144], v143
	v_cmp_eq_u32_e32 vcc_lo, 0, v140
	s_or_b32 s0, vcc_lo, s0
	s_waitcnt vmcnt(0) lgkmcnt(0)
	v_fma_f64 v[111:112], v[141:142], v[143:144], v[111:112]
	s_and_not1_b32 exec_lo, exec_lo, s0
	s_cbranch_execnz .LBB54_65
; %bb.66:
	s_or_b32 exec_lo, exec_lo, s0
.LBB54_67:
	s_delay_alu instid0(SALU_CYCLE_1)
	s_or_b32 exec_lo, exec_lo, s4
	v_mov_b32_e32 v139, 0
	ds_load_b64 v[139:140], v139 offset:376
	s_waitcnt lgkmcnt(0)
	v_mul_f64 v[111:112], v[111:112], v[139:140]
	scratch_store_b64 off, v[111:112], off offset:376
.LBB54_68:
	s_or_b32 exec_lo, exec_lo, s2
	scratch_load_b64 v[111:112], off, off offset:368
	v_cmp_lt_u32_e64 s0, 46, v0
	s_waitcnt vmcnt(0)
	ds_store_b64 v114, v[111:112]
	s_waitcnt lgkmcnt(0)
	s_waitcnt_vscnt null, 0x0
	s_barrier
	buffer_gl0_inv
	s_and_saveexec_b32 s2, s0
	s_cbranch_execz .LBB54_78
; %bb.69:
	s_and_not1_b32 vcc_lo, exec_lo, s3
	s_cbranch_vccnz .LBB54_71
; %bb.70:
	scratch_load_b64 v[111:112], v115, off
	ds_load_b64 v[139:140], v114
	s_waitcnt vmcnt(0) lgkmcnt(0)
	v_mul_f64 v[111:112], v[111:112], v[139:140]
	s_cbranch_execz .LBB54_72
	s_branch .LBB54_73
.LBB54_71:
                                        ; implicit-def: $vgpr111_vgpr112
.LBB54_72:
	ds_load_b64 v[111:112], v114
.LBB54_73:
	s_and_saveexec_b32 s4, s1
	s_cbranch_execz .LBB54_77
; %bb.74:
	v_mov_b32_e32 v139, 0
	v_subrev_nc_u32_e32 v140, 47, v0
	s_movk_i32 s5, 0x338
	s_mov_b32 s1, 0
	s_delay_alu instid0(VALU_DEP_2)
	v_add_nc_u32_e32 v139, 0x178, v139
.LBB54_75:                              ; =>This Inner Loop Header: Depth=1
	scratch_load_b64 v[141:142], v139, off
	v_dual_mov_b32 v143, s5 :: v_dual_add_nc_u32 v140, -1, v140
	v_add_nc_u32_e32 v139, 8, v139
	s_add_i32 s5, s5, 8
	ds_load_b64 v[143:144], v143
	v_cmp_eq_u32_e32 vcc_lo, 0, v140
	s_or_b32 s1, vcc_lo, s1
	s_waitcnt vmcnt(0) lgkmcnt(0)
	v_fma_f64 v[111:112], v[141:142], v[143:144], v[111:112]
	s_and_not1_b32 exec_lo, exec_lo, s1
	s_cbranch_execnz .LBB54_75
; %bb.76:
	s_or_b32 exec_lo, exec_lo, s1
.LBB54_77:
	s_delay_alu instid0(SALU_CYCLE_1)
	s_or_b32 exec_lo, exec_lo, s4
	v_mov_b32_e32 v139, 0
	ds_load_b64 v[139:140], v139 offset:368
	s_waitcnt lgkmcnt(0)
	v_mul_f64 v[111:112], v[111:112], v[139:140]
	scratch_store_b64 off, v[111:112], off offset:368
.LBB54_78:
	s_or_b32 exec_lo, exec_lo, s2
	scratch_load_b64 v[111:112], off, off offset:360
	v_cmp_lt_u32_e64 s1, 45, v0
	s_waitcnt vmcnt(0)
	ds_store_b64 v114, v[111:112]
	s_waitcnt lgkmcnt(0)
	s_waitcnt_vscnt null, 0x0
	s_barrier
	buffer_gl0_inv
	s_and_saveexec_b32 s2, s1
	s_cbranch_execz .LBB54_88
; %bb.79:
	s_and_not1_b32 vcc_lo, exec_lo, s3
	s_cbranch_vccnz .LBB54_81
; %bb.80:
	scratch_load_b64 v[111:112], v115, off
	ds_load_b64 v[139:140], v114
	s_waitcnt vmcnt(0) lgkmcnt(0)
	v_mul_f64 v[111:112], v[111:112], v[139:140]
	s_cbranch_execz .LBB54_82
	s_branch .LBB54_83
.LBB54_81:
                                        ; implicit-def: $vgpr111_vgpr112
.LBB54_82:
	ds_load_b64 v[111:112], v114
.LBB54_83:
	s_and_saveexec_b32 s4, s0
	s_cbranch_execz .LBB54_87
; %bb.84:
	v_subrev_nc_u32_e32 v139, 46, v0
	s_movk_i32 s5, 0x330
	s_mov_b32 s0, 0
.LBB54_85:                              ; =>This Inner Loop Header: Depth=1
	scratch_load_b64 v[140:141], v138, off
	v_dual_mov_b32 v142, s5 :: v_dual_add_nc_u32 v139, -1, v139
	v_add_nc_u32_e32 v138, 8, v138
	s_add_i32 s5, s5, 8
	ds_load_b64 v[142:143], v142
	v_cmp_eq_u32_e32 vcc_lo, 0, v139
	s_or_b32 s0, vcc_lo, s0
	s_waitcnt vmcnt(0) lgkmcnt(0)
	v_fma_f64 v[111:112], v[140:141], v[142:143], v[111:112]
	s_and_not1_b32 exec_lo, exec_lo, s0
	s_cbranch_execnz .LBB54_85
; %bb.86:
	s_or_b32 exec_lo, exec_lo, s0
.LBB54_87:
	s_delay_alu instid0(SALU_CYCLE_1)
	s_or_b32 exec_lo, exec_lo, s4
	v_mov_b32_e32 v138, 0
	ds_load_b64 v[138:139], v138 offset:360
	s_waitcnt lgkmcnt(0)
	v_mul_f64 v[111:112], v[111:112], v[138:139]
	scratch_store_b64 off, v[111:112], off offset:360
.LBB54_88:
	s_or_b32 exec_lo, exec_lo, s2
	scratch_load_b64 v[111:112], off, off offset:352
	v_cmp_lt_u32_e64 s0, 44, v0
	s_waitcnt vmcnt(0)
	ds_store_b64 v114, v[111:112]
	s_waitcnt lgkmcnt(0)
	s_waitcnt_vscnt null, 0x0
	s_barrier
	buffer_gl0_inv
	s_and_saveexec_b32 s2, s0
	s_cbranch_execz .LBB54_98
; %bb.89:
	s_and_not1_b32 vcc_lo, exec_lo, s3
	s_cbranch_vccnz .LBB54_91
; %bb.90:
	scratch_load_b64 v[111:112], v115, off
	ds_load_b64 v[138:139], v114
	s_waitcnt vmcnt(0) lgkmcnt(0)
	v_mul_f64 v[111:112], v[111:112], v[138:139]
	s_cbranch_execz .LBB54_92
	s_branch .LBB54_93
.LBB54_91:
                                        ; implicit-def: $vgpr111_vgpr112
.LBB54_92:
	ds_load_b64 v[111:112], v114
.LBB54_93:
	s_and_saveexec_b32 s4, s1
	s_cbranch_execz .LBB54_97
; %bb.94:
	v_mov_b32_e32 v138, 0
	v_subrev_nc_u32_e32 v139, 45, v0
	s_movk_i32 s5, 0x328
	s_mov_b32 s1, 0
	s_delay_alu instid0(VALU_DEP_2)
	v_add_nc_u32_e32 v138, 0x168, v138
.LBB54_95:                              ; =>This Inner Loop Header: Depth=1
	scratch_load_b64 v[140:141], v138, off
	v_dual_mov_b32 v142, s5 :: v_dual_add_nc_u32 v139, -1, v139
	v_add_nc_u32_e32 v138, 8, v138
	s_add_i32 s5, s5, 8
	ds_load_b64 v[142:143], v142
	v_cmp_eq_u32_e32 vcc_lo, 0, v139
	s_or_b32 s1, vcc_lo, s1
	s_waitcnt vmcnt(0) lgkmcnt(0)
	v_fma_f64 v[111:112], v[140:141], v[142:143], v[111:112]
	s_and_not1_b32 exec_lo, exec_lo, s1
	s_cbranch_execnz .LBB54_95
; %bb.96:
	s_or_b32 exec_lo, exec_lo, s1
.LBB54_97:
	s_delay_alu instid0(SALU_CYCLE_1)
	s_or_b32 exec_lo, exec_lo, s4
	v_mov_b32_e32 v138, 0
	ds_load_b64 v[138:139], v138 offset:352
	s_waitcnt lgkmcnt(0)
	v_mul_f64 v[111:112], v[111:112], v[138:139]
	scratch_store_b64 off, v[111:112], off offset:352
.LBB54_98:
	s_or_b32 exec_lo, exec_lo, s2
	scratch_load_b64 v[111:112], off, off offset:344
	v_cmp_lt_u32_e64 s1, 43, v0
	s_waitcnt vmcnt(0)
	ds_store_b64 v114, v[111:112]
	s_waitcnt lgkmcnt(0)
	s_waitcnt_vscnt null, 0x0
	s_barrier
	buffer_gl0_inv
	s_and_saveexec_b32 s2, s1
	s_cbranch_execz .LBB54_108
; %bb.99:
	s_and_not1_b32 vcc_lo, exec_lo, s3
	s_cbranch_vccnz .LBB54_101
; %bb.100:
	scratch_load_b64 v[111:112], v115, off
	ds_load_b64 v[138:139], v114
	s_waitcnt vmcnt(0) lgkmcnt(0)
	v_mul_f64 v[111:112], v[111:112], v[138:139]
	s_cbranch_execz .LBB54_102
	s_branch .LBB54_103
.LBB54_101:
                                        ; implicit-def: $vgpr111_vgpr112
.LBB54_102:
	ds_load_b64 v[111:112], v114
.LBB54_103:
	s_and_saveexec_b32 s4, s0
	s_cbranch_execz .LBB54_107
; %bb.104:
	v_subrev_nc_u32_e32 v138, 44, v0
	s_movk_i32 s5, 0x320
	s_mov_b32 s0, 0
.LBB54_105:                             ; =>This Inner Loop Header: Depth=1
	scratch_load_b64 v[139:140], v137, off
	v_dual_mov_b32 v141, s5 :: v_dual_add_nc_u32 v138, -1, v138
	v_add_nc_u32_e32 v137, 8, v137
	s_add_i32 s5, s5, 8
	ds_load_b64 v[141:142], v141
	v_cmp_eq_u32_e32 vcc_lo, 0, v138
	s_or_b32 s0, vcc_lo, s0
	s_waitcnt vmcnt(0) lgkmcnt(0)
	v_fma_f64 v[111:112], v[139:140], v[141:142], v[111:112]
	s_and_not1_b32 exec_lo, exec_lo, s0
	s_cbranch_execnz .LBB54_105
; %bb.106:
	s_or_b32 exec_lo, exec_lo, s0
.LBB54_107:
	s_delay_alu instid0(SALU_CYCLE_1)
	s_or_b32 exec_lo, exec_lo, s4
	v_mov_b32_e32 v137, 0
	ds_load_b64 v[137:138], v137 offset:344
	s_waitcnt lgkmcnt(0)
	v_mul_f64 v[111:112], v[111:112], v[137:138]
	scratch_store_b64 off, v[111:112], off offset:344
.LBB54_108:
	s_or_b32 exec_lo, exec_lo, s2
	scratch_load_b64 v[111:112], off, off offset:336
	v_cmp_lt_u32_e64 s0, 42, v0
	s_waitcnt vmcnt(0)
	ds_store_b64 v114, v[111:112]
	s_waitcnt lgkmcnt(0)
	s_waitcnt_vscnt null, 0x0
	s_barrier
	buffer_gl0_inv
	s_and_saveexec_b32 s2, s0
	s_cbranch_execz .LBB54_118
; %bb.109:
	s_and_not1_b32 vcc_lo, exec_lo, s3
	s_cbranch_vccnz .LBB54_111
; %bb.110:
	scratch_load_b64 v[111:112], v115, off
	ds_load_b64 v[137:138], v114
	s_waitcnt vmcnt(0) lgkmcnt(0)
	v_mul_f64 v[111:112], v[111:112], v[137:138]
	s_cbranch_execz .LBB54_112
	s_branch .LBB54_113
.LBB54_111:
                                        ; implicit-def: $vgpr111_vgpr112
.LBB54_112:
	ds_load_b64 v[111:112], v114
.LBB54_113:
	s_and_saveexec_b32 s4, s1
	s_cbranch_execz .LBB54_117
; %bb.114:
	v_mov_b32_e32 v137, 0
	v_subrev_nc_u32_e32 v138, 43, v0
	s_movk_i32 s5, 0x318
	s_mov_b32 s1, 0
	s_delay_alu instid0(VALU_DEP_2)
	v_add_nc_u32_e32 v137, 0x158, v137
.LBB54_115:                             ; =>This Inner Loop Header: Depth=1
	scratch_load_b64 v[139:140], v137, off
	v_dual_mov_b32 v141, s5 :: v_dual_add_nc_u32 v138, -1, v138
	v_add_nc_u32_e32 v137, 8, v137
	s_add_i32 s5, s5, 8
	ds_load_b64 v[141:142], v141
	v_cmp_eq_u32_e32 vcc_lo, 0, v138
	s_or_b32 s1, vcc_lo, s1
	s_waitcnt vmcnt(0) lgkmcnt(0)
	v_fma_f64 v[111:112], v[139:140], v[141:142], v[111:112]
	s_and_not1_b32 exec_lo, exec_lo, s1
	s_cbranch_execnz .LBB54_115
; %bb.116:
	s_or_b32 exec_lo, exec_lo, s1
.LBB54_117:
	s_delay_alu instid0(SALU_CYCLE_1)
	s_or_b32 exec_lo, exec_lo, s4
	v_mov_b32_e32 v137, 0
	ds_load_b64 v[137:138], v137 offset:336
	s_waitcnt lgkmcnt(0)
	v_mul_f64 v[111:112], v[111:112], v[137:138]
	scratch_store_b64 off, v[111:112], off offset:336
.LBB54_118:
	s_or_b32 exec_lo, exec_lo, s2
	scratch_load_b64 v[111:112], off, off offset:328
	v_cmp_lt_u32_e64 s1, 41, v0
	s_waitcnt vmcnt(0)
	ds_store_b64 v114, v[111:112]
	s_waitcnt lgkmcnt(0)
	s_waitcnt_vscnt null, 0x0
	s_barrier
	buffer_gl0_inv
	s_and_saveexec_b32 s2, s1
	s_cbranch_execz .LBB54_128
; %bb.119:
	s_and_not1_b32 vcc_lo, exec_lo, s3
	s_cbranch_vccnz .LBB54_121
; %bb.120:
	scratch_load_b64 v[111:112], v115, off
	ds_load_b64 v[137:138], v114
	s_waitcnt vmcnt(0) lgkmcnt(0)
	v_mul_f64 v[111:112], v[111:112], v[137:138]
	s_cbranch_execz .LBB54_122
	s_branch .LBB54_123
.LBB54_121:
                                        ; implicit-def: $vgpr111_vgpr112
.LBB54_122:
	ds_load_b64 v[111:112], v114
.LBB54_123:
	s_and_saveexec_b32 s4, s0
	s_cbranch_execz .LBB54_127
; %bb.124:
	v_subrev_nc_u32_e32 v137, 42, v0
	s_movk_i32 s5, 0x310
	s_mov_b32 s0, 0
.LBB54_125:                             ; =>This Inner Loop Header: Depth=1
	scratch_load_b64 v[138:139], v136, off
	v_dual_mov_b32 v140, s5 :: v_dual_add_nc_u32 v137, -1, v137
	v_add_nc_u32_e32 v136, 8, v136
	s_add_i32 s5, s5, 8
	ds_load_b64 v[140:141], v140
	v_cmp_eq_u32_e32 vcc_lo, 0, v137
	s_or_b32 s0, vcc_lo, s0
	s_waitcnt vmcnt(0) lgkmcnt(0)
	v_fma_f64 v[111:112], v[138:139], v[140:141], v[111:112]
	s_and_not1_b32 exec_lo, exec_lo, s0
	s_cbranch_execnz .LBB54_125
; %bb.126:
	s_or_b32 exec_lo, exec_lo, s0
.LBB54_127:
	s_delay_alu instid0(SALU_CYCLE_1)
	s_or_b32 exec_lo, exec_lo, s4
	v_mov_b32_e32 v136, 0
	ds_load_b64 v[136:137], v136 offset:328
	s_waitcnt lgkmcnt(0)
	v_mul_f64 v[111:112], v[111:112], v[136:137]
	scratch_store_b64 off, v[111:112], off offset:328
.LBB54_128:
	s_or_b32 exec_lo, exec_lo, s2
	scratch_load_b64 v[111:112], off, off offset:320
	v_cmp_lt_u32_e64 s0, 40, v0
	s_waitcnt vmcnt(0)
	ds_store_b64 v114, v[111:112]
	s_waitcnt lgkmcnt(0)
	s_waitcnt_vscnt null, 0x0
	s_barrier
	buffer_gl0_inv
	s_and_saveexec_b32 s2, s0
	s_cbranch_execz .LBB54_138
; %bb.129:
	s_and_not1_b32 vcc_lo, exec_lo, s3
	s_cbranch_vccnz .LBB54_131
; %bb.130:
	scratch_load_b64 v[111:112], v115, off
	ds_load_b64 v[136:137], v114
	s_waitcnt vmcnt(0) lgkmcnt(0)
	v_mul_f64 v[111:112], v[111:112], v[136:137]
	s_cbranch_execz .LBB54_132
	s_branch .LBB54_133
.LBB54_131:
                                        ; implicit-def: $vgpr111_vgpr112
.LBB54_132:
	ds_load_b64 v[111:112], v114
.LBB54_133:
	s_and_saveexec_b32 s4, s1
	s_cbranch_execz .LBB54_137
; %bb.134:
	v_mov_b32_e32 v136, 0
	v_subrev_nc_u32_e32 v137, 41, v0
	s_movk_i32 s5, 0x308
	s_mov_b32 s1, 0
	s_delay_alu instid0(VALU_DEP_2)
	v_add_nc_u32_e32 v136, 0x148, v136
.LBB54_135:                             ; =>This Inner Loop Header: Depth=1
	scratch_load_b64 v[138:139], v136, off
	v_dual_mov_b32 v140, s5 :: v_dual_add_nc_u32 v137, -1, v137
	v_add_nc_u32_e32 v136, 8, v136
	s_add_i32 s5, s5, 8
	ds_load_b64 v[140:141], v140
	v_cmp_eq_u32_e32 vcc_lo, 0, v137
	s_or_b32 s1, vcc_lo, s1
	s_waitcnt vmcnt(0) lgkmcnt(0)
	v_fma_f64 v[111:112], v[138:139], v[140:141], v[111:112]
	s_and_not1_b32 exec_lo, exec_lo, s1
	s_cbranch_execnz .LBB54_135
; %bb.136:
	s_or_b32 exec_lo, exec_lo, s1
.LBB54_137:
	s_delay_alu instid0(SALU_CYCLE_1)
	s_or_b32 exec_lo, exec_lo, s4
	v_mov_b32_e32 v136, 0
	ds_load_b64 v[136:137], v136 offset:320
	s_waitcnt lgkmcnt(0)
	v_mul_f64 v[111:112], v[111:112], v[136:137]
	scratch_store_b64 off, v[111:112], off offset:320
.LBB54_138:
	s_or_b32 exec_lo, exec_lo, s2
	scratch_load_b64 v[111:112], off, off offset:312
	v_cmp_lt_u32_e64 s1, 39, v0
	s_waitcnt vmcnt(0)
	ds_store_b64 v114, v[111:112]
	s_waitcnt lgkmcnt(0)
	s_waitcnt_vscnt null, 0x0
	s_barrier
	buffer_gl0_inv
	s_and_saveexec_b32 s2, s1
	s_cbranch_execz .LBB54_148
; %bb.139:
	s_and_not1_b32 vcc_lo, exec_lo, s3
	s_cbranch_vccnz .LBB54_141
; %bb.140:
	scratch_load_b64 v[111:112], v115, off
	ds_load_b64 v[136:137], v114
	s_waitcnt vmcnt(0) lgkmcnt(0)
	v_mul_f64 v[111:112], v[111:112], v[136:137]
	s_cbranch_execz .LBB54_142
	s_branch .LBB54_143
.LBB54_141:
                                        ; implicit-def: $vgpr111_vgpr112
.LBB54_142:
	ds_load_b64 v[111:112], v114
.LBB54_143:
	s_and_saveexec_b32 s4, s0
	s_cbranch_execz .LBB54_147
; %bb.144:
	v_subrev_nc_u32_e32 v136, 40, v0
	s_movk_i32 s5, 0x300
	s_mov_b32 s0, 0
.LBB54_145:                             ; =>This Inner Loop Header: Depth=1
	scratch_load_b64 v[137:138], v135, off
	v_dual_mov_b32 v139, s5 :: v_dual_add_nc_u32 v136, -1, v136
	v_add_nc_u32_e32 v135, 8, v135
	s_add_i32 s5, s5, 8
	ds_load_b64 v[139:140], v139
	v_cmp_eq_u32_e32 vcc_lo, 0, v136
	s_or_b32 s0, vcc_lo, s0
	s_waitcnt vmcnt(0) lgkmcnt(0)
	v_fma_f64 v[111:112], v[137:138], v[139:140], v[111:112]
	s_and_not1_b32 exec_lo, exec_lo, s0
	s_cbranch_execnz .LBB54_145
; %bb.146:
	s_or_b32 exec_lo, exec_lo, s0
.LBB54_147:
	s_delay_alu instid0(SALU_CYCLE_1)
	s_or_b32 exec_lo, exec_lo, s4
	v_mov_b32_e32 v135, 0
	ds_load_b64 v[135:136], v135 offset:312
	s_waitcnt lgkmcnt(0)
	v_mul_f64 v[111:112], v[111:112], v[135:136]
	scratch_store_b64 off, v[111:112], off offset:312
.LBB54_148:
	s_or_b32 exec_lo, exec_lo, s2
	scratch_load_b64 v[111:112], off, off offset:304
	v_cmp_lt_u32_e64 s0, 38, v0
	s_waitcnt vmcnt(0)
	ds_store_b64 v114, v[111:112]
	s_waitcnt lgkmcnt(0)
	s_waitcnt_vscnt null, 0x0
	s_barrier
	buffer_gl0_inv
	s_and_saveexec_b32 s2, s0
	s_cbranch_execz .LBB54_158
; %bb.149:
	s_and_not1_b32 vcc_lo, exec_lo, s3
	s_cbranch_vccnz .LBB54_151
; %bb.150:
	scratch_load_b64 v[111:112], v115, off
	ds_load_b64 v[135:136], v114
	s_waitcnt vmcnt(0) lgkmcnt(0)
	v_mul_f64 v[111:112], v[111:112], v[135:136]
	s_cbranch_execz .LBB54_152
	s_branch .LBB54_153
.LBB54_151:
                                        ; implicit-def: $vgpr111_vgpr112
.LBB54_152:
	ds_load_b64 v[111:112], v114
.LBB54_153:
	s_and_saveexec_b32 s4, s1
	s_cbranch_execz .LBB54_157
; %bb.154:
	v_mov_b32_e32 v135, 0
	v_subrev_nc_u32_e32 v136, 39, v0
	s_movk_i32 s5, 0x2f8
	s_mov_b32 s1, 0
	s_delay_alu instid0(VALU_DEP_2)
	v_add_nc_u32_e32 v135, 0x138, v135
.LBB54_155:                             ; =>This Inner Loop Header: Depth=1
	scratch_load_b64 v[137:138], v135, off
	v_dual_mov_b32 v139, s5 :: v_dual_add_nc_u32 v136, -1, v136
	v_add_nc_u32_e32 v135, 8, v135
	s_add_i32 s5, s5, 8
	ds_load_b64 v[139:140], v139
	v_cmp_eq_u32_e32 vcc_lo, 0, v136
	s_or_b32 s1, vcc_lo, s1
	s_waitcnt vmcnt(0) lgkmcnt(0)
	v_fma_f64 v[111:112], v[137:138], v[139:140], v[111:112]
	s_and_not1_b32 exec_lo, exec_lo, s1
	s_cbranch_execnz .LBB54_155
; %bb.156:
	s_or_b32 exec_lo, exec_lo, s1
.LBB54_157:
	s_delay_alu instid0(SALU_CYCLE_1)
	s_or_b32 exec_lo, exec_lo, s4
	v_mov_b32_e32 v135, 0
	ds_load_b64 v[135:136], v135 offset:304
	s_waitcnt lgkmcnt(0)
	v_mul_f64 v[111:112], v[111:112], v[135:136]
	scratch_store_b64 off, v[111:112], off offset:304
.LBB54_158:
	s_or_b32 exec_lo, exec_lo, s2
	scratch_load_b64 v[111:112], off, off offset:296
	v_cmp_lt_u32_e64 s1, 37, v0
	s_waitcnt vmcnt(0)
	ds_store_b64 v114, v[111:112]
	s_waitcnt lgkmcnt(0)
	s_waitcnt_vscnt null, 0x0
	s_barrier
	buffer_gl0_inv
	s_and_saveexec_b32 s2, s1
	s_cbranch_execz .LBB54_168
; %bb.159:
	s_and_not1_b32 vcc_lo, exec_lo, s3
	s_cbranch_vccnz .LBB54_161
; %bb.160:
	scratch_load_b64 v[111:112], v115, off
	ds_load_b64 v[135:136], v114
	s_waitcnt vmcnt(0) lgkmcnt(0)
	v_mul_f64 v[111:112], v[111:112], v[135:136]
	s_cbranch_execz .LBB54_162
	s_branch .LBB54_163
.LBB54_161:
                                        ; implicit-def: $vgpr111_vgpr112
.LBB54_162:
	ds_load_b64 v[111:112], v114
.LBB54_163:
	s_and_saveexec_b32 s4, s0
	s_cbranch_execz .LBB54_167
; %bb.164:
	v_subrev_nc_u32_e32 v135, 38, v0
	s_movk_i32 s5, 0x2f0
	s_mov_b32 s0, 0
.LBB54_165:                             ; =>This Inner Loop Header: Depth=1
	scratch_load_b64 v[136:137], v134, off
	v_dual_mov_b32 v138, s5 :: v_dual_add_nc_u32 v135, -1, v135
	v_add_nc_u32_e32 v134, 8, v134
	s_add_i32 s5, s5, 8
	ds_load_b64 v[138:139], v138
	v_cmp_eq_u32_e32 vcc_lo, 0, v135
	s_or_b32 s0, vcc_lo, s0
	s_waitcnt vmcnt(0) lgkmcnt(0)
	v_fma_f64 v[111:112], v[136:137], v[138:139], v[111:112]
	s_and_not1_b32 exec_lo, exec_lo, s0
	s_cbranch_execnz .LBB54_165
; %bb.166:
	s_or_b32 exec_lo, exec_lo, s0
.LBB54_167:
	s_delay_alu instid0(SALU_CYCLE_1)
	s_or_b32 exec_lo, exec_lo, s4
	v_mov_b32_e32 v134, 0
	ds_load_b64 v[134:135], v134 offset:296
	s_waitcnt lgkmcnt(0)
	v_mul_f64 v[111:112], v[111:112], v[134:135]
	scratch_store_b64 off, v[111:112], off offset:296
.LBB54_168:
	s_or_b32 exec_lo, exec_lo, s2
	scratch_load_b64 v[111:112], off, off offset:288
	v_cmp_lt_u32_e64 s0, 36, v0
	s_waitcnt vmcnt(0)
	ds_store_b64 v114, v[111:112]
	s_waitcnt lgkmcnt(0)
	s_waitcnt_vscnt null, 0x0
	s_barrier
	buffer_gl0_inv
	s_and_saveexec_b32 s2, s0
	s_cbranch_execz .LBB54_178
; %bb.169:
	s_and_not1_b32 vcc_lo, exec_lo, s3
	s_cbranch_vccnz .LBB54_171
; %bb.170:
	scratch_load_b64 v[111:112], v115, off
	ds_load_b64 v[134:135], v114
	s_waitcnt vmcnt(0) lgkmcnt(0)
	v_mul_f64 v[111:112], v[111:112], v[134:135]
	s_cbranch_execz .LBB54_172
	s_branch .LBB54_173
.LBB54_171:
                                        ; implicit-def: $vgpr111_vgpr112
.LBB54_172:
	ds_load_b64 v[111:112], v114
.LBB54_173:
	s_and_saveexec_b32 s4, s1
	s_cbranch_execz .LBB54_177
; %bb.174:
	v_mov_b32_e32 v134, 0
	v_subrev_nc_u32_e32 v135, 37, v0
	s_movk_i32 s5, 0x2e8
	s_mov_b32 s1, 0
	s_delay_alu instid0(VALU_DEP_2)
	v_add_nc_u32_e32 v134, 0x128, v134
.LBB54_175:                             ; =>This Inner Loop Header: Depth=1
	scratch_load_b64 v[136:137], v134, off
	v_dual_mov_b32 v138, s5 :: v_dual_add_nc_u32 v135, -1, v135
	v_add_nc_u32_e32 v134, 8, v134
	s_add_i32 s5, s5, 8
	ds_load_b64 v[138:139], v138
	v_cmp_eq_u32_e32 vcc_lo, 0, v135
	s_or_b32 s1, vcc_lo, s1
	s_waitcnt vmcnt(0) lgkmcnt(0)
	v_fma_f64 v[111:112], v[136:137], v[138:139], v[111:112]
	s_and_not1_b32 exec_lo, exec_lo, s1
	s_cbranch_execnz .LBB54_175
; %bb.176:
	s_or_b32 exec_lo, exec_lo, s1
.LBB54_177:
	s_delay_alu instid0(SALU_CYCLE_1)
	s_or_b32 exec_lo, exec_lo, s4
	v_mov_b32_e32 v134, 0
	ds_load_b64 v[134:135], v134 offset:288
	s_waitcnt lgkmcnt(0)
	v_mul_f64 v[111:112], v[111:112], v[134:135]
	scratch_store_b64 off, v[111:112], off offset:288
.LBB54_178:
	s_or_b32 exec_lo, exec_lo, s2
	scratch_load_b64 v[111:112], off, off offset:280
	v_cmp_lt_u32_e64 s1, 35, v0
	s_waitcnt vmcnt(0)
	ds_store_b64 v114, v[111:112]
	s_waitcnt lgkmcnt(0)
	s_waitcnt_vscnt null, 0x0
	s_barrier
	buffer_gl0_inv
	s_and_saveexec_b32 s2, s1
	s_cbranch_execz .LBB54_188
; %bb.179:
	s_and_not1_b32 vcc_lo, exec_lo, s3
	s_cbranch_vccnz .LBB54_181
; %bb.180:
	scratch_load_b64 v[111:112], v115, off
	ds_load_b64 v[134:135], v114
	s_waitcnt vmcnt(0) lgkmcnt(0)
	v_mul_f64 v[111:112], v[111:112], v[134:135]
	s_cbranch_execz .LBB54_182
	s_branch .LBB54_183
.LBB54_181:
                                        ; implicit-def: $vgpr111_vgpr112
.LBB54_182:
	ds_load_b64 v[111:112], v114
.LBB54_183:
	s_and_saveexec_b32 s4, s0
	s_cbranch_execz .LBB54_187
; %bb.184:
	v_subrev_nc_u32_e32 v134, 36, v0
	s_movk_i32 s5, 0x2e0
	s_mov_b32 s0, 0
.LBB54_185:                             ; =>This Inner Loop Header: Depth=1
	scratch_load_b64 v[135:136], v133, off
	v_dual_mov_b32 v137, s5 :: v_dual_add_nc_u32 v134, -1, v134
	v_add_nc_u32_e32 v133, 8, v133
	s_add_i32 s5, s5, 8
	ds_load_b64 v[137:138], v137
	v_cmp_eq_u32_e32 vcc_lo, 0, v134
	s_or_b32 s0, vcc_lo, s0
	s_waitcnt vmcnt(0) lgkmcnt(0)
	v_fma_f64 v[111:112], v[135:136], v[137:138], v[111:112]
	s_and_not1_b32 exec_lo, exec_lo, s0
	s_cbranch_execnz .LBB54_185
; %bb.186:
	s_or_b32 exec_lo, exec_lo, s0
.LBB54_187:
	s_delay_alu instid0(SALU_CYCLE_1)
	s_or_b32 exec_lo, exec_lo, s4
	v_mov_b32_e32 v133, 0
	ds_load_b64 v[133:134], v133 offset:280
	s_waitcnt lgkmcnt(0)
	v_mul_f64 v[111:112], v[111:112], v[133:134]
	scratch_store_b64 off, v[111:112], off offset:280
.LBB54_188:
	s_or_b32 exec_lo, exec_lo, s2
	scratch_load_b64 v[111:112], off, off offset:272
	v_cmp_lt_u32_e64 s0, 34, v0
	s_waitcnt vmcnt(0)
	ds_store_b64 v114, v[111:112]
	s_waitcnt lgkmcnt(0)
	s_waitcnt_vscnt null, 0x0
	s_barrier
	buffer_gl0_inv
	s_and_saveexec_b32 s2, s0
	s_cbranch_execz .LBB54_198
; %bb.189:
	s_and_not1_b32 vcc_lo, exec_lo, s3
	s_cbranch_vccnz .LBB54_191
; %bb.190:
	scratch_load_b64 v[111:112], v115, off
	ds_load_b64 v[133:134], v114
	s_waitcnt vmcnt(0) lgkmcnt(0)
	v_mul_f64 v[111:112], v[111:112], v[133:134]
	s_cbranch_execz .LBB54_192
	s_branch .LBB54_193
.LBB54_191:
                                        ; implicit-def: $vgpr111_vgpr112
.LBB54_192:
	ds_load_b64 v[111:112], v114
.LBB54_193:
	s_and_saveexec_b32 s4, s1
	s_cbranch_execz .LBB54_197
; %bb.194:
	v_mov_b32_e32 v133, 0
	v_subrev_nc_u32_e32 v134, 35, v0
	s_movk_i32 s5, 0x2d8
	s_mov_b32 s1, 0
	s_delay_alu instid0(VALU_DEP_2)
	v_add_nc_u32_e32 v133, 0x118, v133
.LBB54_195:                             ; =>This Inner Loop Header: Depth=1
	scratch_load_b64 v[135:136], v133, off
	v_dual_mov_b32 v137, s5 :: v_dual_add_nc_u32 v134, -1, v134
	v_add_nc_u32_e32 v133, 8, v133
	s_add_i32 s5, s5, 8
	ds_load_b64 v[137:138], v137
	v_cmp_eq_u32_e32 vcc_lo, 0, v134
	s_or_b32 s1, vcc_lo, s1
	s_waitcnt vmcnt(0) lgkmcnt(0)
	v_fma_f64 v[111:112], v[135:136], v[137:138], v[111:112]
	s_and_not1_b32 exec_lo, exec_lo, s1
	s_cbranch_execnz .LBB54_195
; %bb.196:
	s_or_b32 exec_lo, exec_lo, s1
.LBB54_197:
	s_delay_alu instid0(SALU_CYCLE_1)
	s_or_b32 exec_lo, exec_lo, s4
	v_mov_b32_e32 v133, 0
	ds_load_b64 v[133:134], v133 offset:272
	s_waitcnt lgkmcnt(0)
	v_mul_f64 v[111:112], v[111:112], v[133:134]
	scratch_store_b64 off, v[111:112], off offset:272
.LBB54_198:
	s_or_b32 exec_lo, exec_lo, s2
	scratch_load_b64 v[111:112], off, off offset:264
	v_cmp_lt_u32_e64 s1, 33, v0
	s_waitcnt vmcnt(0)
	ds_store_b64 v114, v[111:112]
	s_waitcnt lgkmcnt(0)
	s_waitcnt_vscnt null, 0x0
	s_barrier
	buffer_gl0_inv
	s_and_saveexec_b32 s2, s1
	s_cbranch_execz .LBB54_208
; %bb.199:
	s_and_not1_b32 vcc_lo, exec_lo, s3
	s_cbranch_vccnz .LBB54_201
; %bb.200:
	scratch_load_b64 v[111:112], v115, off
	ds_load_b64 v[133:134], v114
	s_waitcnt vmcnt(0) lgkmcnt(0)
	v_mul_f64 v[111:112], v[111:112], v[133:134]
	s_cbranch_execz .LBB54_202
	s_branch .LBB54_203
.LBB54_201:
                                        ; implicit-def: $vgpr111_vgpr112
.LBB54_202:
	ds_load_b64 v[111:112], v114
.LBB54_203:
	s_and_saveexec_b32 s4, s0
	s_cbranch_execz .LBB54_207
; %bb.204:
	v_subrev_nc_u32_e32 v133, 34, v0
	s_movk_i32 s5, 0x2d0
	s_mov_b32 s0, 0
.LBB54_205:                             ; =>This Inner Loop Header: Depth=1
	scratch_load_b64 v[134:135], v132, off
	v_dual_mov_b32 v136, s5 :: v_dual_add_nc_u32 v133, -1, v133
	v_add_nc_u32_e32 v132, 8, v132
	s_add_i32 s5, s5, 8
	ds_load_b64 v[136:137], v136
	v_cmp_eq_u32_e32 vcc_lo, 0, v133
	s_or_b32 s0, vcc_lo, s0
	s_waitcnt vmcnt(0) lgkmcnt(0)
	v_fma_f64 v[111:112], v[134:135], v[136:137], v[111:112]
	s_and_not1_b32 exec_lo, exec_lo, s0
	s_cbranch_execnz .LBB54_205
; %bb.206:
	s_or_b32 exec_lo, exec_lo, s0
.LBB54_207:
	s_delay_alu instid0(SALU_CYCLE_1)
	s_or_b32 exec_lo, exec_lo, s4
	v_mov_b32_e32 v132, 0
	ds_load_b64 v[132:133], v132 offset:264
	s_waitcnt lgkmcnt(0)
	v_mul_f64 v[111:112], v[111:112], v[132:133]
	scratch_store_b64 off, v[111:112], off offset:264
.LBB54_208:
	s_or_b32 exec_lo, exec_lo, s2
	scratch_load_b64 v[111:112], off, off offset:256
	v_cmp_lt_u32_e64 s0, 32, v0
	s_waitcnt vmcnt(0)
	ds_store_b64 v114, v[111:112]
	s_waitcnt lgkmcnt(0)
	s_waitcnt_vscnt null, 0x0
	s_barrier
	buffer_gl0_inv
	s_and_saveexec_b32 s2, s0
	s_cbranch_execz .LBB54_218
; %bb.209:
	s_and_not1_b32 vcc_lo, exec_lo, s3
	s_cbranch_vccnz .LBB54_211
; %bb.210:
	scratch_load_b64 v[111:112], v115, off
	ds_load_b64 v[132:133], v114
	s_waitcnt vmcnt(0) lgkmcnt(0)
	v_mul_f64 v[111:112], v[111:112], v[132:133]
	s_cbranch_execz .LBB54_212
	s_branch .LBB54_213
.LBB54_211:
                                        ; implicit-def: $vgpr111_vgpr112
.LBB54_212:
	ds_load_b64 v[111:112], v114
.LBB54_213:
	s_and_saveexec_b32 s4, s1
	s_cbranch_execz .LBB54_217
; %bb.214:
	v_mov_b32_e32 v132, 0
	v_subrev_nc_u32_e32 v133, 33, v0
	s_movk_i32 s5, 0x2c8
	s_mov_b32 s1, 0
	s_delay_alu instid0(VALU_DEP_2)
	v_add_nc_u32_e32 v132, 0x108, v132
.LBB54_215:                             ; =>This Inner Loop Header: Depth=1
	scratch_load_b64 v[134:135], v132, off
	v_dual_mov_b32 v136, s5 :: v_dual_add_nc_u32 v133, -1, v133
	v_add_nc_u32_e32 v132, 8, v132
	s_add_i32 s5, s5, 8
	ds_load_b64 v[136:137], v136
	v_cmp_eq_u32_e32 vcc_lo, 0, v133
	s_or_b32 s1, vcc_lo, s1
	s_waitcnt vmcnt(0) lgkmcnt(0)
	v_fma_f64 v[111:112], v[134:135], v[136:137], v[111:112]
	s_and_not1_b32 exec_lo, exec_lo, s1
	s_cbranch_execnz .LBB54_215
; %bb.216:
	s_or_b32 exec_lo, exec_lo, s1
.LBB54_217:
	s_delay_alu instid0(SALU_CYCLE_1)
	s_or_b32 exec_lo, exec_lo, s4
	v_mov_b32_e32 v132, 0
	ds_load_b64 v[132:133], v132 offset:256
	s_waitcnt lgkmcnt(0)
	v_mul_f64 v[111:112], v[111:112], v[132:133]
	scratch_store_b64 off, v[111:112], off offset:256
.LBB54_218:
	s_or_b32 exec_lo, exec_lo, s2
	scratch_load_b64 v[111:112], off, off offset:248
	v_cmp_lt_u32_e64 s1, 31, v0
	s_waitcnt vmcnt(0)
	ds_store_b64 v114, v[111:112]
	s_waitcnt lgkmcnt(0)
	s_waitcnt_vscnt null, 0x0
	s_barrier
	buffer_gl0_inv
	s_and_saveexec_b32 s2, s1
	s_cbranch_execz .LBB54_228
; %bb.219:
	s_and_not1_b32 vcc_lo, exec_lo, s3
	s_cbranch_vccnz .LBB54_221
; %bb.220:
	scratch_load_b64 v[111:112], v115, off
	ds_load_b64 v[132:133], v114
	s_waitcnt vmcnt(0) lgkmcnt(0)
	v_mul_f64 v[111:112], v[111:112], v[132:133]
	s_cbranch_execz .LBB54_222
	s_branch .LBB54_223
.LBB54_221:
                                        ; implicit-def: $vgpr111_vgpr112
.LBB54_222:
	ds_load_b64 v[111:112], v114
.LBB54_223:
	s_and_saveexec_b32 s4, s0
	s_cbranch_execz .LBB54_227
; %bb.224:
	v_subrev_nc_u32_e32 v132, 32, v0
	s_movk_i32 s5, 0x2c0
	s_mov_b32 s0, 0
.LBB54_225:                             ; =>This Inner Loop Header: Depth=1
	scratch_load_b64 v[133:134], v131, off
	v_dual_mov_b32 v135, s5 :: v_dual_add_nc_u32 v132, -1, v132
	v_add_nc_u32_e32 v131, 8, v131
	s_add_i32 s5, s5, 8
	ds_load_b64 v[135:136], v135
	v_cmp_eq_u32_e32 vcc_lo, 0, v132
	s_or_b32 s0, vcc_lo, s0
	s_waitcnt vmcnt(0) lgkmcnt(0)
	v_fma_f64 v[111:112], v[133:134], v[135:136], v[111:112]
	s_and_not1_b32 exec_lo, exec_lo, s0
	s_cbranch_execnz .LBB54_225
; %bb.226:
	s_or_b32 exec_lo, exec_lo, s0
.LBB54_227:
	s_delay_alu instid0(SALU_CYCLE_1)
	s_or_b32 exec_lo, exec_lo, s4
	v_mov_b32_e32 v131, 0
	ds_load_b64 v[131:132], v131 offset:248
	s_waitcnt lgkmcnt(0)
	v_mul_f64 v[111:112], v[111:112], v[131:132]
	scratch_store_b64 off, v[111:112], off offset:248
.LBB54_228:
	s_or_b32 exec_lo, exec_lo, s2
	scratch_load_b64 v[111:112], off, off offset:240
	v_cmp_lt_u32_e64 s0, 30, v0
	s_waitcnt vmcnt(0)
	ds_store_b64 v114, v[111:112]
	s_waitcnt lgkmcnt(0)
	s_waitcnt_vscnt null, 0x0
	s_barrier
	buffer_gl0_inv
	s_and_saveexec_b32 s2, s0
	s_cbranch_execz .LBB54_238
; %bb.229:
	s_and_not1_b32 vcc_lo, exec_lo, s3
	s_cbranch_vccnz .LBB54_231
; %bb.230:
	scratch_load_b64 v[111:112], v115, off
	ds_load_b64 v[131:132], v114
	s_waitcnt vmcnt(0) lgkmcnt(0)
	v_mul_f64 v[111:112], v[111:112], v[131:132]
	s_cbranch_execz .LBB54_232
	s_branch .LBB54_233
.LBB54_231:
                                        ; implicit-def: $vgpr111_vgpr112
.LBB54_232:
	ds_load_b64 v[111:112], v114
.LBB54_233:
	s_and_saveexec_b32 s4, s1
	s_cbranch_execz .LBB54_237
; %bb.234:
	v_mov_b32_e32 v131, 0
	v_subrev_nc_u32_e32 v132, 31, v0
	s_movk_i32 s5, 0x2b8
	s_mov_b32 s1, 0
	s_delay_alu instid0(VALU_DEP_2)
	v_add_nc_u32_e32 v131, 0xf8, v131
.LBB54_235:                             ; =>This Inner Loop Header: Depth=1
	scratch_load_b64 v[133:134], v131, off
	v_dual_mov_b32 v135, s5 :: v_dual_add_nc_u32 v132, -1, v132
	v_add_nc_u32_e32 v131, 8, v131
	s_add_i32 s5, s5, 8
	ds_load_b64 v[135:136], v135
	v_cmp_eq_u32_e32 vcc_lo, 0, v132
	s_or_b32 s1, vcc_lo, s1
	s_waitcnt vmcnt(0) lgkmcnt(0)
	v_fma_f64 v[111:112], v[133:134], v[135:136], v[111:112]
	s_and_not1_b32 exec_lo, exec_lo, s1
	s_cbranch_execnz .LBB54_235
; %bb.236:
	s_or_b32 exec_lo, exec_lo, s1
.LBB54_237:
	s_delay_alu instid0(SALU_CYCLE_1)
	s_or_b32 exec_lo, exec_lo, s4
	v_mov_b32_e32 v131, 0
	ds_load_b64 v[131:132], v131 offset:240
	s_waitcnt lgkmcnt(0)
	v_mul_f64 v[111:112], v[111:112], v[131:132]
	scratch_store_b64 off, v[111:112], off offset:240
.LBB54_238:
	s_or_b32 exec_lo, exec_lo, s2
	scratch_load_b64 v[111:112], off, off offset:232
	v_cmp_lt_u32_e64 s1, 29, v0
	s_waitcnt vmcnt(0)
	ds_store_b64 v114, v[111:112]
	s_waitcnt lgkmcnt(0)
	s_waitcnt_vscnt null, 0x0
	s_barrier
	buffer_gl0_inv
	s_and_saveexec_b32 s2, s1
	s_cbranch_execz .LBB54_248
; %bb.239:
	s_and_not1_b32 vcc_lo, exec_lo, s3
	s_cbranch_vccnz .LBB54_241
; %bb.240:
	scratch_load_b64 v[111:112], v115, off
	ds_load_b64 v[131:132], v114
	s_waitcnt vmcnt(0) lgkmcnt(0)
	v_mul_f64 v[111:112], v[111:112], v[131:132]
	s_cbranch_execz .LBB54_242
	s_branch .LBB54_243
.LBB54_241:
                                        ; implicit-def: $vgpr111_vgpr112
.LBB54_242:
	ds_load_b64 v[111:112], v114
.LBB54_243:
	s_and_saveexec_b32 s4, s0
	s_cbranch_execz .LBB54_247
; %bb.244:
	v_subrev_nc_u32_e32 v131, 30, v0
	s_movk_i32 s5, 0x2b0
	s_mov_b32 s0, 0
.LBB54_245:                             ; =>This Inner Loop Header: Depth=1
	scratch_load_b64 v[132:133], v130, off
	v_dual_mov_b32 v134, s5 :: v_dual_add_nc_u32 v131, -1, v131
	v_add_nc_u32_e32 v130, 8, v130
	s_add_i32 s5, s5, 8
	ds_load_b64 v[134:135], v134
	v_cmp_eq_u32_e32 vcc_lo, 0, v131
	s_or_b32 s0, vcc_lo, s0
	s_waitcnt vmcnt(0) lgkmcnt(0)
	v_fma_f64 v[111:112], v[132:133], v[134:135], v[111:112]
	s_and_not1_b32 exec_lo, exec_lo, s0
	s_cbranch_execnz .LBB54_245
; %bb.246:
	s_or_b32 exec_lo, exec_lo, s0
.LBB54_247:
	s_delay_alu instid0(SALU_CYCLE_1)
	s_or_b32 exec_lo, exec_lo, s4
	v_mov_b32_e32 v130, 0
	ds_load_b64 v[130:131], v130 offset:232
	s_waitcnt lgkmcnt(0)
	v_mul_f64 v[111:112], v[111:112], v[130:131]
	scratch_store_b64 off, v[111:112], off offset:232
.LBB54_248:
	s_or_b32 exec_lo, exec_lo, s2
	scratch_load_b64 v[111:112], off, off offset:224
	v_cmp_lt_u32_e64 s0, 28, v0
	s_waitcnt vmcnt(0)
	ds_store_b64 v114, v[111:112]
	s_waitcnt lgkmcnt(0)
	s_waitcnt_vscnt null, 0x0
	s_barrier
	buffer_gl0_inv
	s_and_saveexec_b32 s2, s0
	s_cbranch_execz .LBB54_258
; %bb.249:
	s_and_not1_b32 vcc_lo, exec_lo, s3
	s_cbranch_vccnz .LBB54_251
; %bb.250:
	scratch_load_b64 v[111:112], v115, off
	ds_load_b64 v[130:131], v114
	s_waitcnt vmcnt(0) lgkmcnt(0)
	v_mul_f64 v[111:112], v[111:112], v[130:131]
	s_cbranch_execz .LBB54_252
	s_branch .LBB54_253
.LBB54_251:
                                        ; implicit-def: $vgpr111_vgpr112
.LBB54_252:
	ds_load_b64 v[111:112], v114
.LBB54_253:
	s_and_saveexec_b32 s4, s1
	s_cbranch_execz .LBB54_257
; %bb.254:
	v_mov_b32_e32 v130, 0
	v_subrev_nc_u32_e32 v131, 29, v0
	s_movk_i32 s5, 0x2a8
	s_mov_b32 s1, 0
	s_delay_alu instid0(VALU_DEP_2)
	v_add_nc_u32_e32 v130, 0xe8, v130
.LBB54_255:                             ; =>This Inner Loop Header: Depth=1
	scratch_load_b64 v[132:133], v130, off
	v_dual_mov_b32 v134, s5 :: v_dual_add_nc_u32 v131, -1, v131
	v_add_nc_u32_e32 v130, 8, v130
	s_add_i32 s5, s5, 8
	ds_load_b64 v[134:135], v134
	v_cmp_eq_u32_e32 vcc_lo, 0, v131
	s_or_b32 s1, vcc_lo, s1
	s_waitcnt vmcnt(0) lgkmcnt(0)
	v_fma_f64 v[111:112], v[132:133], v[134:135], v[111:112]
	s_and_not1_b32 exec_lo, exec_lo, s1
	s_cbranch_execnz .LBB54_255
; %bb.256:
	s_or_b32 exec_lo, exec_lo, s1
.LBB54_257:
	s_delay_alu instid0(SALU_CYCLE_1)
	s_or_b32 exec_lo, exec_lo, s4
	v_mov_b32_e32 v130, 0
	ds_load_b64 v[130:131], v130 offset:224
	s_waitcnt lgkmcnt(0)
	v_mul_f64 v[111:112], v[111:112], v[130:131]
	scratch_store_b64 off, v[111:112], off offset:224
.LBB54_258:
	s_or_b32 exec_lo, exec_lo, s2
	scratch_load_b64 v[111:112], off, off offset:216
	v_cmp_lt_u32_e64 s1, 27, v0
	s_waitcnt vmcnt(0)
	ds_store_b64 v114, v[111:112]
	s_waitcnt lgkmcnt(0)
	s_waitcnt_vscnt null, 0x0
	s_barrier
	buffer_gl0_inv
	s_and_saveexec_b32 s2, s1
	s_cbranch_execz .LBB54_268
; %bb.259:
	s_and_not1_b32 vcc_lo, exec_lo, s3
	s_cbranch_vccnz .LBB54_261
; %bb.260:
	scratch_load_b64 v[111:112], v115, off
	ds_load_b64 v[130:131], v114
	s_waitcnt vmcnt(0) lgkmcnt(0)
	v_mul_f64 v[111:112], v[111:112], v[130:131]
	s_cbranch_execz .LBB54_262
	s_branch .LBB54_263
.LBB54_261:
                                        ; implicit-def: $vgpr111_vgpr112
.LBB54_262:
	ds_load_b64 v[111:112], v114
.LBB54_263:
	s_and_saveexec_b32 s4, s0
	s_cbranch_execz .LBB54_267
; %bb.264:
	v_subrev_nc_u32_e32 v130, 28, v0
	s_movk_i32 s5, 0x2a0
	s_mov_b32 s0, 0
.LBB54_265:                             ; =>This Inner Loop Header: Depth=1
	scratch_load_b64 v[131:132], v129, off
	v_dual_mov_b32 v133, s5 :: v_dual_add_nc_u32 v130, -1, v130
	v_add_nc_u32_e32 v129, 8, v129
	s_add_i32 s5, s5, 8
	ds_load_b64 v[133:134], v133
	v_cmp_eq_u32_e32 vcc_lo, 0, v130
	s_or_b32 s0, vcc_lo, s0
	s_waitcnt vmcnt(0) lgkmcnt(0)
	v_fma_f64 v[111:112], v[131:132], v[133:134], v[111:112]
	s_and_not1_b32 exec_lo, exec_lo, s0
	s_cbranch_execnz .LBB54_265
; %bb.266:
	s_or_b32 exec_lo, exec_lo, s0
.LBB54_267:
	s_delay_alu instid0(SALU_CYCLE_1)
	s_or_b32 exec_lo, exec_lo, s4
	v_mov_b32_e32 v129, 0
	ds_load_b64 v[129:130], v129 offset:216
	s_waitcnt lgkmcnt(0)
	v_mul_f64 v[111:112], v[111:112], v[129:130]
	scratch_store_b64 off, v[111:112], off offset:216
.LBB54_268:
	s_or_b32 exec_lo, exec_lo, s2
	scratch_load_b64 v[111:112], off, off offset:208
	v_cmp_lt_u32_e64 s0, 26, v0
	s_waitcnt vmcnt(0)
	ds_store_b64 v114, v[111:112]
	s_waitcnt lgkmcnt(0)
	s_waitcnt_vscnt null, 0x0
	s_barrier
	buffer_gl0_inv
	s_and_saveexec_b32 s2, s0
	s_cbranch_execz .LBB54_278
; %bb.269:
	s_and_not1_b32 vcc_lo, exec_lo, s3
	s_cbranch_vccnz .LBB54_271
; %bb.270:
	scratch_load_b64 v[111:112], v115, off
	ds_load_b64 v[129:130], v114
	s_waitcnt vmcnt(0) lgkmcnt(0)
	v_mul_f64 v[111:112], v[111:112], v[129:130]
	s_cbranch_execz .LBB54_272
	s_branch .LBB54_273
.LBB54_271:
                                        ; implicit-def: $vgpr111_vgpr112
.LBB54_272:
	ds_load_b64 v[111:112], v114
.LBB54_273:
	s_and_saveexec_b32 s4, s1
	s_cbranch_execz .LBB54_277
; %bb.274:
	v_mov_b32_e32 v129, 0
	v_subrev_nc_u32_e32 v130, 27, v0
	s_movk_i32 s5, 0x298
	s_mov_b32 s1, 0
	s_delay_alu instid0(VALU_DEP_2)
	v_add_nc_u32_e32 v129, 0xd8, v129
.LBB54_275:                             ; =>This Inner Loop Header: Depth=1
	scratch_load_b64 v[131:132], v129, off
	v_dual_mov_b32 v133, s5 :: v_dual_add_nc_u32 v130, -1, v130
	v_add_nc_u32_e32 v129, 8, v129
	s_add_i32 s5, s5, 8
	ds_load_b64 v[133:134], v133
	v_cmp_eq_u32_e32 vcc_lo, 0, v130
	s_or_b32 s1, vcc_lo, s1
	s_waitcnt vmcnt(0) lgkmcnt(0)
	v_fma_f64 v[111:112], v[131:132], v[133:134], v[111:112]
	s_and_not1_b32 exec_lo, exec_lo, s1
	s_cbranch_execnz .LBB54_275
; %bb.276:
	s_or_b32 exec_lo, exec_lo, s1
.LBB54_277:
	s_delay_alu instid0(SALU_CYCLE_1)
	s_or_b32 exec_lo, exec_lo, s4
	v_mov_b32_e32 v129, 0
	ds_load_b64 v[129:130], v129 offset:208
	s_waitcnt lgkmcnt(0)
	v_mul_f64 v[111:112], v[111:112], v[129:130]
	scratch_store_b64 off, v[111:112], off offset:208
.LBB54_278:
	s_or_b32 exec_lo, exec_lo, s2
	scratch_load_b64 v[111:112], off, off offset:200
	v_cmp_lt_u32_e64 s1, 25, v0
	s_waitcnt vmcnt(0)
	ds_store_b64 v114, v[111:112]
	s_waitcnt lgkmcnt(0)
	s_waitcnt_vscnt null, 0x0
	s_barrier
	buffer_gl0_inv
	s_and_saveexec_b32 s2, s1
	s_cbranch_execz .LBB54_288
; %bb.279:
	s_and_not1_b32 vcc_lo, exec_lo, s3
	s_cbranch_vccnz .LBB54_281
; %bb.280:
	scratch_load_b64 v[111:112], v115, off
	ds_load_b64 v[129:130], v114
	s_waitcnt vmcnt(0) lgkmcnt(0)
	v_mul_f64 v[111:112], v[111:112], v[129:130]
	s_cbranch_execz .LBB54_282
	s_branch .LBB54_283
.LBB54_281:
                                        ; implicit-def: $vgpr111_vgpr112
.LBB54_282:
	ds_load_b64 v[111:112], v114
.LBB54_283:
	s_and_saveexec_b32 s4, s0
	s_cbranch_execz .LBB54_287
; %bb.284:
	v_subrev_nc_u32_e32 v129, 26, v0
	s_movk_i32 s5, 0x290
	s_mov_b32 s0, 0
.LBB54_285:                             ; =>This Inner Loop Header: Depth=1
	scratch_load_b64 v[130:131], v128, off
	v_dual_mov_b32 v132, s5 :: v_dual_add_nc_u32 v129, -1, v129
	v_add_nc_u32_e32 v128, 8, v128
	s_add_i32 s5, s5, 8
	ds_load_b64 v[132:133], v132
	v_cmp_eq_u32_e32 vcc_lo, 0, v129
	s_or_b32 s0, vcc_lo, s0
	s_waitcnt vmcnt(0) lgkmcnt(0)
	v_fma_f64 v[111:112], v[130:131], v[132:133], v[111:112]
	s_and_not1_b32 exec_lo, exec_lo, s0
	s_cbranch_execnz .LBB54_285
; %bb.286:
	s_or_b32 exec_lo, exec_lo, s0
.LBB54_287:
	s_delay_alu instid0(SALU_CYCLE_1)
	s_or_b32 exec_lo, exec_lo, s4
	v_mov_b32_e32 v128, 0
	ds_load_b64 v[128:129], v128 offset:200
	s_waitcnt lgkmcnt(0)
	v_mul_f64 v[111:112], v[111:112], v[128:129]
	scratch_store_b64 off, v[111:112], off offset:200
.LBB54_288:
	s_or_b32 exec_lo, exec_lo, s2
	scratch_load_b64 v[111:112], off, off offset:192
	v_cmp_lt_u32_e64 s0, 24, v0
	s_waitcnt vmcnt(0)
	ds_store_b64 v114, v[111:112]
	s_waitcnt lgkmcnt(0)
	s_waitcnt_vscnt null, 0x0
	s_barrier
	buffer_gl0_inv
	s_and_saveexec_b32 s2, s0
	s_cbranch_execz .LBB54_298
; %bb.289:
	s_and_not1_b32 vcc_lo, exec_lo, s3
	s_cbranch_vccnz .LBB54_291
; %bb.290:
	scratch_load_b64 v[111:112], v115, off
	ds_load_b64 v[128:129], v114
	s_waitcnt vmcnt(0) lgkmcnt(0)
	v_mul_f64 v[111:112], v[111:112], v[128:129]
	s_cbranch_execz .LBB54_292
	s_branch .LBB54_293
.LBB54_291:
                                        ; implicit-def: $vgpr111_vgpr112
.LBB54_292:
	ds_load_b64 v[111:112], v114
.LBB54_293:
	s_and_saveexec_b32 s4, s1
	s_cbranch_execz .LBB54_297
; %bb.294:
	v_mov_b32_e32 v128, 0
	v_subrev_nc_u32_e32 v129, 25, v0
	s_movk_i32 s5, 0x288
	s_mov_b32 s1, 0
	s_delay_alu instid0(VALU_DEP_2)
	v_add_nc_u32_e32 v128, 0xc8, v128
.LBB54_295:                             ; =>This Inner Loop Header: Depth=1
	scratch_load_b64 v[130:131], v128, off
	v_dual_mov_b32 v132, s5 :: v_dual_add_nc_u32 v129, -1, v129
	v_add_nc_u32_e32 v128, 8, v128
	s_add_i32 s5, s5, 8
	ds_load_b64 v[132:133], v132
	v_cmp_eq_u32_e32 vcc_lo, 0, v129
	s_or_b32 s1, vcc_lo, s1
	s_waitcnt vmcnt(0) lgkmcnt(0)
	v_fma_f64 v[111:112], v[130:131], v[132:133], v[111:112]
	s_and_not1_b32 exec_lo, exec_lo, s1
	s_cbranch_execnz .LBB54_295
; %bb.296:
	s_or_b32 exec_lo, exec_lo, s1
.LBB54_297:
	s_delay_alu instid0(SALU_CYCLE_1)
	s_or_b32 exec_lo, exec_lo, s4
	v_mov_b32_e32 v128, 0
	ds_load_b64 v[128:129], v128 offset:192
	s_waitcnt lgkmcnt(0)
	v_mul_f64 v[111:112], v[111:112], v[128:129]
	scratch_store_b64 off, v[111:112], off offset:192
.LBB54_298:
	s_or_b32 exec_lo, exec_lo, s2
	scratch_load_b64 v[111:112], off, off offset:184
	v_cmp_lt_u32_e64 s1, 23, v0
	s_waitcnt vmcnt(0)
	ds_store_b64 v114, v[111:112]
	s_waitcnt lgkmcnt(0)
	s_waitcnt_vscnt null, 0x0
	s_barrier
	buffer_gl0_inv
	s_and_saveexec_b32 s2, s1
	s_cbranch_execz .LBB54_308
; %bb.299:
	s_and_not1_b32 vcc_lo, exec_lo, s3
	s_cbranch_vccnz .LBB54_301
; %bb.300:
	scratch_load_b64 v[111:112], v115, off
	ds_load_b64 v[128:129], v114
	s_waitcnt vmcnt(0) lgkmcnt(0)
	v_mul_f64 v[111:112], v[111:112], v[128:129]
	s_cbranch_execz .LBB54_302
	s_branch .LBB54_303
.LBB54_301:
                                        ; implicit-def: $vgpr111_vgpr112
.LBB54_302:
	ds_load_b64 v[111:112], v114
.LBB54_303:
	s_and_saveexec_b32 s4, s0
	s_cbranch_execz .LBB54_307
; %bb.304:
	v_subrev_nc_u32_e32 v128, 24, v0
	s_movk_i32 s5, 0x280
	s_mov_b32 s0, 0
.LBB54_305:                             ; =>This Inner Loop Header: Depth=1
	scratch_load_b64 v[129:130], v127, off
	v_dual_mov_b32 v131, s5 :: v_dual_add_nc_u32 v128, -1, v128
	v_add_nc_u32_e32 v127, 8, v127
	s_add_i32 s5, s5, 8
	ds_load_b64 v[131:132], v131
	v_cmp_eq_u32_e32 vcc_lo, 0, v128
	s_or_b32 s0, vcc_lo, s0
	s_waitcnt vmcnt(0) lgkmcnt(0)
	v_fma_f64 v[111:112], v[129:130], v[131:132], v[111:112]
	s_and_not1_b32 exec_lo, exec_lo, s0
	s_cbranch_execnz .LBB54_305
; %bb.306:
	s_or_b32 exec_lo, exec_lo, s0
.LBB54_307:
	s_delay_alu instid0(SALU_CYCLE_1)
	s_or_b32 exec_lo, exec_lo, s4
	v_mov_b32_e32 v127, 0
	ds_load_b64 v[127:128], v127 offset:184
	s_waitcnt lgkmcnt(0)
	v_mul_f64 v[111:112], v[111:112], v[127:128]
	scratch_store_b64 off, v[111:112], off offset:184
.LBB54_308:
	s_or_b32 exec_lo, exec_lo, s2
	scratch_load_b64 v[111:112], off, off offset:176
	v_cmp_lt_u32_e64 s0, 22, v0
	s_waitcnt vmcnt(0)
	ds_store_b64 v114, v[111:112]
	s_waitcnt lgkmcnt(0)
	s_waitcnt_vscnt null, 0x0
	s_barrier
	buffer_gl0_inv
	s_and_saveexec_b32 s2, s0
	s_cbranch_execz .LBB54_318
; %bb.309:
	s_and_not1_b32 vcc_lo, exec_lo, s3
	s_cbranch_vccnz .LBB54_311
; %bb.310:
	scratch_load_b64 v[111:112], v115, off
	ds_load_b64 v[127:128], v114
	s_waitcnt vmcnt(0) lgkmcnt(0)
	v_mul_f64 v[111:112], v[111:112], v[127:128]
	s_cbranch_execz .LBB54_312
	s_branch .LBB54_313
.LBB54_311:
                                        ; implicit-def: $vgpr111_vgpr112
.LBB54_312:
	ds_load_b64 v[111:112], v114
.LBB54_313:
	s_and_saveexec_b32 s4, s1
	s_cbranch_execz .LBB54_317
; %bb.314:
	v_mov_b32_e32 v127, 0
	v_subrev_nc_u32_e32 v128, 23, v0
	s_movk_i32 s5, 0x278
	s_mov_b32 s1, 0
	s_delay_alu instid0(VALU_DEP_2)
	v_add_nc_u32_e32 v127, 0xb8, v127
.LBB54_315:                             ; =>This Inner Loop Header: Depth=1
	scratch_load_b64 v[129:130], v127, off
	v_dual_mov_b32 v131, s5 :: v_dual_add_nc_u32 v128, -1, v128
	v_add_nc_u32_e32 v127, 8, v127
	s_add_i32 s5, s5, 8
	ds_load_b64 v[131:132], v131
	v_cmp_eq_u32_e32 vcc_lo, 0, v128
	s_or_b32 s1, vcc_lo, s1
	s_waitcnt vmcnt(0) lgkmcnt(0)
	v_fma_f64 v[111:112], v[129:130], v[131:132], v[111:112]
	s_and_not1_b32 exec_lo, exec_lo, s1
	s_cbranch_execnz .LBB54_315
; %bb.316:
	s_or_b32 exec_lo, exec_lo, s1
.LBB54_317:
	s_delay_alu instid0(SALU_CYCLE_1)
	s_or_b32 exec_lo, exec_lo, s4
	v_mov_b32_e32 v127, 0
	ds_load_b64 v[127:128], v127 offset:176
	s_waitcnt lgkmcnt(0)
	v_mul_f64 v[111:112], v[111:112], v[127:128]
	scratch_store_b64 off, v[111:112], off offset:176
.LBB54_318:
	s_or_b32 exec_lo, exec_lo, s2
	scratch_load_b64 v[111:112], off, off offset:168
	v_cmp_lt_u32_e64 s1, 21, v0
	s_waitcnt vmcnt(0)
	ds_store_b64 v114, v[111:112]
	s_waitcnt lgkmcnt(0)
	s_waitcnt_vscnt null, 0x0
	s_barrier
	buffer_gl0_inv
	s_and_saveexec_b32 s2, s1
	s_cbranch_execz .LBB54_328
; %bb.319:
	s_and_not1_b32 vcc_lo, exec_lo, s3
	s_cbranch_vccnz .LBB54_321
; %bb.320:
	scratch_load_b64 v[111:112], v115, off
	ds_load_b64 v[127:128], v114
	s_waitcnt vmcnt(0) lgkmcnt(0)
	v_mul_f64 v[111:112], v[111:112], v[127:128]
	s_cbranch_execz .LBB54_322
	s_branch .LBB54_323
.LBB54_321:
                                        ; implicit-def: $vgpr111_vgpr112
.LBB54_322:
	ds_load_b64 v[111:112], v114
.LBB54_323:
	s_and_saveexec_b32 s4, s0
	s_cbranch_execz .LBB54_327
; %bb.324:
	v_subrev_nc_u32_e32 v127, 22, v0
	s_movk_i32 s5, 0x270
	s_mov_b32 s0, 0
.LBB54_325:                             ; =>This Inner Loop Header: Depth=1
	scratch_load_b64 v[128:129], v126, off
	v_dual_mov_b32 v130, s5 :: v_dual_add_nc_u32 v127, -1, v127
	v_add_nc_u32_e32 v126, 8, v126
	s_add_i32 s5, s5, 8
	ds_load_b64 v[130:131], v130
	v_cmp_eq_u32_e32 vcc_lo, 0, v127
	s_or_b32 s0, vcc_lo, s0
	s_waitcnt vmcnt(0) lgkmcnt(0)
	v_fma_f64 v[111:112], v[128:129], v[130:131], v[111:112]
	s_and_not1_b32 exec_lo, exec_lo, s0
	s_cbranch_execnz .LBB54_325
; %bb.326:
	s_or_b32 exec_lo, exec_lo, s0
.LBB54_327:
	s_delay_alu instid0(SALU_CYCLE_1)
	s_or_b32 exec_lo, exec_lo, s4
	v_mov_b32_e32 v126, 0
	ds_load_b64 v[126:127], v126 offset:168
	s_waitcnt lgkmcnt(0)
	v_mul_f64 v[111:112], v[111:112], v[126:127]
	scratch_store_b64 off, v[111:112], off offset:168
.LBB54_328:
	s_or_b32 exec_lo, exec_lo, s2
	scratch_load_b64 v[111:112], off, off offset:160
	v_cmp_lt_u32_e64 s0, 20, v0
	s_waitcnt vmcnt(0)
	ds_store_b64 v114, v[111:112]
	s_waitcnt lgkmcnt(0)
	s_waitcnt_vscnt null, 0x0
	s_barrier
	buffer_gl0_inv
	s_and_saveexec_b32 s2, s0
	s_cbranch_execz .LBB54_338
; %bb.329:
	s_and_not1_b32 vcc_lo, exec_lo, s3
	s_cbranch_vccnz .LBB54_331
; %bb.330:
	scratch_load_b64 v[111:112], v115, off
	ds_load_b64 v[126:127], v114
	s_waitcnt vmcnt(0) lgkmcnt(0)
	v_mul_f64 v[111:112], v[111:112], v[126:127]
	s_cbranch_execz .LBB54_332
	s_branch .LBB54_333
.LBB54_331:
                                        ; implicit-def: $vgpr111_vgpr112
.LBB54_332:
	ds_load_b64 v[111:112], v114
.LBB54_333:
	s_and_saveexec_b32 s4, s1
	s_cbranch_execz .LBB54_337
; %bb.334:
	v_mov_b32_e32 v126, 0
	v_subrev_nc_u32_e32 v127, 21, v0
	s_movk_i32 s5, 0x268
	s_mov_b32 s1, 0
	s_delay_alu instid0(VALU_DEP_2)
	v_add_nc_u32_e32 v126, 0xa8, v126
.LBB54_335:                             ; =>This Inner Loop Header: Depth=1
	scratch_load_b64 v[128:129], v126, off
	v_dual_mov_b32 v130, s5 :: v_dual_add_nc_u32 v127, -1, v127
	v_add_nc_u32_e32 v126, 8, v126
	s_add_i32 s5, s5, 8
	ds_load_b64 v[130:131], v130
	v_cmp_eq_u32_e32 vcc_lo, 0, v127
	s_or_b32 s1, vcc_lo, s1
	s_waitcnt vmcnt(0) lgkmcnt(0)
	v_fma_f64 v[111:112], v[128:129], v[130:131], v[111:112]
	s_and_not1_b32 exec_lo, exec_lo, s1
	s_cbranch_execnz .LBB54_335
; %bb.336:
	s_or_b32 exec_lo, exec_lo, s1
.LBB54_337:
	s_delay_alu instid0(SALU_CYCLE_1)
	s_or_b32 exec_lo, exec_lo, s4
	v_mov_b32_e32 v126, 0
	ds_load_b64 v[126:127], v126 offset:160
	s_waitcnt lgkmcnt(0)
	v_mul_f64 v[111:112], v[111:112], v[126:127]
	scratch_store_b64 off, v[111:112], off offset:160
.LBB54_338:
	s_or_b32 exec_lo, exec_lo, s2
	scratch_load_b64 v[111:112], off, off offset:152
	v_cmp_lt_u32_e64 s1, 19, v0
	s_waitcnt vmcnt(0)
	ds_store_b64 v114, v[111:112]
	s_waitcnt lgkmcnt(0)
	s_waitcnt_vscnt null, 0x0
	s_barrier
	buffer_gl0_inv
	s_and_saveexec_b32 s2, s1
	s_cbranch_execz .LBB54_348
; %bb.339:
	s_and_not1_b32 vcc_lo, exec_lo, s3
	s_cbranch_vccnz .LBB54_341
; %bb.340:
	scratch_load_b64 v[111:112], v115, off
	ds_load_b64 v[126:127], v114
	s_waitcnt vmcnt(0) lgkmcnt(0)
	v_mul_f64 v[111:112], v[111:112], v[126:127]
	s_cbranch_execz .LBB54_342
	s_branch .LBB54_343
.LBB54_341:
                                        ; implicit-def: $vgpr111_vgpr112
.LBB54_342:
	ds_load_b64 v[111:112], v114
.LBB54_343:
	s_and_saveexec_b32 s4, s0
	s_cbranch_execz .LBB54_347
; %bb.344:
	v_subrev_nc_u32_e32 v126, 20, v0
	s_movk_i32 s5, 0x260
	s_mov_b32 s0, 0
.LBB54_345:                             ; =>This Inner Loop Header: Depth=1
	scratch_load_b64 v[127:128], v125, off
	v_dual_mov_b32 v129, s5 :: v_dual_add_nc_u32 v126, -1, v126
	v_add_nc_u32_e32 v125, 8, v125
	s_add_i32 s5, s5, 8
	ds_load_b64 v[129:130], v129
	v_cmp_eq_u32_e32 vcc_lo, 0, v126
	s_or_b32 s0, vcc_lo, s0
	s_waitcnt vmcnt(0) lgkmcnt(0)
	v_fma_f64 v[111:112], v[127:128], v[129:130], v[111:112]
	s_and_not1_b32 exec_lo, exec_lo, s0
	s_cbranch_execnz .LBB54_345
; %bb.346:
	s_or_b32 exec_lo, exec_lo, s0
.LBB54_347:
	s_delay_alu instid0(SALU_CYCLE_1)
	s_or_b32 exec_lo, exec_lo, s4
	v_mov_b32_e32 v125, 0
	ds_load_b64 v[125:126], v125 offset:152
	s_waitcnt lgkmcnt(0)
	v_mul_f64 v[111:112], v[111:112], v[125:126]
	scratch_store_b64 off, v[111:112], off offset:152
.LBB54_348:
	s_or_b32 exec_lo, exec_lo, s2
	scratch_load_b64 v[111:112], off, off offset:144
	v_cmp_lt_u32_e64 s0, 18, v0
	s_waitcnt vmcnt(0)
	ds_store_b64 v114, v[111:112]
	s_waitcnt lgkmcnt(0)
	s_waitcnt_vscnt null, 0x0
	s_barrier
	buffer_gl0_inv
	s_and_saveexec_b32 s2, s0
	s_cbranch_execz .LBB54_358
; %bb.349:
	s_and_not1_b32 vcc_lo, exec_lo, s3
	s_cbranch_vccnz .LBB54_351
; %bb.350:
	scratch_load_b64 v[111:112], v115, off
	ds_load_b64 v[125:126], v114
	s_waitcnt vmcnt(0) lgkmcnt(0)
	v_mul_f64 v[111:112], v[111:112], v[125:126]
	s_cbranch_execz .LBB54_352
	s_branch .LBB54_353
.LBB54_351:
                                        ; implicit-def: $vgpr111_vgpr112
.LBB54_352:
	ds_load_b64 v[111:112], v114
.LBB54_353:
	s_and_saveexec_b32 s4, s1
	s_cbranch_execz .LBB54_357
; %bb.354:
	v_mov_b32_e32 v125, 0
	v_subrev_nc_u32_e32 v126, 19, v0
	s_movk_i32 s5, 0x258
	s_mov_b32 s1, 0
	s_delay_alu instid0(VALU_DEP_2)
	v_add_nc_u32_e32 v125, 0x98, v125
.LBB54_355:                             ; =>This Inner Loop Header: Depth=1
	scratch_load_b64 v[127:128], v125, off
	v_dual_mov_b32 v129, s5 :: v_dual_add_nc_u32 v126, -1, v126
	v_add_nc_u32_e32 v125, 8, v125
	s_add_i32 s5, s5, 8
	ds_load_b64 v[129:130], v129
	v_cmp_eq_u32_e32 vcc_lo, 0, v126
	s_or_b32 s1, vcc_lo, s1
	s_waitcnt vmcnt(0) lgkmcnt(0)
	v_fma_f64 v[111:112], v[127:128], v[129:130], v[111:112]
	s_and_not1_b32 exec_lo, exec_lo, s1
	s_cbranch_execnz .LBB54_355
; %bb.356:
	s_or_b32 exec_lo, exec_lo, s1
.LBB54_357:
	s_delay_alu instid0(SALU_CYCLE_1)
	s_or_b32 exec_lo, exec_lo, s4
	v_mov_b32_e32 v125, 0
	ds_load_b64 v[125:126], v125 offset:144
	s_waitcnt lgkmcnt(0)
	v_mul_f64 v[111:112], v[111:112], v[125:126]
	scratch_store_b64 off, v[111:112], off offset:144
.LBB54_358:
	s_or_b32 exec_lo, exec_lo, s2
	scratch_load_b64 v[111:112], off, off offset:136
	v_cmp_lt_u32_e64 s1, 17, v0
	s_waitcnt vmcnt(0)
	ds_store_b64 v114, v[111:112]
	s_waitcnt lgkmcnt(0)
	s_waitcnt_vscnt null, 0x0
	s_barrier
	buffer_gl0_inv
	s_and_saveexec_b32 s2, s1
	s_cbranch_execz .LBB54_368
; %bb.359:
	s_and_not1_b32 vcc_lo, exec_lo, s3
	s_cbranch_vccnz .LBB54_361
; %bb.360:
	scratch_load_b64 v[111:112], v115, off
	ds_load_b64 v[125:126], v114
	s_waitcnt vmcnt(0) lgkmcnt(0)
	v_mul_f64 v[111:112], v[111:112], v[125:126]
	s_cbranch_execz .LBB54_362
	s_branch .LBB54_363
.LBB54_361:
                                        ; implicit-def: $vgpr111_vgpr112
.LBB54_362:
	ds_load_b64 v[111:112], v114
.LBB54_363:
	s_and_saveexec_b32 s4, s0
	s_cbranch_execz .LBB54_367
; %bb.364:
	v_subrev_nc_u32_e32 v125, 18, v0
	s_movk_i32 s5, 0x250
	s_mov_b32 s0, 0
.LBB54_365:                             ; =>This Inner Loop Header: Depth=1
	scratch_load_b64 v[126:127], v124, off
	v_dual_mov_b32 v128, s5 :: v_dual_add_nc_u32 v125, -1, v125
	v_add_nc_u32_e32 v124, 8, v124
	s_add_i32 s5, s5, 8
	ds_load_b64 v[128:129], v128
	v_cmp_eq_u32_e32 vcc_lo, 0, v125
	s_or_b32 s0, vcc_lo, s0
	s_waitcnt vmcnt(0) lgkmcnt(0)
	v_fma_f64 v[111:112], v[126:127], v[128:129], v[111:112]
	s_and_not1_b32 exec_lo, exec_lo, s0
	s_cbranch_execnz .LBB54_365
; %bb.366:
	s_or_b32 exec_lo, exec_lo, s0
.LBB54_367:
	s_delay_alu instid0(SALU_CYCLE_1)
	s_or_b32 exec_lo, exec_lo, s4
	v_mov_b32_e32 v124, 0
	ds_load_b64 v[124:125], v124 offset:136
	s_waitcnt lgkmcnt(0)
	v_mul_f64 v[111:112], v[111:112], v[124:125]
	scratch_store_b64 off, v[111:112], off offset:136
.LBB54_368:
	s_or_b32 exec_lo, exec_lo, s2
	scratch_load_b64 v[111:112], off, off offset:128
	v_cmp_lt_u32_e64 s0, 16, v0
	s_waitcnt vmcnt(0)
	ds_store_b64 v114, v[111:112]
	s_waitcnt lgkmcnt(0)
	s_waitcnt_vscnt null, 0x0
	s_barrier
	buffer_gl0_inv
	s_and_saveexec_b32 s2, s0
	s_cbranch_execz .LBB54_378
; %bb.369:
	s_and_not1_b32 vcc_lo, exec_lo, s3
	s_cbranch_vccnz .LBB54_371
; %bb.370:
	scratch_load_b64 v[111:112], v115, off
	ds_load_b64 v[124:125], v114
	s_waitcnt vmcnt(0) lgkmcnt(0)
	v_mul_f64 v[111:112], v[111:112], v[124:125]
	s_cbranch_execz .LBB54_372
	s_branch .LBB54_373
.LBB54_371:
                                        ; implicit-def: $vgpr111_vgpr112
.LBB54_372:
	ds_load_b64 v[111:112], v114
.LBB54_373:
	s_and_saveexec_b32 s4, s1
	s_cbranch_execz .LBB54_377
; %bb.374:
	v_mov_b32_e32 v124, 0
	v_subrev_nc_u32_e32 v125, 17, v0
	s_movk_i32 s5, 0x248
	s_mov_b32 s1, 0
	s_delay_alu instid0(VALU_DEP_2)
	v_add_nc_u32_e32 v124, 0x88, v124
.LBB54_375:                             ; =>This Inner Loop Header: Depth=1
	scratch_load_b64 v[126:127], v124, off
	v_dual_mov_b32 v128, s5 :: v_dual_add_nc_u32 v125, -1, v125
	v_add_nc_u32_e32 v124, 8, v124
	s_add_i32 s5, s5, 8
	ds_load_b64 v[128:129], v128
	v_cmp_eq_u32_e32 vcc_lo, 0, v125
	s_or_b32 s1, vcc_lo, s1
	s_waitcnt vmcnt(0) lgkmcnt(0)
	v_fma_f64 v[111:112], v[126:127], v[128:129], v[111:112]
	s_and_not1_b32 exec_lo, exec_lo, s1
	s_cbranch_execnz .LBB54_375
; %bb.376:
	s_or_b32 exec_lo, exec_lo, s1
.LBB54_377:
	s_delay_alu instid0(SALU_CYCLE_1)
	s_or_b32 exec_lo, exec_lo, s4
	v_mov_b32_e32 v124, 0
	ds_load_b64 v[124:125], v124 offset:128
	s_waitcnt lgkmcnt(0)
	v_mul_f64 v[111:112], v[111:112], v[124:125]
	scratch_store_b64 off, v[111:112], off offset:128
.LBB54_378:
	s_or_b32 exec_lo, exec_lo, s2
	scratch_load_b64 v[111:112], off, off offset:120
	v_cmp_lt_u32_e64 s1, 15, v0
	s_waitcnt vmcnt(0)
	ds_store_b64 v114, v[111:112]
	s_waitcnt lgkmcnt(0)
	s_waitcnt_vscnt null, 0x0
	s_barrier
	buffer_gl0_inv
	s_and_saveexec_b32 s2, s1
	s_cbranch_execz .LBB54_388
; %bb.379:
	s_and_not1_b32 vcc_lo, exec_lo, s3
	s_cbranch_vccnz .LBB54_381
; %bb.380:
	scratch_load_b64 v[111:112], v115, off
	ds_load_b64 v[124:125], v114
	s_waitcnt vmcnt(0) lgkmcnt(0)
	v_mul_f64 v[111:112], v[111:112], v[124:125]
	s_cbranch_execz .LBB54_382
	s_branch .LBB54_383
.LBB54_381:
                                        ; implicit-def: $vgpr111_vgpr112
.LBB54_382:
	ds_load_b64 v[111:112], v114
.LBB54_383:
	s_and_saveexec_b32 s4, s0
	s_cbranch_execz .LBB54_387
; %bb.384:
	v_add_nc_u32_e32 v124, -16, v0
	s_movk_i32 s5, 0x240
	s_mov_b32 s0, 0
.LBB54_385:                             ; =>This Inner Loop Header: Depth=1
	scratch_load_b64 v[125:126], v123, off
	v_dual_mov_b32 v127, s5 :: v_dual_add_nc_u32 v124, -1, v124
	v_add_nc_u32_e32 v123, 8, v123
	s_add_i32 s5, s5, 8
	ds_load_b64 v[127:128], v127
	v_cmp_eq_u32_e32 vcc_lo, 0, v124
	s_or_b32 s0, vcc_lo, s0
	s_waitcnt vmcnt(0) lgkmcnt(0)
	v_fma_f64 v[111:112], v[125:126], v[127:128], v[111:112]
	s_and_not1_b32 exec_lo, exec_lo, s0
	s_cbranch_execnz .LBB54_385
; %bb.386:
	s_or_b32 exec_lo, exec_lo, s0
.LBB54_387:
	s_delay_alu instid0(SALU_CYCLE_1)
	s_or_b32 exec_lo, exec_lo, s4
	v_mov_b32_e32 v123, 0
	ds_load_b64 v[123:124], v123 offset:120
	s_waitcnt lgkmcnt(0)
	v_mul_f64 v[111:112], v[111:112], v[123:124]
	scratch_store_b64 off, v[111:112], off offset:120
.LBB54_388:
	s_or_b32 exec_lo, exec_lo, s2
	scratch_load_b64 v[111:112], off, off offset:112
	v_cmp_lt_u32_e64 s0, 14, v0
	s_waitcnt vmcnt(0)
	ds_store_b64 v114, v[111:112]
	s_waitcnt lgkmcnt(0)
	s_waitcnt_vscnt null, 0x0
	s_barrier
	buffer_gl0_inv
	s_and_saveexec_b32 s2, s0
	s_cbranch_execz .LBB54_398
; %bb.389:
	s_and_not1_b32 vcc_lo, exec_lo, s3
	s_cbranch_vccnz .LBB54_391
; %bb.390:
	scratch_load_b64 v[111:112], v115, off
	ds_load_b64 v[123:124], v114
	s_waitcnt vmcnt(0) lgkmcnt(0)
	v_mul_f64 v[111:112], v[111:112], v[123:124]
	s_cbranch_execz .LBB54_392
	s_branch .LBB54_393
.LBB54_391:
                                        ; implicit-def: $vgpr111_vgpr112
.LBB54_392:
	ds_load_b64 v[111:112], v114
.LBB54_393:
	s_and_saveexec_b32 s4, s1
	s_cbranch_execz .LBB54_397
; %bb.394:
	v_dual_mov_b32 v123, 0 :: v_dual_add_nc_u32 v124, -15, v0
	s_movk_i32 s5, 0x238
	s_mov_b32 s1, 0
	s_delay_alu instid0(VALU_DEP_1)
	v_add_nc_u32_e32 v123, 0x78, v123
.LBB54_395:                             ; =>This Inner Loop Header: Depth=1
	scratch_load_b64 v[125:126], v123, off
	v_dual_mov_b32 v127, s5 :: v_dual_add_nc_u32 v124, -1, v124
	v_add_nc_u32_e32 v123, 8, v123
	s_add_i32 s5, s5, 8
	ds_load_b64 v[127:128], v127
	v_cmp_eq_u32_e32 vcc_lo, 0, v124
	s_or_b32 s1, vcc_lo, s1
	s_waitcnt vmcnt(0) lgkmcnt(0)
	v_fma_f64 v[111:112], v[125:126], v[127:128], v[111:112]
	s_and_not1_b32 exec_lo, exec_lo, s1
	s_cbranch_execnz .LBB54_395
; %bb.396:
	s_or_b32 exec_lo, exec_lo, s1
.LBB54_397:
	s_delay_alu instid0(SALU_CYCLE_1)
	s_or_b32 exec_lo, exec_lo, s4
	v_mov_b32_e32 v123, 0
	ds_load_b64 v[123:124], v123 offset:112
	s_waitcnt lgkmcnt(0)
	v_mul_f64 v[111:112], v[111:112], v[123:124]
	scratch_store_b64 off, v[111:112], off offset:112
.LBB54_398:
	s_or_b32 exec_lo, exec_lo, s2
	scratch_load_b64 v[111:112], off, off offset:104
	v_cmp_lt_u32_e64 s1, 13, v0
	s_waitcnt vmcnt(0)
	ds_store_b64 v114, v[111:112]
	s_waitcnt lgkmcnt(0)
	s_waitcnt_vscnt null, 0x0
	s_barrier
	buffer_gl0_inv
	s_and_saveexec_b32 s2, s1
	s_cbranch_execz .LBB54_408
; %bb.399:
	s_and_not1_b32 vcc_lo, exec_lo, s3
	s_cbranch_vccnz .LBB54_401
; %bb.400:
	scratch_load_b64 v[111:112], v115, off
	ds_load_b64 v[123:124], v114
	s_waitcnt vmcnt(0) lgkmcnt(0)
	v_mul_f64 v[111:112], v[111:112], v[123:124]
	s_cbranch_execz .LBB54_402
	s_branch .LBB54_403
.LBB54_401:
                                        ; implicit-def: $vgpr111_vgpr112
.LBB54_402:
	ds_load_b64 v[111:112], v114
.LBB54_403:
	s_and_saveexec_b32 s4, s0
	s_cbranch_execz .LBB54_407
; %bb.404:
	v_add_nc_u32_e32 v123, -14, v0
	s_movk_i32 s5, 0x230
	s_mov_b32 s0, 0
.LBB54_405:                             ; =>This Inner Loop Header: Depth=1
	scratch_load_b64 v[124:125], v122, off
	v_dual_mov_b32 v126, s5 :: v_dual_add_nc_u32 v123, -1, v123
	v_add_nc_u32_e32 v122, 8, v122
	s_add_i32 s5, s5, 8
	ds_load_b64 v[126:127], v126
	v_cmp_eq_u32_e32 vcc_lo, 0, v123
	s_or_b32 s0, vcc_lo, s0
	s_waitcnt vmcnt(0) lgkmcnt(0)
	v_fma_f64 v[111:112], v[124:125], v[126:127], v[111:112]
	s_and_not1_b32 exec_lo, exec_lo, s0
	s_cbranch_execnz .LBB54_405
; %bb.406:
	s_or_b32 exec_lo, exec_lo, s0
.LBB54_407:
	s_delay_alu instid0(SALU_CYCLE_1)
	s_or_b32 exec_lo, exec_lo, s4
	v_mov_b32_e32 v122, 0
	ds_load_b64 v[122:123], v122 offset:104
	s_waitcnt lgkmcnt(0)
	v_mul_f64 v[111:112], v[111:112], v[122:123]
	scratch_store_b64 off, v[111:112], off offset:104
.LBB54_408:
	s_or_b32 exec_lo, exec_lo, s2
	scratch_load_b64 v[111:112], off, off offset:96
	v_cmp_lt_u32_e64 s0, 12, v0
	s_waitcnt vmcnt(0)
	ds_store_b64 v114, v[111:112]
	s_waitcnt lgkmcnt(0)
	s_waitcnt_vscnt null, 0x0
	s_barrier
	buffer_gl0_inv
	s_and_saveexec_b32 s2, s0
	s_cbranch_execz .LBB54_418
; %bb.409:
	s_and_not1_b32 vcc_lo, exec_lo, s3
	s_cbranch_vccnz .LBB54_411
; %bb.410:
	scratch_load_b64 v[111:112], v115, off
	ds_load_b64 v[122:123], v114
	s_waitcnt vmcnt(0) lgkmcnt(0)
	v_mul_f64 v[111:112], v[111:112], v[122:123]
	s_cbranch_execz .LBB54_412
	s_branch .LBB54_413
.LBB54_411:
                                        ; implicit-def: $vgpr111_vgpr112
.LBB54_412:
	ds_load_b64 v[111:112], v114
.LBB54_413:
	s_and_saveexec_b32 s4, s1
	s_cbranch_execz .LBB54_417
; %bb.414:
	v_dual_mov_b32 v122, 0 :: v_dual_add_nc_u32 v123, -13, v0
	s_movk_i32 s5, 0x228
	s_mov_b32 s1, 0
	s_delay_alu instid0(VALU_DEP_1)
	v_add_nc_u32_e32 v122, 0x68, v122
.LBB54_415:                             ; =>This Inner Loop Header: Depth=1
	scratch_load_b64 v[124:125], v122, off
	v_dual_mov_b32 v126, s5 :: v_dual_add_nc_u32 v123, -1, v123
	v_add_nc_u32_e32 v122, 8, v122
	s_add_i32 s5, s5, 8
	ds_load_b64 v[126:127], v126
	v_cmp_eq_u32_e32 vcc_lo, 0, v123
	s_or_b32 s1, vcc_lo, s1
	s_waitcnt vmcnt(0) lgkmcnt(0)
	v_fma_f64 v[111:112], v[124:125], v[126:127], v[111:112]
	s_and_not1_b32 exec_lo, exec_lo, s1
	s_cbranch_execnz .LBB54_415
; %bb.416:
	s_or_b32 exec_lo, exec_lo, s1
.LBB54_417:
	s_delay_alu instid0(SALU_CYCLE_1)
	s_or_b32 exec_lo, exec_lo, s4
	v_mov_b32_e32 v122, 0
	ds_load_b64 v[122:123], v122 offset:96
	s_waitcnt lgkmcnt(0)
	v_mul_f64 v[111:112], v[111:112], v[122:123]
	scratch_store_b64 off, v[111:112], off offset:96
.LBB54_418:
	s_or_b32 exec_lo, exec_lo, s2
	scratch_load_b64 v[111:112], off, off offset:88
	v_cmp_lt_u32_e64 s1, 11, v0
	s_waitcnt vmcnt(0)
	ds_store_b64 v114, v[111:112]
	s_waitcnt lgkmcnt(0)
	s_waitcnt_vscnt null, 0x0
	s_barrier
	buffer_gl0_inv
	s_and_saveexec_b32 s2, s1
	s_cbranch_execz .LBB54_428
; %bb.419:
	s_and_not1_b32 vcc_lo, exec_lo, s3
	s_cbranch_vccnz .LBB54_421
; %bb.420:
	scratch_load_b64 v[111:112], v115, off
	ds_load_b64 v[122:123], v114
	s_waitcnt vmcnt(0) lgkmcnt(0)
	v_mul_f64 v[111:112], v[111:112], v[122:123]
	s_cbranch_execz .LBB54_422
	s_branch .LBB54_423
.LBB54_421:
                                        ; implicit-def: $vgpr111_vgpr112
.LBB54_422:
	ds_load_b64 v[111:112], v114
.LBB54_423:
	s_and_saveexec_b32 s4, s0
	s_cbranch_execz .LBB54_427
; %bb.424:
	v_add_nc_u32_e32 v122, -12, v0
	s_movk_i32 s5, 0x220
	s_mov_b32 s0, 0
.LBB54_425:                             ; =>This Inner Loop Header: Depth=1
	scratch_load_b64 v[123:124], v121, off
	v_dual_mov_b32 v125, s5 :: v_dual_add_nc_u32 v122, -1, v122
	v_add_nc_u32_e32 v121, 8, v121
	s_add_i32 s5, s5, 8
	ds_load_b64 v[125:126], v125
	v_cmp_eq_u32_e32 vcc_lo, 0, v122
	s_or_b32 s0, vcc_lo, s0
	s_waitcnt vmcnt(0) lgkmcnt(0)
	v_fma_f64 v[111:112], v[123:124], v[125:126], v[111:112]
	s_and_not1_b32 exec_lo, exec_lo, s0
	s_cbranch_execnz .LBB54_425
; %bb.426:
	s_or_b32 exec_lo, exec_lo, s0
.LBB54_427:
	s_delay_alu instid0(SALU_CYCLE_1)
	s_or_b32 exec_lo, exec_lo, s4
	v_mov_b32_e32 v121, 0
	ds_load_b64 v[121:122], v121 offset:88
	s_waitcnt lgkmcnt(0)
	v_mul_f64 v[111:112], v[111:112], v[121:122]
	scratch_store_b64 off, v[111:112], off offset:88
.LBB54_428:
	s_or_b32 exec_lo, exec_lo, s2
	scratch_load_b64 v[111:112], off, off offset:80
	v_cmp_lt_u32_e64 s0, 10, v0
	s_waitcnt vmcnt(0)
	ds_store_b64 v114, v[111:112]
	s_waitcnt lgkmcnt(0)
	s_waitcnt_vscnt null, 0x0
	s_barrier
	buffer_gl0_inv
	s_and_saveexec_b32 s2, s0
	s_cbranch_execz .LBB54_438
; %bb.429:
	s_and_not1_b32 vcc_lo, exec_lo, s3
	s_cbranch_vccnz .LBB54_431
; %bb.430:
	scratch_load_b64 v[111:112], v115, off
	ds_load_b64 v[121:122], v114
	s_waitcnt vmcnt(0) lgkmcnt(0)
	v_mul_f64 v[111:112], v[111:112], v[121:122]
	s_cbranch_execz .LBB54_432
	s_branch .LBB54_433
.LBB54_431:
                                        ; implicit-def: $vgpr111_vgpr112
.LBB54_432:
	ds_load_b64 v[111:112], v114
.LBB54_433:
	s_and_saveexec_b32 s4, s1
	s_cbranch_execz .LBB54_437
; %bb.434:
	v_dual_mov_b32 v121, 0 :: v_dual_add_nc_u32 v122, -11, v0
	s_movk_i32 s5, 0x218
	s_mov_b32 s1, 0
	s_delay_alu instid0(VALU_DEP_1)
	v_add_nc_u32_e32 v121, 0x58, v121
.LBB54_435:                             ; =>This Inner Loop Header: Depth=1
	scratch_load_b64 v[123:124], v121, off
	v_dual_mov_b32 v125, s5 :: v_dual_add_nc_u32 v122, -1, v122
	v_add_nc_u32_e32 v121, 8, v121
	s_add_i32 s5, s5, 8
	ds_load_b64 v[125:126], v125
	v_cmp_eq_u32_e32 vcc_lo, 0, v122
	s_or_b32 s1, vcc_lo, s1
	s_waitcnt vmcnt(0) lgkmcnt(0)
	v_fma_f64 v[111:112], v[123:124], v[125:126], v[111:112]
	s_and_not1_b32 exec_lo, exec_lo, s1
	s_cbranch_execnz .LBB54_435
; %bb.436:
	s_or_b32 exec_lo, exec_lo, s1
.LBB54_437:
	s_delay_alu instid0(SALU_CYCLE_1)
	s_or_b32 exec_lo, exec_lo, s4
	v_mov_b32_e32 v121, 0
	ds_load_b64 v[121:122], v121 offset:80
	s_waitcnt lgkmcnt(0)
	v_mul_f64 v[111:112], v[111:112], v[121:122]
	scratch_store_b64 off, v[111:112], off offset:80
.LBB54_438:
	s_or_b32 exec_lo, exec_lo, s2
	scratch_load_b64 v[111:112], off, off offset:72
	v_cmp_lt_u32_e64 s1, 9, v0
	s_waitcnt vmcnt(0)
	ds_store_b64 v114, v[111:112]
	s_waitcnt lgkmcnt(0)
	s_waitcnt_vscnt null, 0x0
	s_barrier
	buffer_gl0_inv
	s_and_saveexec_b32 s2, s1
	s_cbranch_execz .LBB54_448
; %bb.439:
	s_and_not1_b32 vcc_lo, exec_lo, s3
	s_cbranch_vccnz .LBB54_441
; %bb.440:
	scratch_load_b64 v[111:112], v115, off
	ds_load_b64 v[121:122], v114
	s_waitcnt vmcnt(0) lgkmcnt(0)
	v_mul_f64 v[111:112], v[111:112], v[121:122]
	s_cbranch_execz .LBB54_442
	s_branch .LBB54_443
.LBB54_441:
                                        ; implicit-def: $vgpr111_vgpr112
.LBB54_442:
	ds_load_b64 v[111:112], v114
.LBB54_443:
	s_and_saveexec_b32 s4, s0
	s_cbranch_execz .LBB54_447
; %bb.444:
	v_add_nc_u32_e32 v121, -10, v0
	s_movk_i32 s5, 0x210
	s_mov_b32 s0, 0
.LBB54_445:                             ; =>This Inner Loop Header: Depth=1
	scratch_load_b64 v[122:123], v120, off
	v_dual_mov_b32 v124, s5 :: v_dual_add_nc_u32 v121, -1, v121
	v_add_nc_u32_e32 v120, 8, v120
	s_add_i32 s5, s5, 8
	ds_load_b64 v[124:125], v124
	v_cmp_eq_u32_e32 vcc_lo, 0, v121
	s_or_b32 s0, vcc_lo, s0
	s_waitcnt vmcnt(0) lgkmcnt(0)
	v_fma_f64 v[111:112], v[122:123], v[124:125], v[111:112]
	s_and_not1_b32 exec_lo, exec_lo, s0
	s_cbranch_execnz .LBB54_445
; %bb.446:
	s_or_b32 exec_lo, exec_lo, s0
.LBB54_447:
	s_delay_alu instid0(SALU_CYCLE_1)
	s_or_b32 exec_lo, exec_lo, s4
	v_mov_b32_e32 v120, 0
	ds_load_b64 v[120:121], v120 offset:72
	s_waitcnt lgkmcnt(0)
	v_mul_f64 v[111:112], v[111:112], v[120:121]
	scratch_store_b64 off, v[111:112], off offset:72
.LBB54_448:
	s_or_b32 exec_lo, exec_lo, s2
	scratch_load_b64 v[111:112], off, off offset:64
	v_cmp_lt_u32_e64 s0, 8, v0
	s_waitcnt vmcnt(0)
	ds_store_b64 v114, v[111:112]
	s_waitcnt lgkmcnt(0)
	s_waitcnt_vscnt null, 0x0
	s_barrier
	buffer_gl0_inv
	s_and_saveexec_b32 s2, s0
	s_cbranch_execz .LBB54_458
; %bb.449:
	s_and_not1_b32 vcc_lo, exec_lo, s3
	s_cbranch_vccnz .LBB54_451
; %bb.450:
	scratch_load_b64 v[111:112], v115, off
	ds_load_b64 v[120:121], v114
	s_waitcnt vmcnt(0) lgkmcnt(0)
	v_mul_f64 v[111:112], v[111:112], v[120:121]
	s_cbranch_execz .LBB54_452
	s_branch .LBB54_453
.LBB54_451:
                                        ; implicit-def: $vgpr111_vgpr112
.LBB54_452:
	ds_load_b64 v[111:112], v114
.LBB54_453:
	s_and_saveexec_b32 s4, s1
	s_cbranch_execz .LBB54_457
; %bb.454:
	v_dual_mov_b32 v120, 0 :: v_dual_add_nc_u32 v121, -9, v0
	s_movk_i32 s5, 0x208
	s_mov_b32 s1, 0
	s_delay_alu instid0(VALU_DEP_1)
	v_add_nc_u32_e32 v120, 0x48, v120
.LBB54_455:                             ; =>This Inner Loop Header: Depth=1
	scratch_load_b64 v[122:123], v120, off
	v_dual_mov_b32 v124, s5 :: v_dual_add_nc_u32 v121, -1, v121
	v_add_nc_u32_e32 v120, 8, v120
	s_add_i32 s5, s5, 8
	ds_load_b64 v[124:125], v124
	v_cmp_eq_u32_e32 vcc_lo, 0, v121
	s_or_b32 s1, vcc_lo, s1
	s_waitcnt vmcnt(0) lgkmcnt(0)
	v_fma_f64 v[111:112], v[122:123], v[124:125], v[111:112]
	s_and_not1_b32 exec_lo, exec_lo, s1
	s_cbranch_execnz .LBB54_455
; %bb.456:
	s_or_b32 exec_lo, exec_lo, s1
.LBB54_457:
	s_delay_alu instid0(SALU_CYCLE_1)
	s_or_b32 exec_lo, exec_lo, s4
	v_mov_b32_e32 v120, 0
	ds_load_b64 v[120:121], v120 offset:64
	s_waitcnt lgkmcnt(0)
	v_mul_f64 v[111:112], v[111:112], v[120:121]
	scratch_store_b64 off, v[111:112], off offset:64
.LBB54_458:
	s_or_b32 exec_lo, exec_lo, s2
	scratch_load_b64 v[111:112], off, off offset:56
	v_cmp_lt_u32_e64 s1, 7, v0
	s_waitcnt vmcnt(0)
	ds_store_b64 v114, v[111:112]
	s_waitcnt lgkmcnt(0)
	s_waitcnt_vscnt null, 0x0
	s_barrier
	buffer_gl0_inv
	s_and_saveexec_b32 s2, s1
	s_cbranch_execz .LBB54_468
; %bb.459:
	s_and_not1_b32 vcc_lo, exec_lo, s3
	s_cbranch_vccnz .LBB54_461
; %bb.460:
	scratch_load_b64 v[111:112], v115, off
	ds_load_b64 v[120:121], v114
	s_waitcnt vmcnt(0) lgkmcnt(0)
	v_mul_f64 v[111:112], v[111:112], v[120:121]
	s_cbranch_execz .LBB54_462
	s_branch .LBB54_463
.LBB54_461:
                                        ; implicit-def: $vgpr111_vgpr112
.LBB54_462:
	ds_load_b64 v[111:112], v114
.LBB54_463:
	s_and_saveexec_b32 s4, s0
	s_cbranch_execz .LBB54_467
; %bb.464:
	v_add_nc_u32_e32 v120, -8, v0
	s_movk_i32 s5, 0x200
	s_mov_b32 s0, 0
.LBB54_465:                             ; =>This Inner Loop Header: Depth=1
	scratch_load_b64 v[121:122], v119, off
	v_dual_mov_b32 v123, s5 :: v_dual_add_nc_u32 v120, -1, v120
	v_add_nc_u32_e32 v119, 8, v119
	s_add_i32 s5, s5, 8
	ds_load_b64 v[123:124], v123
	v_cmp_eq_u32_e32 vcc_lo, 0, v120
	s_or_b32 s0, vcc_lo, s0
	s_waitcnt vmcnt(0) lgkmcnt(0)
	v_fma_f64 v[111:112], v[121:122], v[123:124], v[111:112]
	s_and_not1_b32 exec_lo, exec_lo, s0
	s_cbranch_execnz .LBB54_465
; %bb.466:
	s_or_b32 exec_lo, exec_lo, s0
.LBB54_467:
	s_delay_alu instid0(SALU_CYCLE_1)
	s_or_b32 exec_lo, exec_lo, s4
	v_mov_b32_e32 v119, 0
	ds_load_b64 v[119:120], v119 offset:56
	s_waitcnt lgkmcnt(0)
	v_mul_f64 v[111:112], v[111:112], v[119:120]
	scratch_store_b64 off, v[111:112], off offset:56
.LBB54_468:
	s_or_b32 exec_lo, exec_lo, s2
	scratch_load_b64 v[111:112], off, off offset:48
	v_cmp_lt_u32_e64 s0, 6, v0
	s_waitcnt vmcnt(0)
	ds_store_b64 v114, v[111:112]
	s_waitcnt lgkmcnt(0)
	s_waitcnt_vscnt null, 0x0
	s_barrier
	buffer_gl0_inv
	s_and_saveexec_b32 s2, s0
	s_cbranch_execz .LBB54_478
; %bb.469:
	s_and_not1_b32 vcc_lo, exec_lo, s3
	s_cbranch_vccnz .LBB54_471
; %bb.470:
	scratch_load_b64 v[111:112], v115, off
	ds_load_b64 v[119:120], v114
	s_waitcnt vmcnt(0) lgkmcnt(0)
	v_mul_f64 v[111:112], v[111:112], v[119:120]
	s_cbranch_execz .LBB54_472
	s_branch .LBB54_473
.LBB54_471:
                                        ; implicit-def: $vgpr111_vgpr112
.LBB54_472:
	ds_load_b64 v[111:112], v114
.LBB54_473:
	s_and_saveexec_b32 s4, s1
	s_cbranch_execz .LBB54_477
; %bb.474:
	v_add_nc_u32_e64 v119, 0, 56
	v_add_nc_u32_e32 v120, -7, v0
	s_movk_i32 s5, 0x1f8
	s_mov_b32 s1, 0
.LBB54_475:                             ; =>This Inner Loop Header: Depth=1
	scratch_load_b64 v[121:122], v119, off
	v_dual_mov_b32 v123, s5 :: v_dual_add_nc_u32 v120, -1, v120
	v_add_nc_u32_e32 v119, 8, v119
	s_add_i32 s5, s5, 8
	ds_load_b64 v[123:124], v123
	v_cmp_eq_u32_e32 vcc_lo, 0, v120
	s_or_b32 s1, vcc_lo, s1
	s_waitcnt vmcnt(0) lgkmcnt(0)
	v_fma_f64 v[111:112], v[121:122], v[123:124], v[111:112]
	s_and_not1_b32 exec_lo, exec_lo, s1
	s_cbranch_execnz .LBB54_475
; %bb.476:
	s_or_b32 exec_lo, exec_lo, s1
.LBB54_477:
	s_delay_alu instid0(SALU_CYCLE_1)
	s_or_b32 exec_lo, exec_lo, s4
	v_mov_b32_e32 v119, 0
	ds_load_b64 v[119:120], v119 offset:48
	s_waitcnt lgkmcnt(0)
	v_mul_f64 v[111:112], v[111:112], v[119:120]
	scratch_store_b64 off, v[111:112], off offset:48
.LBB54_478:
	s_or_b32 exec_lo, exec_lo, s2
	scratch_load_b64 v[111:112], off, off offset:40
	v_cmp_lt_u32_e64 s1, 5, v0
	s_waitcnt vmcnt(0)
	ds_store_b64 v114, v[111:112]
	s_waitcnt lgkmcnt(0)
	s_waitcnt_vscnt null, 0x0
	s_barrier
	buffer_gl0_inv
	s_and_saveexec_b32 s2, s1
	s_cbranch_execz .LBB54_488
; %bb.479:
	s_and_not1_b32 vcc_lo, exec_lo, s3
	s_cbranch_vccnz .LBB54_481
; %bb.480:
	scratch_load_b64 v[111:112], v115, off
	ds_load_b64 v[119:120], v114
	s_waitcnt vmcnt(0) lgkmcnt(0)
	v_mul_f64 v[111:112], v[111:112], v[119:120]
	s_cbranch_execz .LBB54_482
	s_branch .LBB54_483
.LBB54_481:
                                        ; implicit-def: $vgpr111_vgpr112
.LBB54_482:
	ds_load_b64 v[111:112], v114
.LBB54_483:
	s_and_saveexec_b32 s4, s0
	s_cbranch_execz .LBB54_487
; %bb.484:
	v_add_nc_u32_e32 v119, -6, v0
	s_movk_i32 s5, 0x1f0
	s_mov_b32 s0, 0
.LBB54_485:                             ; =>This Inner Loop Header: Depth=1
	scratch_load_b64 v[120:121], v118, off
	v_dual_mov_b32 v122, s5 :: v_dual_add_nc_u32 v119, -1, v119
	v_add_nc_u32_e32 v118, 8, v118
	s_add_i32 s5, s5, 8
	ds_load_b64 v[122:123], v122
	v_cmp_eq_u32_e32 vcc_lo, 0, v119
	s_or_b32 s0, vcc_lo, s0
	s_waitcnt vmcnt(0) lgkmcnt(0)
	v_fma_f64 v[111:112], v[120:121], v[122:123], v[111:112]
	s_and_not1_b32 exec_lo, exec_lo, s0
	s_cbranch_execnz .LBB54_485
; %bb.486:
	s_or_b32 exec_lo, exec_lo, s0
.LBB54_487:
	s_delay_alu instid0(SALU_CYCLE_1)
	s_or_b32 exec_lo, exec_lo, s4
	v_mov_b32_e32 v118, 0
	ds_load_b64 v[118:119], v118 offset:40
	s_waitcnt lgkmcnt(0)
	v_mul_f64 v[111:112], v[111:112], v[118:119]
	scratch_store_b64 off, v[111:112], off offset:40
.LBB54_488:
	s_or_b32 exec_lo, exec_lo, s2
	scratch_load_b64 v[111:112], off, off offset:32
	v_cmp_lt_u32_e64 s0, 4, v0
	s_waitcnt vmcnt(0)
	ds_store_b64 v114, v[111:112]
	s_waitcnt lgkmcnt(0)
	s_waitcnt_vscnt null, 0x0
	s_barrier
	buffer_gl0_inv
	s_and_saveexec_b32 s2, s0
	s_cbranch_execz .LBB54_498
; %bb.489:
	s_and_not1_b32 vcc_lo, exec_lo, s3
	s_cbranch_vccnz .LBB54_491
; %bb.490:
	scratch_load_b64 v[111:112], v115, off
	ds_load_b64 v[118:119], v114
	s_waitcnt vmcnt(0) lgkmcnt(0)
	v_mul_f64 v[111:112], v[111:112], v[118:119]
	s_cbranch_execz .LBB54_492
	s_branch .LBB54_493
.LBB54_491:
                                        ; implicit-def: $vgpr111_vgpr112
.LBB54_492:
	ds_load_b64 v[111:112], v114
.LBB54_493:
	s_and_saveexec_b32 s4, s1
	s_cbranch_execz .LBB54_497
; %bb.494:
	v_add_nc_u32_e64 v118, 0, 40
	v_add_nc_u32_e32 v119, -5, v0
	s_movk_i32 s5, 0x1e8
	s_mov_b32 s1, 0
.LBB54_495:                             ; =>This Inner Loop Header: Depth=1
	scratch_load_b64 v[120:121], v118, off
	v_dual_mov_b32 v122, s5 :: v_dual_add_nc_u32 v119, -1, v119
	v_add_nc_u32_e32 v118, 8, v118
	s_add_i32 s5, s5, 8
	ds_load_b64 v[122:123], v122
	v_cmp_eq_u32_e32 vcc_lo, 0, v119
	s_or_b32 s1, vcc_lo, s1
	s_waitcnt vmcnt(0) lgkmcnt(0)
	v_fma_f64 v[111:112], v[120:121], v[122:123], v[111:112]
	s_and_not1_b32 exec_lo, exec_lo, s1
	s_cbranch_execnz .LBB54_495
; %bb.496:
	s_or_b32 exec_lo, exec_lo, s1
.LBB54_497:
	s_delay_alu instid0(SALU_CYCLE_1)
	s_or_b32 exec_lo, exec_lo, s4
	v_mov_b32_e32 v118, 0
	ds_load_b64 v[118:119], v118 offset:32
	s_waitcnt lgkmcnt(0)
	v_mul_f64 v[111:112], v[111:112], v[118:119]
	scratch_store_b64 off, v[111:112], off offset:32
.LBB54_498:
	s_or_b32 exec_lo, exec_lo, s2
	scratch_load_b64 v[111:112], off, off offset:24
	v_cmp_lt_u32_e64 s1, 3, v0
	s_waitcnt vmcnt(0)
	ds_store_b64 v114, v[111:112]
	s_waitcnt lgkmcnt(0)
	s_waitcnt_vscnt null, 0x0
	s_barrier
	buffer_gl0_inv
	s_and_saveexec_b32 s2, s1
	s_cbranch_execz .LBB54_508
; %bb.499:
	s_and_not1_b32 vcc_lo, exec_lo, s3
	s_cbranch_vccnz .LBB54_501
; %bb.500:
	scratch_load_b64 v[111:112], v115, off
	ds_load_b64 v[118:119], v114
	s_waitcnt vmcnt(0) lgkmcnt(0)
	v_mul_f64 v[111:112], v[111:112], v[118:119]
	s_cbranch_execz .LBB54_502
	s_branch .LBB54_503
.LBB54_501:
                                        ; implicit-def: $vgpr111_vgpr112
.LBB54_502:
	ds_load_b64 v[111:112], v114
.LBB54_503:
	s_and_saveexec_b32 s4, s0
	s_cbranch_execz .LBB54_507
; %bb.504:
	v_add_nc_u32_e32 v118, -4, v0
	s_movk_i32 s5, 0x1e0
	s_mov_b32 s0, 0
.LBB54_505:                             ; =>This Inner Loop Header: Depth=1
	scratch_load_b64 v[119:120], v117, off
	v_dual_mov_b32 v121, s5 :: v_dual_add_nc_u32 v118, -1, v118
	v_add_nc_u32_e32 v117, 8, v117
	s_add_i32 s5, s5, 8
	ds_load_b64 v[121:122], v121
	v_cmp_eq_u32_e32 vcc_lo, 0, v118
	s_or_b32 s0, vcc_lo, s0
	s_waitcnt vmcnt(0) lgkmcnt(0)
	v_fma_f64 v[111:112], v[119:120], v[121:122], v[111:112]
	s_and_not1_b32 exec_lo, exec_lo, s0
	s_cbranch_execnz .LBB54_505
; %bb.506:
	s_or_b32 exec_lo, exec_lo, s0
.LBB54_507:
	s_delay_alu instid0(SALU_CYCLE_1)
	s_or_b32 exec_lo, exec_lo, s4
	v_mov_b32_e32 v117, 0
	ds_load_b64 v[117:118], v117 offset:24
	s_waitcnt lgkmcnt(0)
	v_mul_f64 v[111:112], v[111:112], v[117:118]
	scratch_store_b64 off, v[111:112], off offset:24
.LBB54_508:
	s_or_b32 exec_lo, exec_lo, s2
	scratch_load_b64 v[111:112], off, off offset:16
	v_cmp_lt_u32_e64 s0, 2, v0
	s_waitcnt vmcnt(0)
	ds_store_b64 v114, v[111:112]
	s_waitcnt lgkmcnt(0)
	s_waitcnt_vscnt null, 0x0
	s_barrier
	buffer_gl0_inv
	s_and_saveexec_b32 s2, s0
	s_cbranch_execz .LBB54_518
; %bb.509:
	s_and_not1_b32 vcc_lo, exec_lo, s3
	s_cbranch_vccnz .LBB54_511
; %bb.510:
	scratch_load_b64 v[111:112], v115, off
	ds_load_b64 v[117:118], v114
	s_waitcnt vmcnt(0) lgkmcnt(0)
	v_mul_f64 v[111:112], v[111:112], v[117:118]
	s_cbranch_execz .LBB54_512
	s_branch .LBB54_513
.LBB54_511:
                                        ; implicit-def: $vgpr111_vgpr112
.LBB54_512:
	ds_load_b64 v[111:112], v114
.LBB54_513:
	s_and_saveexec_b32 s4, s1
	s_cbranch_execz .LBB54_517
; %bb.514:
	v_add_nc_u32_e64 v117, 0, 24
	v_add_nc_u32_e32 v118, -3, v0
	s_movk_i32 s5, 0x1d8
	s_mov_b32 s1, 0
.LBB54_515:                             ; =>This Inner Loop Header: Depth=1
	scratch_load_b64 v[119:120], v117, off
	v_dual_mov_b32 v121, s5 :: v_dual_add_nc_u32 v118, -1, v118
	v_add_nc_u32_e32 v117, 8, v117
	s_add_i32 s5, s5, 8
	ds_load_b64 v[121:122], v121
	v_cmp_eq_u32_e32 vcc_lo, 0, v118
	s_or_b32 s1, vcc_lo, s1
	s_waitcnt vmcnt(0) lgkmcnt(0)
	v_fma_f64 v[111:112], v[119:120], v[121:122], v[111:112]
	s_and_not1_b32 exec_lo, exec_lo, s1
	s_cbranch_execnz .LBB54_515
; %bb.516:
	s_or_b32 exec_lo, exec_lo, s1
.LBB54_517:
	s_delay_alu instid0(SALU_CYCLE_1)
	s_or_b32 exec_lo, exec_lo, s4
	v_mov_b32_e32 v117, 0
	ds_load_b64 v[117:118], v117 offset:16
	s_waitcnt lgkmcnt(0)
	v_mul_f64 v[111:112], v[111:112], v[117:118]
	scratch_store_b64 off, v[111:112], off offset:16
.LBB54_518:
	s_or_b32 exec_lo, exec_lo, s2
	scratch_load_b64 v[111:112], off, off offset:8
	v_cmp_lt_u32_e64 s1, 1, v0
	s_waitcnt vmcnt(0)
	ds_store_b64 v114, v[111:112]
	s_waitcnt lgkmcnt(0)
	s_waitcnt_vscnt null, 0x0
	s_barrier
	buffer_gl0_inv
	s_and_saveexec_b32 s2, s1
	s_cbranch_execz .LBB54_528
; %bb.519:
	s_and_not1_b32 vcc_lo, exec_lo, s3
	s_cbranch_vccnz .LBB54_521
; %bb.520:
	scratch_load_b64 v[111:112], v115, off
	ds_load_b64 v[117:118], v114
	s_waitcnt vmcnt(0) lgkmcnt(0)
	v_mul_f64 v[111:112], v[111:112], v[117:118]
	s_cbranch_execz .LBB54_522
	s_branch .LBB54_523
.LBB54_521:
                                        ; implicit-def: $vgpr111_vgpr112
.LBB54_522:
	ds_load_b64 v[111:112], v114
.LBB54_523:
	s_and_saveexec_b32 s4, s0
	s_cbranch_execz .LBB54_527
; %bb.524:
	v_add_nc_u32_e32 v117, -2, v0
	s_movk_i32 s5, 0x1d0
	s_mov_b32 s0, 0
.LBB54_525:                             ; =>This Inner Loop Header: Depth=1
	scratch_load_b64 v[118:119], v116, off
	v_dual_mov_b32 v120, s5 :: v_dual_add_nc_u32 v117, -1, v117
	v_add_nc_u32_e32 v116, 8, v116
	s_add_i32 s5, s5, 8
	ds_load_b64 v[120:121], v120
	v_cmp_eq_u32_e32 vcc_lo, 0, v117
	s_or_b32 s0, vcc_lo, s0
	s_waitcnt vmcnt(0) lgkmcnt(0)
	v_fma_f64 v[111:112], v[118:119], v[120:121], v[111:112]
	s_and_not1_b32 exec_lo, exec_lo, s0
	s_cbranch_execnz .LBB54_525
; %bb.526:
	s_or_b32 exec_lo, exec_lo, s0
.LBB54_527:
	s_delay_alu instid0(SALU_CYCLE_1)
	s_or_b32 exec_lo, exec_lo, s4
	v_mov_b32_e32 v116, 0
	ds_load_b64 v[116:117], v116 offset:8
	s_waitcnt lgkmcnt(0)
	v_mul_f64 v[111:112], v[111:112], v[116:117]
	scratch_store_b64 off, v[111:112], off offset:8
.LBB54_528:
	s_or_b32 exec_lo, exec_lo, s2
	scratch_load_b64 v[111:112], off, off
	s_mov_b32 s0, 0
	s_mov_b32 s2, exec_lo
	s_waitcnt vmcnt(0)
	ds_store_b64 v114, v[111:112]
	s_waitcnt lgkmcnt(0)
	s_waitcnt_vscnt null, 0x0
	s_barrier
	buffer_gl0_inv
	v_cmpx_ne_u32_e32 0, v0
	s_cbranch_execz .LBB54_538
; %bb.529:
	s_and_not1_b32 vcc_lo, exec_lo, s3
	s_cbranch_vccnz .LBB54_531
; %bb.530:
	scratch_load_b64 v[111:112], v115, off
	ds_load_b64 v[116:117], v114
	s_waitcnt vmcnt(0) lgkmcnt(0)
	v_mul_f64 v[111:112], v[111:112], v[116:117]
	s_cbranch_execz .LBB54_532
	s_branch .LBB54_533
.LBB54_531:
                                        ; implicit-def: $vgpr111_vgpr112
.LBB54_532:
	ds_load_b64 v[111:112], v114
.LBB54_533:
	s_and_saveexec_b32 s4, s1
	s_cbranch_execz .LBB54_537
; %bb.534:
	v_or_b32_e64 v116, 0, 8
	v_add_nc_u32_e32 v117, -1, v0
	s_movk_i32 s5, 0x1c8
	s_mov_b32 s1, 0
.LBB54_535:                             ; =>This Inner Loop Header: Depth=1
	scratch_load_b64 v[118:119], v116, off
	v_dual_mov_b32 v120, s5 :: v_dual_add_nc_u32 v117, -1, v117
	v_add_nc_u32_e32 v116, 8, v116
	s_add_i32 s5, s5, 8
	ds_load_b64 v[120:121], v120
	v_cmp_eq_u32_e32 vcc_lo, 0, v117
	s_or_b32 s1, vcc_lo, s1
	s_waitcnt vmcnt(0) lgkmcnt(0)
	v_fma_f64 v[111:112], v[118:119], v[120:121], v[111:112]
	s_and_not1_b32 exec_lo, exec_lo, s1
	s_cbranch_execnz .LBB54_535
; %bb.536:
	s_or_b32 exec_lo, exec_lo, s1
.LBB54_537:
	s_delay_alu instid0(SALU_CYCLE_1)
	s_or_b32 exec_lo, exec_lo, s4
	v_mov_b32_e32 v116, 0
	ds_load_b64 v[116:117], v116
	s_waitcnt lgkmcnt(0)
	v_mul_f64 v[111:112], v[111:112], v[116:117]
	scratch_store_b64 off, v[111:112], off
.LBB54_538:
	s_or_b32 exec_lo, exec_lo, s2
.LBB54_539:
	s_delay_alu instid0(SALU_CYCLE_1)
	s_and_b32 vcc_lo, exec_lo, s0
	s_cbranch_vccz .LBB54_1075
; %bb.540:
	scratch_load_b64 v[111:112], off, off offset:8
	v_cmp_eq_u32_e64 s0, 0, v0
	s_waitcnt vmcnt(0)
	ds_store_b64 v114, v[111:112]
	s_waitcnt lgkmcnt(0)
	s_waitcnt_vscnt null, 0x0
	s_barrier
	buffer_gl0_inv
	s_and_saveexec_b32 s1, s0
	s_cbranch_execz .LBB54_546
; %bb.541:
	s_and_b32 vcc_lo, exec_lo, s3
	s_cbranch_vccz .LBB54_543
; %bb.542:
	scratch_load_b64 v[111:112], v115, off
	ds_load_b64 v[116:117], v114
	s_waitcnt vmcnt(0) lgkmcnt(0)
	v_mul_f64 v[111:112], v[111:112], v[116:117]
	s_cbranch_execz .LBB54_544
	s_branch .LBB54_545
.LBB54_543:
                                        ; implicit-def: $vgpr111_vgpr112
.LBB54_544:
	ds_load_b64 v[111:112], v114
.LBB54_545:
	v_mov_b32_e32 v116, 0
	ds_load_b64 v[116:117], v116 offset:8
	s_waitcnt lgkmcnt(0)
	v_mul_f64 v[111:112], v[111:112], v[116:117]
	scratch_store_b64 off, v[111:112], off offset:8
.LBB54_546:
	s_or_b32 exec_lo, exec_lo, s1
	scratch_load_b64 v[111:112], off, off offset:16
	v_cndmask_b32_e64 v116, 0, 1, s3
	s_mov_b32 s1, exec_lo
	s_waitcnt vmcnt(0)
	ds_store_b64 v114, v[111:112]
	s_waitcnt lgkmcnt(0)
	s_waitcnt_vscnt null, 0x0
	s_barrier
	buffer_gl0_inv
	v_cmpx_gt_u32_e32 2, v0
	s_cbranch_execz .LBB54_554
; %bb.547:
	s_and_not1_b32 vcc_lo, exec_lo, s3
	s_cbranch_vccnz .LBB54_549
; %bb.548:
	scratch_load_b64 v[111:112], v115, off
	ds_load_b64 v[117:118], v114
	s_waitcnt vmcnt(0) lgkmcnt(0)
	v_mul_f64 v[111:112], v[111:112], v[117:118]
	s_cbranch_execz .LBB54_550
	s_branch .LBB54_551
.LBB54_549:
                                        ; implicit-def: $vgpr111_vgpr112
.LBB54_550:
	ds_load_b64 v[111:112], v114
.LBB54_551:
	s_and_saveexec_b32 s2, s0
	s_cbranch_execz .LBB54_553
; %bb.552:
	scratch_load_b64 v[117:118], v115, off offset:8
	ds_load_b64 v[119:120], v114 offset:8
	s_waitcnt vmcnt(0) lgkmcnt(0)
	v_fma_f64 v[111:112], v[117:118], v[119:120], v[111:112]
.LBB54_553:
	s_or_b32 exec_lo, exec_lo, s2
	v_mov_b32_e32 v117, 0
	ds_load_b64 v[117:118], v117 offset:16
	s_waitcnt lgkmcnt(0)
	v_mul_f64 v[111:112], v[111:112], v[117:118]
	scratch_store_b64 off, v[111:112], off offset:16
.LBB54_554:
	s_or_b32 exec_lo, exec_lo, s1
	scratch_load_b64 v[111:112], off, off offset:24
	s_mov_b32 s1, exec_lo
	s_waitcnt vmcnt(0)
	ds_store_b64 v114, v[111:112]
	s_waitcnt lgkmcnt(0)
	s_waitcnt_vscnt null, 0x0
	s_barrier
	buffer_gl0_inv
	v_cmpx_gt_u32_e32 3, v0
	s_cbranch_execz .LBB54_564
; %bb.555:
	v_cmp_ne_u32_e32 vcc_lo, 1, v116
	s_cbranch_vccnz .LBB54_557
; %bb.556:
	scratch_load_b64 v[111:112], v115, off
	ds_load_b64 v[117:118], v114
	s_waitcnt vmcnt(0) lgkmcnt(0)
	v_mul_f64 v[111:112], v[111:112], v[117:118]
	s_cbranch_execz .LBB54_558
	s_branch .LBB54_559
.LBB54_557:
                                        ; implicit-def: $vgpr111_vgpr112
.LBB54_558:
	ds_load_b64 v[111:112], v114
.LBB54_559:
	s_mov_b32 s2, exec_lo
	v_cmpx_ne_u32_e32 2, v0
	s_cbranch_execz .LBB54_563
; %bb.560:
	scratch_load_b64 v[117:118], v115, off offset:8
	ds_load_b64 v[119:120], v114 offset:8
	s_waitcnt vmcnt(0) lgkmcnt(0)
	v_fma_f64 v[111:112], v[117:118], v[119:120], v[111:112]
	s_and_saveexec_b32 s3, s0
	s_cbranch_execz .LBB54_562
; %bb.561:
	scratch_load_b64 v[117:118], off, off offset:16
	v_mov_b32_e32 v119, 0
	ds_load_b64 v[119:120], v119 offset:464
	s_waitcnt vmcnt(0) lgkmcnt(0)
	v_fma_f64 v[111:112], v[117:118], v[119:120], v[111:112]
.LBB54_562:
	s_or_b32 exec_lo, exec_lo, s3
.LBB54_563:
	s_delay_alu instid0(SALU_CYCLE_1)
	s_or_b32 exec_lo, exec_lo, s2
	v_mov_b32_e32 v117, 0
	ds_load_b64 v[117:118], v117 offset:24
	s_waitcnt lgkmcnt(0)
	v_mul_f64 v[111:112], v[111:112], v[117:118]
	scratch_store_b64 off, v[111:112], off offset:24
.LBB54_564:
	s_or_b32 exec_lo, exec_lo, s1
	scratch_load_b64 v[111:112], off, off offset:32
	s_mov_b32 s0, exec_lo
	s_waitcnt vmcnt(0)
	ds_store_b64 v114, v[111:112]
	s_waitcnt lgkmcnt(0)
	s_waitcnt_vscnt null, 0x0
	s_barrier
	buffer_gl0_inv
	v_cmpx_gt_u32_e32 4, v0
	s_cbranch_execz .LBB54_574
; %bb.565:
	v_cmp_ne_u32_e32 vcc_lo, 1, v116
	s_cbranch_vccnz .LBB54_567
; %bb.566:
	scratch_load_b64 v[111:112], v115, off
	ds_load_b64 v[117:118], v114
	s_waitcnt vmcnt(0) lgkmcnt(0)
	v_mul_f64 v[111:112], v[111:112], v[117:118]
	s_cbranch_execz .LBB54_568
	s_branch .LBB54_569
.LBB54_567:
                                        ; implicit-def: $vgpr111_vgpr112
.LBB54_568:
	ds_load_b64 v[111:112], v114
.LBB54_569:
	s_mov_b32 s1, exec_lo
	v_cmpx_ne_u32_e32 3, v0
	s_cbranch_execz .LBB54_573
; %bb.570:
	v_add_nc_u32_e32 v117, 0x1c8, v113
	v_add3_u32 v118, 0, v113, 8
	v_mov_b32_e32 v119, v0
	s_mov_b32 s2, 0
.LBB54_571:                             ; =>This Inner Loop Header: Depth=1
	scratch_load_b64 v[120:121], v118, off
	ds_load_b64 v[122:123], v117
	v_add_nc_u32_e32 v119, 1, v119
	v_add_nc_u32_e32 v117, 8, v117
	v_add_nc_u32_e32 v118, 8, v118
	s_delay_alu instid0(VALU_DEP_3)
	v_cmp_lt_u32_e32 vcc_lo, 2, v119
	s_or_b32 s2, vcc_lo, s2
	s_waitcnt vmcnt(0) lgkmcnt(0)
	v_fma_f64 v[111:112], v[120:121], v[122:123], v[111:112]
	s_and_not1_b32 exec_lo, exec_lo, s2
	s_cbranch_execnz .LBB54_571
; %bb.572:
	s_or_b32 exec_lo, exec_lo, s2
.LBB54_573:
	s_delay_alu instid0(SALU_CYCLE_1)
	s_or_b32 exec_lo, exec_lo, s1
	v_mov_b32_e32 v117, 0
	ds_load_b64 v[117:118], v117 offset:32
	s_waitcnt lgkmcnt(0)
	v_mul_f64 v[111:112], v[111:112], v[117:118]
	scratch_store_b64 off, v[111:112], off offset:32
.LBB54_574:
	s_or_b32 exec_lo, exec_lo, s0
	scratch_load_b64 v[111:112], off, off offset:40
	s_mov_b32 s0, exec_lo
	s_waitcnt vmcnt(0)
	ds_store_b64 v114, v[111:112]
	s_waitcnt lgkmcnt(0)
	s_waitcnt_vscnt null, 0x0
	s_barrier
	buffer_gl0_inv
	v_cmpx_gt_u32_e32 5, v0
	s_cbranch_execz .LBB54_584
; %bb.575:
	v_cmp_ne_u32_e32 vcc_lo, 1, v116
	s_cbranch_vccnz .LBB54_577
; %bb.576:
	scratch_load_b64 v[111:112], v115, off
	ds_load_b64 v[117:118], v114
	s_waitcnt vmcnt(0) lgkmcnt(0)
	v_mul_f64 v[111:112], v[111:112], v[117:118]
	s_cbranch_execz .LBB54_578
	s_branch .LBB54_579
.LBB54_577:
                                        ; implicit-def: $vgpr111_vgpr112
.LBB54_578:
	ds_load_b64 v[111:112], v114
.LBB54_579:
	s_mov_b32 s1, exec_lo
	v_cmpx_ne_u32_e32 4, v0
	s_cbranch_execz .LBB54_583
; %bb.580:
	v_add_nc_u32_e32 v117, 0x1c8, v113
	v_add3_u32 v118, 0, v113, 8
	v_mov_b32_e32 v119, v0
	s_mov_b32 s2, 0
.LBB54_581:                             ; =>This Inner Loop Header: Depth=1
	scratch_load_b64 v[120:121], v118, off
	ds_load_b64 v[122:123], v117
	v_add_nc_u32_e32 v119, 1, v119
	v_add_nc_u32_e32 v117, 8, v117
	v_add_nc_u32_e32 v118, 8, v118
	s_delay_alu instid0(VALU_DEP_3)
	v_cmp_lt_u32_e32 vcc_lo, 3, v119
	s_or_b32 s2, vcc_lo, s2
	s_waitcnt vmcnt(0) lgkmcnt(0)
	v_fma_f64 v[111:112], v[120:121], v[122:123], v[111:112]
	s_and_not1_b32 exec_lo, exec_lo, s2
	s_cbranch_execnz .LBB54_581
; %bb.582:
	s_or_b32 exec_lo, exec_lo, s2
.LBB54_583:
	s_delay_alu instid0(SALU_CYCLE_1)
	s_or_b32 exec_lo, exec_lo, s1
	v_mov_b32_e32 v117, 0
	ds_load_b64 v[117:118], v117 offset:40
	s_waitcnt lgkmcnt(0)
	v_mul_f64 v[111:112], v[111:112], v[117:118]
	scratch_store_b64 off, v[111:112], off offset:40
.LBB54_584:
	;; [unrolled: 58-line block ×43, first 2 shown]
	s_or_b32 exec_lo, exec_lo, s0
	scratch_load_b64 v[111:112], off, off offset:376
	s_mov_b32 s0, exec_lo
	s_waitcnt vmcnt(0)
	ds_store_b64 v114, v[111:112]
	s_waitcnt lgkmcnt(0)
	s_waitcnt_vscnt null, 0x0
	s_barrier
	buffer_gl0_inv
	v_cmpx_gt_u32_e32 47, v0
	s_cbranch_execz .LBB54_1004
; %bb.995:
	v_cmp_ne_u32_e32 vcc_lo, 1, v116
	s_cbranch_vccnz .LBB54_997
; %bb.996:
	scratch_load_b64 v[111:112], v115, off
	ds_load_b64 v[117:118], v114
	s_waitcnt vmcnt(0) lgkmcnt(0)
	v_mul_f64 v[111:112], v[111:112], v[117:118]
	s_cbranch_execz .LBB54_998
	s_branch .LBB54_999
.LBB54_997:
                                        ; implicit-def: $vgpr111_vgpr112
.LBB54_998:
	ds_load_b64 v[111:112], v114
.LBB54_999:
	s_mov_b32 s1, exec_lo
	v_cmpx_ne_u32_e32 46, v0
	s_cbranch_execz .LBB54_1003
; %bb.1000:
	v_add_nc_u32_e32 v117, 0x1c8, v113
	v_add3_u32 v118, 0, v113, 8
	v_mov_b32_e32 v119, v0
	s_mov_b32 s2, 0
.LBB54_1001:                            ; =>This Inner Loop Header: Depth=1
	scratch_load_b64 v[120:121], v118, off
	ds_load_b64 v[122:123], v117
	v_add_nc_u32_e32 v119, 1, v119
	v_add_nc_u32_e32 v117, 8, v117
	v_add_nc_u32_e32 v118, 8, v118
	s_delay_alu instid0(VALU_DEP_3)
	v_cmp_lt_u32_e32 vcc_lo, 45, v119
	s_or_b32 s2, vcc_lo, s2
	s_waitcnt vmcnt(0) lgkmcnt(0)
	v_fma_f64 v[111:112], v[120:121], v[122:123], v[111:112]
	s_and_not1_b32 exec_lo, exec_lo, s2
	s_cbranch_execnz .LBB54_1001
; %bb.1002:
	s_or_b32 exec_lo, exec_lo, s2
.LBB54_1003:
	s_delay_alu instid0(SALU_CYCLE_1)
	s_or_b32 exec_lo, exec_lo, s1
	v_mov_b32_e32 v117, 0
	ds_load_b64 v[117:118], v117 offset:376
	s_waitcnt lgkmcnt(0)
	v_mul_f64 v[111:112], v[111:112], v[117:118]
	scratch_store_b64 off, v[111:112], off offset:376
.LBB54_1004:
	s_or_b32 exec_lo, exec_lo, s0
	scratch_load_b64 v[111:112], off, off offset:384
	s_mov_b32 s0, exec_lo
	s_waitcnt vmcnt(0)
	ds_store_b64 v114, v[111:112]
	s_waitcnt lgkmcnt(0)
	s_waitcnt_vscnt null, 0x0
	s_barrier
	buffer_gl0_inv
	v_cmpx_gt_u32_e32 48, v0
	s_cbranch_execz .LBB54_1014
; %bb.1005:
	v_cmp_ne_u32_e32 vcc_lo, 1, v116
	s_cbranch_vccnz .LBB54_1007
; %bb.1006:
	scratch_load_b64 v[111:112], v115, off
	ds_load_b64 v[117:118], v114
	s_waitcnt vmcnt(0) lgkmcnt(0)
	v_mul_f64 v[111:112], v[111:112], v[117:118]
	s_cbranch_execz .LBB54_1008
	s_branch .LBB54_1009
.LBB54_1007:
                                        ; implicit-def: $vgpr111_vgpr112
.LBB54_1008:
	ds_load_b64 v[111:112], v114
.LBB54_1009:
	s_mov_b32 s1, exec_lo
	v_cmpx_ne_u32_e32 47, v0
	s_cbranch_execz .LBB54_1013
; %bb.1010:
	v_add_nc_u32_e32 v117, 0x1c8, v113
	v_add3_u32 v118, 0, v113, 8
	v_mov_b32_e32 v119, v0
	s_mov_b32 s2, 0
.LBB54_1011:                            ; =>This Inner Loop Header: Depth=1
	scratch_load_b64 v[120:121], v118, off
	ds_load_b64 v[122:123], v117
	v_add_nc_u32_e32 v119, 1, v119
	v_add_nc_u32_e32 v117, 8, v117
	v_add_nc_u32_e32 v118, 8, v118
	s_delay_alu instid0(VALU_DEP_3)
	v_cmp_lt_u32_e32 vcc_lo, 46, v119
	s_or_b32 s2, vcc_lo, s2
	s_waitcnt vmcnt(0) lgkmcnt(0)
	v_fma_f64 v[111:112], v[120:121], v[122:123], v[111:112]
	s_and_not1_b32 exec_lo, exec_lo, s2
	s_cbranch_execnz .LBB54_1011
; %bb.1012:
	s_or_b32 exec_lo, exec_lo, s2
.LBB54_1013:
	s_delay_alu instid0(SALU_CYCLE_1)
	s_or_b32 exec_lo, exec_lo, s1
	v_mov_b32_e32 v117, 0
	ds_load_b64 v[117:118], v117 offset:384
	s_waitcnt lgkmcnt(0)
	v_mul_f64 v[111:112], v[111:112], v[117:118]
	scratch_store_b64 off, v[111:112], off offset:384
.LBB54_1014:
	;; [unrolled: 58-line block ×6, first 2 shown]
	s_or_b32 exec_lo, exec_lo, s0
	scratch_load_b64 v[111:112], off, off offset:424
	v_cmp_gt_u32_e64 s0, 53, v0
	s_waitcnt vmcnt(0)
	ds_store_b64 v114, v[111:112]
	s_waitcnt lgkmcnt(0)
	s_waitcnt_vscnt null, 0x0
	s_barrier
	buffer_gl0_inv
	s_and_saveexec_b32 s1, s0
	s_cbranch_execz .LBB54_1064
; %bb.1055:
	v_cmp_ne_u32_e32 vcc_lo, 1, v116
	s_cbranch_vccnz .LBB54_1057
; %bb.1056:
	scratch_load_b64 v[111:112], v115, off
	ds_load_b64 v[117:118], v114
	s_waitcnt vmcnt(0) lgkmcnt(0)
	v_mul_f64 v[111:112], v[111:112], v[117:118]
	s_cbranch_execz .LBB54_1058
	s_branch .LBB54_1059
.LBB54_1057:
                                        ; implicit-def: $vgpr111_vgpr112
.LBB54_1058:
	ds_load_b64 v[111:112], v114
.LBB54_1059:
	s_mov_b32 s2, exec_lo
	v_cmpx_ne_u32_e32 52, v0
	s_cbranch_execz .LBB54_1063
; %bb.1060:
	v_add_nc_u32_e32 v117, 0x1c8, v113
	v_add3_u32 v118, 0, v113, 8
	v_mov_b32_e32 v119, v0
	s_mov_b32 s3, 0
.LBB54_1061:                            ; =>This Inner Loop Header: Depth=1
	scratch_load_b64 v[120:121], v118, off
	ds_load_b64 v[122:123], v117
	v_add_nc_u32_e32 v119, 1, v119
	v_add_nc_u32_e32 v117, 8, v117
	;; [unrolled: 1-line block ×3, first 2 shown]
	s_delay_alu instid0(VALU_DEP_3)
	v_cmp_lt_u32_e32 vcc_lo, 51, v119
	s_or_b32 s3, vcc_lo, s3
	s_waitcnt vmcnt(0) lgkmcnt(0)
	v_fma_f64 v[111:112], v[120:121], v[122:123], v[111:112]
	s_and_not1_b32 exec_lo, exec_lo, s3
	s_cbranch_execnz .LBB54_1061
; %bb.1062:
	s_or_b32 exec_lo, exec_lo, s3
.LBB54_1063:
	s_delay_alu instid0(SALU_CYCLE_1)
	s_or_b32 exec_lo, exec_lo, s2
	v_mov_b32_e32 v117, 0
	ds_load_b64 v[117:118], v117 offset:424
	s_waitcnt lgkmcnt(0)
	v_mul_f64 v[111:112], v[111:112], v[117:118]
	scratch_store_b64 off, v[111:112], off offset:424
.LBB54_1064:
	s_or_b32 exec_lo, exec_lo, s1
	scratch_load_b64 v[111:112], off, off offset:432
	s_mov_b32 s1, exec_lo
	s_waitcnt vmcnt(0)
	ds_store_b64 v114, v[111:112]
	s_waitcnt lgkmcnt(0)
	s_waitcnt_vscnt null, 0x0
	s_barrier
	buffer_gl0_inv
	v_cmpx_ne_u32_e32 54, v0
	s_cbranch_execz .LBB54_1074
; %bb.1065:
	v_cmp_ne_u32_e32 vcc_lo, 1, v116
	s_cbranch_vccnz .LBB54_1067
; %bb.1066:
	scratch_load_b64 v[111:112], v115, off
	ds_load_b64 v[115:116], v114
	s_waitcnt vmcnt(0) lgkmcnt(0)
	v_mul_f64 v[111:112], v[111:112], v[115:116]
	s_cbranch_execz .LBB54_1068
	s_branch .LBB54_1069
.LBB54_1067:
                                        ; implicit-def: $vgpr111_vgpr112
.LBB54_1068:
	ds_load_b64 v[111:112], v114
.LBB54_1069:
	s_and_saveexec_b32 s2, s0
	s_cbranch_execz .LBB54_1073
; %bb.1070:
	v_add_nc_u32_e32 v114, 0x1c8, v113
	v_add3_u32 v113, 0, v113, 8
	s_mov_b32 s0, 0
.LBB54_1071:                            ; =>This Inner Loop Header: Depth=1
	scratch_load_b64 v[115:116], v113, off
	ds_load_b64 v[117:118], v114
	v_add_nc_u32_e32 v0, 1, v0
	v_add_nc_u32_e32 v114, 8, v114
	;; [unrolled: 1-line block ×3, first 2 shown]
	s_delay_alu instid0(VALU_DEP_3)
	v_cmp_lt_u32_e32 vcc_lo, 52, v0
	s_or_b32 s0, vcc_lo, s0
	s_waitcnt vmcnt(0) lgkmcnt(0)
	v_fma_f64 v[111:112], v[115:116], v[117:118], v[111:112]
	s_and_not1_b32 exec_lo, exec_lo, s0
	s_cbranch_execnz .LBB54_1071
; %bb.1072:
	s_or_b32 exec_lo, exec_lo, s0
.LBB54_1073:
	s_delay_alu instid0(SALU_CYCLE_1)
	s_or_b32 exec_lo, exec_lo, s2
	v_mov_b32_e32 v0, 0
	ds_load_b64 v[113:114], v0 offset:432
	s_waitcnt lgkmcnt(0)
	v_mul_f64 v[111:112], v[111:112], v[113:114]
	scratch_store_b64 off, v[111:112], off offset:432
.LBB54_1074:
	s_or_b32 exec_lo, exec_lo, s1
.LBB54_1075:
	s_clause 0xd
	scratch_load_b128 v[111:114], off, off
	scratch_load_b128 v[115:118], off, off offset:16
	scratch_load_b128 v[119:122], off, off offset:32
	;; [unrolled: 1-line block ×13, first 2 shown]
	s_waitcnt vmcnt(13)
	s_clause 0x1
	global_store_b64 v[15:16], v[111:112], off
	global_store_b64 v[13:14], v[113:114], off
	scratch_load_b128 v[13:16], off, off offset:224
	s_waitcnt vmcnt(13)
	s_clause 0x1
	global_store_b64 v[17:18], v[115:116], off
	global_store_b64 v[19:20], v[117:118], off
	s_waitcnt vmcnt(12)
	s_clause 0x1
	global_store_b64 v[21:22], v[119:120], off
	global_store_b64 v[23:24], v[121:122], off
	;; [unrolled: 4-line block ×6, first 2 shown]
	s_clause 0xc
	scratch_load_b128 v[111:114], off, off offset:240
	scratch_load_b128 v[17:20], off, off offset:256
	;; [unrolled: 1-line block ×12, first 2 shown]
	scratch_load_b64 v[135:136], off, off offset:432
	s_waitcnt vmcnt(20)
	s_clause 0x1
	global_store_b64 v[41:42], v[139:140], off
	global_store_b64 v[43:44], v[141:142], off
	s_waitcnt vmcnt(19)
	s_clause 0x1
	global_store_b64 v[45:46], v[143:144], off
	global_store_b64 v[47:48], v[145:146], off
	;; [unrolled: 4-line block ×20, first 2 shown]
	s_waitcnt vmcnt(0)
	global_store_b64 v[57:58], v[135:136], off
.LBB54_1076:
	s_endpgm
	.section	.rodata,"a",@progbits
	.p2align	6, 0x0
	.amdhsa_kernel _ZN9rocsolver6v33100L18trti2_kernel_smallILi55EdPdEEv13rocblas_fill_17rocblas_diagonal_T1_iil
		.amdhsa_group_segment_fixed_size 888
		.amdhsa_private_segment_fixed_size 448
		.amdhsa_kernarg_size 32
		.amdhsa_user_sgpr_count 15
		.amdhsa_user_sgpr_dispatch_ptr 0
		.amdhsa_user_sgpr_queue_ptr 0
		.amdhsa_user_sgpr_kernarg_segment_ptr 1
		.amdhsa_user_sgpr_dispatch_id 0
		.amdhsa_user_sgpr_private_segment_size 0
		.amdhsa_wavefront_size32 1
		.amdhsa_uses_dynamic_stack 0
		.amdhsa_enable_private_segment 1
		.amdhsa_system_sgpr_workgroup_id_x 1
		.amdhsa_system_sgpr_workgroup_id_y 0
		.amdhsa_system_sgpr_workgroup_id_z 0
		.amdhsa_system_sgpr_workgroup_info 0
		.amdhsa_system_vgpr_workitem_id 0
		.amdhsa_next_free_vgpr 188
		.amdhsa_next_free_sgpr 25
		.amdhsa_reserve_vcc 1
		.amdhsa_float_round_mode_32 0
		.amdhsa_float_round_mode_16_64 0
		.amdhsa_float_denorm_mode_32 3
		.amdhsa_float_denorm_mode_16_64 3
		.amdhsa_dx10_clamp 1
		.amdhsa_ieee_mode 1
		.amdhsa_fp16_overflow 0
		.amdhsa_workgroup_processor_mode 1
		.amdhsa_memory_ordered 1
		.amdhsa_forward_progress 0
		.amdhsa_shared_vgpr_count 0
		.amdhsa_exception_fp_ieee_invalid_op 0
		.amdhsa_exception_fp_denorm_src 0
		.amdhsa_exception_fp_ieee_div_zero 0
		.amdhsa_exception_fp_ieee_overflow 0
		.amdhsa_exception_fp_ieee_underflow 0
		.amdhsa_exception_fp_ieee_inexact 0
		.amdhsa_exception_int_div_zero 0
	.end_amdhsa_kernel
	.section	.text._ZN9rocsolver6v33100L18trti2_kernel_smallILi55EdPdEEv13rocblas_fill_17rocblas_diagonal_T1_iil,"axG",@progbits,_ZN9rocsolver6v33100L18trti2_kernel_smallILi55EdPdEEv13rocblas_fill_17rocblas_diagonal_T1_iil,comdat
.Lfunc_end54:
	.size	_ZN9rocsolver6v33100L18trti2_kernel_smallILi55EdPdEEv13rocblas_fill_17rocblas_diagonal_T1_iil, .Lfunc_end54-_ZN9rocsolver6v33100L18trti2_kernel_smallILi55EdPdEEv13rocblas_fill_17rocblas_diagonal_T1_iil
                                        ; -- End function
	.section	.AMDGPU.csdata,"",@progbits
; Kernel info:
; codeLenInByte = 30156
; NumSgprs: 27
; NumVgprs: 188
; ScratchSize: 448
; MemoryBound: 0
; FloatMode: 240
; IeeeMode: 1
; LDSByteSize: 888 bytes/workgroup (compile time only)
; SGPRBlocks: 3
; VGPRBlocks: 23
; NumSGPRsForWavesPerEU: 27
; NumVGPRsForWavesPerEU: 188
; Occupancy: 8
; WaveLimiterHint : 0
; COMPUTE_PGM_RSRC2:SCRATCH_EN: 1
; COMPUTE_PGM_RSRC2:USER_SGPR: 15
; COMPUTE_PGM_RSRC2:TRAP_HANDLER: 0
; COMPUTE_PGM_RSRC2:TGID_X_EN: 1
; COMPUTE_PGM_RSRC2:TGID_Y_EN: 0
; COMPUTE_PGM_RSRC2:TGID_Z_EN: 0
; COMPUTE_PGM_RSRC2:TIDIG_COMP_CNT: 0
	.section	.text._ZN9rocsolver6v33100L18trti2_kernel_smallILi56EdPdEEv13rocblas_fill_17rocblas_diagonal_T1_iil,"axG",@progbits,_ZN9rocsolver6v33100L18trti2_kernel_smallILi56EdPdEEv13rocblas_fill_17rocblas_diagonal_T1_iil,comdat
	.globl	_ZN9rocsolver6v33100L18trti2_kernel_smallILi56EdPdEEv13rocblas_fill_17rocblas_diagonal_T1_iil ; -- Begin function _ZN9rocsolver6v33100L18trti2_kernel_smallILi56EdPdEEv13rocblas_fill_17rocblas_diagonal_T1_iil
	.p2align	8
	.type	_ZN9rocsolver6v33100L18trti2_kernel_smallILi56EdPdEEv13rocblas_fill_17rocblas_diagonal_T1_iil,@function
_ZN9rocsolver6v33100L18trti2_kernel_smallILi56EdPdEEv13rocblas_fill_17rocblas_diagonal_T1_iil: ; @_ZN9rocsolver6v33100L18trti2_kernel_smallILi56EdPdEEv13rocblas_fill_17rocblas_diagonal_T1_iil
; %bb.0:
	s_mov_b32 s2, exec_lo
	v_cmpx_gt_u32_e32 56, v0
	s_cbranch_execz .LBB55_1096
; %bb.1:
	s_load_b256 s[0:7], s[0:1], 0x0
	s_ashr_i32 s10, s15, 31
	v_lshlrev_b32_e32 v115, 3, v0
	s_waitcnt lgkmcnt(0)
	v_add3_u32 v5, s5, s5, v0
	s_ashr_i32 s9, s4, 31
	s_mov_b32 s8, s4
	s_mul_i32 s4, s15, s7
	s_mul_hi_u32 s7, s15, s6
	s_mul_i32 s10, s10, s6
	s_add_i32 s4, s7, s4
	s_mul_i32 s6, s15, s6
	s_add_i32 s7, s4, s10
	v_add_nc_u32_e32 v7, s5, v5
	s_lshl_b64 s[6:7], s[6:7], 3
	v_ashrrev_i32_e32 v6, 31, v5
	s_add_u32 s4, s2, s6
	s_addc_u32 s6, s3, s7
	s_lshl_b64 s[2:3], s[8:9], 3
	v_add_nc_u32_e32 v9, s5, v7
	s_add_u32 s2, s4, s2
	s_addc_u32 s3, s6, s3
	v_add_co_u32 v23, s4, s2, v115
	v_ashrrev_i32_e32 v8, 31, v7
	s_mov_b32 s10, s5
	s_ashr_i32 s11, s5, 31
	v_add_nc_u32_e32 v11, s5, v9
	v_add_co_ci_u32_e64 v24, null, s3, 0, s4
	v_lshlrev_b64 v[5:6], 3, v[5:6]
	s_lshl_b64 s[6:7], s[10:11], 3
	v_lshlrev_b64 v[7:8], 3, v[7:8]
	v_add_co_u32 v21, vcc_lo, v23, s6
	v_ashrrev_i32_e32 v10, 31, v9
	v_add_nc_u32_e32 v13, s5, v11
	v_add_co_ci_u32_e32 v22, vcc_lo, s7, v24, vcc_lo
	v_add_co_u32 v27, vcc_lo, s2, v5
	v_ashrrev_i32_e32 v12, 31, v11
	v_add_co_ci_u32_e32 v28, vcc_lo, s3, v6, vcc_lo
	v_lshlrev_b64 v[5:6], 3, v[9:10]
	s_clause 0x1
	global_load_b64 v[1:2], v115, s[2:3]
	global_load_b64 v[3:4], v[21:22], off
	v_add_co_u32 v31, vcc_lo, s2, v7
	v_add_nc_u32_e32 v15, s5, v13
	v_add_co_ci_u32_e32 v32, vcc_lo, s3, v8, vcc_lo
	v_lshlrev_b64 v[7:8], 3, v[11:12]
	v_add_co_u32 v29, vcc_lo, s2, v5
	s_delay_alu instid0(VALU_DEP_4)
	v_add_nc_u32_e32 v17, s5, v15
	v_ashrrev_i32_e32 v14, 31, v13
	v_add_co_ci_u32_e32 v30, vcc_lo, s3, v6, vcc_lo
	v_add_co_u32 v25, vcc_lo, s2, v7
	v_ashrrev_i32_e32 v16, 31, v15
	v_add_co_ci_u32_e32 v26, vcc_lo, s3, v8, vcc_lo
	v_add_nc_u32_e32 v19, s5, v17
	v_lshlrev_b64 v[13:14], 3, v[13:14]
	s_clause 0x3
	global_load_b64 v[9:10], v[27:28], off
	global_load_b64 v[11:12], v[31:32], off
	;; [unrolled: 1-line block ×4, first 2 shown]
	v_ashrrev_i32_e32 v18, 31, v17
	v_lshlrev_b64 v[15:16], 3, v[15:16]
	v_ashrrev_i32_e32 v20, 31, v19
	v_add_nc_u32_e32 v41, s5, v19
	v_add_co_u32 v33, vcc_lo, s2, v13
	v_lshlrev_b64 v[17:18], 3, v[17:18]
	v_add_co_ci_u32_e32 v34, vcc_lo, s3, v14, vcc_lo
	v_add_co_u32 v35, vcc_lo, s2, v15
	v_lshlrev_b64 v[19:20], 3, v[19:20]
	v_add_co_ci_u32_e32 v36, vcc_lo, s3, v16, vcc_lo
	v_add_co_u32 v37, vcc_lo, s2, v17
	v_add_co_ci_u32_e32 v38, vcc_lo, s3, v18, vcc_lo
	s_delay_alu instid0(VALU_DEP_4)
	v_add_co_u32 v39, vcc_lo, s2, v19
	v_add_co_ci_u32_e32 v40, vcc_lo, s3, v20, vcc_lo
	s_clause 0x3
	global_load_b64 v[13:14], v[33:34], off
	global_load_b64 v[15:16], v[35:36], off
	;; [unrolled: 1-line block ×4, first 2 shown]
	v_add_nc_u32_e32 v62, s5, v41
	v_ashrrev_i32_e32 v42, 31, v41
	s_cmpk_lg_i32 s1, 0x84
	s_delay_alu instid0(VALU_DEP_2) | instskip(SKIP_1) | instid1(VALU_DEP_3)
	v_add_nc_u32_e32 v43, s5, v62
	v_ashrrev_i32_e32 v63, 31, v62
	v_lshlrev_b64 v[41:42], 3, v[41:42]
	s_delay_alu instid0(VALU_DEP_3) | instskip(SKIP_1) | instid1(VALU_DEP_4)
	v_add_nc_u32_e32 v45, s5, v43
	v_ashrrev_i32_e32 v44, 31, v43
	v_lshlrev_b64 v[62:63], 3, v[62:63]
	s_delay_alu instid0(VALU_DEP_4) | instskip(NEXT) | instid1(VALU_DEP_4)
	v_add_co_u32 v41, vcc_lo, s2, v41
	v_add_nc_u32_e32 v47, s5, v45
	s_delay_alu instid0(VALU_DEP_4) | instskip(SKIP_2) | instid1(VALU_DEP_4)
	v_lshlrev_b64 v[68:69], 3, v[43:44]
	v_ashrrev_i32_e32 v46, 31, v45
	v_add_co_ci_u32_e32 v42, vcc_lo, s3, v42, vcc_lo
	v_add_nc_u32_e32 v49, s5, v47
	v_add_co_u32 v43, vcc_lo, s2, v62
	v_ashrrev_i32_e32 v48, 31, v47
	v_add_co_ci_u32_e32 v44, vcc_lo, s3, v63, vcc_lo
	s_delay_alu instid0(VALU_DEP_4) | instskip(SKIP_3) | instid1(VALU_DEP_4)
	v_add_nc_u32_e32 v51, s5, v49
	v_lshlrev_b64 v[62:63], 3, v[45:46]
	v_add_co_u32 v45, vcc_lo, s2, v68
	v_add_co_ci_u32_e32 v46, vcc_lo, s3, v69, vcc_lo
	v_add_nc_u32_e32 v53, s5, v51
	v_lshlrev_b64 v[68:69], 3, v[47:48]
	v_ashrrev_i32_e32 v50, 31, v49
	v_add_co_u32 v47, vcc_lo, s2, v62
	s_delay_alu instid0(VALU_DEP_4) | instskip(SKIP_3) | instid1(VALU_DEP_4)
	v_add_nc_u32_e32 v55, s5, v53
	v_ashrrev_i32_e32 v52, 31, v51
	v_add_co_ci_u32_e32 v48, vcc_lo, s3, v63, vcc_lo
	v_lshlrev_b64 v[62:63], 3, v[49:50]
	v_add_nc_u32_e32 v57, s5, v55
	v_add_co_u32 v49, vcc_lo, s2, v68
	v_add_co_ci_u32_e32 v50, vcc_lo, s3, v69, vcc_lo
	s_delay_alu instid0(VALU_DEP_3) | instskip(SKIP_3) | instid1(VALU_DEP_4)
	v_add_nc_u32_e32 v59, s5, v57
	v_lshlrev_b64 v[68:69], 3, v[51:52]
	v_ashrrev_i32_e32 v54, 31, v53
	v_add_co_u32 v51, vcc_lo, s2, v62
	v_add_nc_u32_e32 v61, s5, v59
	v_ashrrev_i32_e32 v56, 31, v55
	v_add_co_ci_u32_e32 v52, vcc_lo, s3, v63, vcc_lo
	v_lshlrev_b64 v[62:63], 3, v[53:54]
	s_delay_alu instid0(VALU_DEP_4) | instskip(SKIP_2) | instid1(VALU_DEP_3)
	v_add_nc_u32_e32 v65, s5, v61
	v_add_co_u32 v53, vcc_lo, s2, v68
	v_add_co_ci_u32_e32 v54, vcc_lo, s3, v69, vcc_lo
	v_add_nc_u32_e32 v67, s5, v65
	v_lshlrev_b64 v[68:69], 3, v[55:56]
	v_ashrrev_i32_e32 v58, 31, v57
	v_add_co_u32 v55, vcc_lo, s2, v62
	s_delay_alu instid0(VALU_DEP_4)
	v_add_nc_u32_e32 v71, s5, v67
	v_ashrrev_i32_e32 v60, 31, v59
	s_clause 0x2
	global_load_b64 v[102:103], v[41:42], off
	global_load_b64 v[104:105], v[43:44], off
	;; [unrolled: 1-line block ×3, first 2 shown]
	v_add_co_ci_u32_e32 v56, vcc_lo, s3, v63, vcc_lo
	v_add_nc_u32_e32 v73, s5, v71
	v_lshlrev_b64 v[63:64], 3, v[57:58]
	v_add_co_u32 v57, vcc_lo, s2, v68
	v_add_co_ci_u32_e32 v58, vcc_lo, s3, v69, vcc_lo
	s_delay_alu instid0(VALU_DEP_4) | instskip(SKIP_3) | instid1(VALU_DEP_4)
	v_add_nc_u32_e32 v75, s5, v73
	v_lshlrev_b64 v[68:69], 3, v[59:60]
	v_add_co_u32 v59, vcc_lo, s2, v63
	v_ashrrev_i32_e32 v62, 31, v61
	v_add_nc_u32_e32 v77, s5, v75
	v_add_co_ci_u32_e32 v60, vcc_lo, s3, v64, vcc_lo
	v_add_co_u32 v63, vcc_lo, s2, v68
	s_delay_alu instid0(VALU_DEP_3) | instskip(SKIP_3) | instid1(VALU_DEP_4)
	v_add_nc_u32_e32 v79, s5, v77
	v_add_co_ci_u32_e32 v64, vcc_lo, s3, v69, vcc_lo
	v_ashrrev_i32_e32 v66, 31, v65
	v_lshlrev_b64 v[61:62], 3, v[61:62]
	v_add_nc_u32_e32 v81, s5, v79
	v_ashrrev_i32_e32 v68, 31, v67
	v_ashrrev_i32_e32 v72, 31, v71
	v_lshlrev_b64 v[126:127], 3, v[65:66]
	v_ashrrev_i32_e32 v74, 31, v73
	v_add_nc_u32_e32 v83, s5, v81
	v_add_co_u32 v65, vcc_lo, s2, v61
	v_add_co_ci_u32_e32 v66, vcc_lo, s3, v62, vcc_lo
	s_delay_alu instid0(VALU_DEP_3) | instskip(SKIP_3) | instid1(VALU_DEP_4)
	v_add_nc_u32_e32 v85, s5, v83
	v_lshlrev_b64 v[128:129], 3, v[67:68]
	v_add_co_u32 v67, vcc_lo, s2, v126
	v_add_co_ci_u32_e32 v68, vcc_lo, s3, v127, vcc_lo
	v_add_nc_u32_e32 v87, s5, v85
	s_clause 0x6
	global_load_b64 v[108:109], v[47:48], off
	global_load_b64 v[110:111], v[49:50], off
	global_load_b64 v[112:113], v[51:52], off
	global_load_b64 v[116:117], v[53:54], off
	global_load_b64 v[118:119], v[55:56], off
	global_load_b64 v[120:121], v[57:58], off
	global_load_b64 v[122:123], v[59:60], off
	v_ashrrev_i32_e32 v76, 31, v75
	v_ashrrev_i32_e32 v78, 31, v77
	v_add_nc_u32_e32 v89, s5, v87
	v_ashrrev_i32_e32 v80, 31, v79
	v_ashrrev_i32_e32 v82, 31, v81
	global_load_b64 v[124:125], v[63:64], off
	v_ashrrev_i32_e32 v84, 31, v83
	v_add_nc_u32_e32 v91, s5, v89
	v_ashrrev_i32_e32 v86, 31, v85
	v_ashrrev_i32_e32 v88, 31, v87
	;; [unrolled: 1-line block ×3, first 2 shown]
	s_delay_alu instid0(VALU_DEP_4) | instskip(SKIP_1) | instid1(VALU_DEP_2)
	v_add_nc_u32_e32 v93, s5, v91
	v_ashrrev_i32_e32 v92, 31, v91
	v_add_nc_u32_e32 v95, s5, v93
	v_ashrrev_i32_e32 v94, 31, v93
	s_delay_alu instid0(VALU_DEP_2) | instskip(SKIP_1) | instid1(VALU_DEP_2)
	v_add_nc_u32_e32 v97, s5, v95
	v_ashrrev_i32_e32 v96, 31, v95
	v_add_nc_u32_e32 v99, s5, v97
	v_ashrrev_i32_e32 v98, 31, v97
	s_delay_alu instid0(VALU_DEP_2) | instskip(SKIP_1) | instid1(VALU_DEP_2)
	v_add_nc_u32_e32 v101, s5, v99
	v_ashrrev_i32_e32 v100, 31, v99
	v_add_nc_u32_e32 v160, s5, v101
	s_delay_alu instid0(VALU_DEP_1) | instskip(SKIP_1) | instid1(VALU_DEP_2)
	v_add_nc_u32_e32 v162, s5, v160
	v_ashrrev_i32_e32 v161, 31, v160
	v_add_nc_u32_e32 v164, s5, v162
	v_ashrrev_i32_e32 v163, 31, v162
	s_delay_alu instid0(VALU_DEP_2) | instskip(SKIP_1) | instid1(VALU_DEP_2)
	v_add_nc_u32_e32 v166, s5, v164
	v_ashrrev_i32_e32 v165, 31, v164
	v_add_nc_u32_e32 v168, s5, v166
	v_ashrrev_i32_e32 v167, 31, v166
	s_delay_alu instid0(VALU_DEP_2) | instskip(SKIP_1) | instid1(VALU_DEP_2)
	;; [unrolled: 5-line block ×7, first 2 shown]
	v_add_nc_u32_e32 v69, s5, v188
	v_ashrrev_i32_e32 v189, 31, v188
	v_ashrrev_i32_e32 v70, 31, v69
	s_delay_alu instid0(VALU_DEP_1) | instskip(NEXT) | instid1(VALU_DEP_1)
	v_lshlrev_b64 v[61:62], 3, v[69:70]
	v_add_co_u32 v61, vcc_lo, s2, v61
	s_delay_alu instid0(VALU_DEP_2)
	v_add_co_ci_u32_e32 v62, vcc_lo, s3, v62, vcc_lo
	v_add_co_u32 v69, vcc_lo, s2, v128
	v_add_co_ci_u32_e32 v70, vcc_lo, s3, v129, vcc_lo
	global_load_b64 v[128:129], v[61:62], off
	s_waitcnt vmcnt(20)
	scratch_store_b128 off, v[1:4], off
	v_lshlrev_b64 v[1:2], 3, v[71:72]
	v_lshlrev_b64 v[3:4], 3, v[73:74]
	;; [unrolled: 1-line block ×4, first 2 shown]
	s_clause 0x2
	global_load_b64 v[126:127], v[65:66], off
	global_load_b64 v[130:131], v[67:68], off
	global_load_b64 v[132:133], v[69:70], off
	v_lshlrev_b64 v[75:76], 3, v[95:96]
	v_add_co_u32 v1, vcc_lo, s2, v1
	v_add_co_ci_u32_e32 v2, vcc_lo, s3, v2, vcc_lo
	v_add_co_u32 v3, vcc_lo, s2, v3
	v_add_co_ci_u32_e32 v4, vcc_lo, s3, v4, vcc_lo
	;; [unrolled: 2-line block ×3, first 2 shown]
	s_waitcnt vmcnt(21)
	scratch_store_b128 off, v[9:12], off offset:16
	s_waitcnt vmcnt(19)
	scratch_store_b128 off, v[5:8], off offset:32
	v_lshlrev_b64 v[5:6], 3, v[79:80]
	v_add_co_u32 v73, vcc_lo, s2, v73
	v_lshlrev_b64 v[7:8], 3, v[81:82]
	v_add_co_ci_u32_e32 v74, vcc_lo, s3, v74, vcc_lo
	s_delay_alu instid0(VALU_DEP_4)
	v_add_co_u32 v5, vcc_lo, s2, v5
	v_lshlrev_b64 v[9:10], 3, v[83:84]
	v_add_co_ci_u32_e32 v6, vcc_lo, s3, v6, vcc_lo
	v_add_co_u32 v7, vcc_lo, s2, v7
	v_lshlrev_b64 v[11:12], 3, v[85:86]
	v_add_co_ci_u32_e32 v8, vcc_lo, s3, v8, vcc_lo
	v_add_co_u32 v9, vcc_lo, s2, v9
	v_add_co_ci_u32_e32 v10, vcc_lo, s3, v10, vcc_lo
	s_delay_alu instid0(VALU_DEP_4)
	v_add_co_u32 v11, vcc_lo, s2, v11
	v_add_co_ci_u32_e32 v12, vcc_lo, s3, v12, vcc_lo
	s_clause 0x3
	global_load_b64 v[134:135], v[1:2], off
	global_load_b64 v[136:137], v[3:4], off
	;; [unrolled: 1-line block ×4, first 2 shown]
	s_waitcnt vmcnt(21)
	scratch_store_b128 off, v[13:16], off offset:48
	s_waitcnt vmcnt(19)
	scratch_store_b128 off, v[17:20], off offset:64
	s_clause 0x3
	global_load_b64 v[142:143], v[5:6], off
	global_load_b64 v[144:145], v[7:8], off
	;; [unrolled: 1-line block ×4, first 2 shown]
	v_lshlrev_b64 v[13:14], 3, v[87:88]
	v_lshlrev_b64 v[15:16], 3, v[89:90]
	;; [unrolled: 1-line block ×6, first 2 shown]
	v_add_co_u32 v13, vcc_lo, s2, v13
	v_add_co_ci_u32_e32 v14, vcc_lo, s3, v14, vcc_lo
	v_add_co_u32 v15, vcc_lo, s2, v15
	v_add_co_ci_u32_e32 v16, vcc_lo, s3, v16, vcc_lo
	;; [unrolled: 2-line block ×6, first 2 shown]
	v_add_co_u32 v79, vcc_lo, s2, v79
	v_lshlrev_b64 v[83:84], 3, v[160:161]
	v_add_co_ci_u32_e32 v80, vcc_lo, s3, v80, vcc_lo
	v_lshlrev_b64 v[85:86], 3, v[162:163]
	v_lshlrev_b64 v[87:88], 3, v[164:165]
	;; [unrolled: 1-line block ×8, first 2 shown]
	global_load_b64 v[150:151], v[13:14], off
	s_waitcnt vmcnt(22)
	scratch_store_b128 off, v[102:105], off offset:80
	v_ashrrev_i32_e32 v102, 31, v101
	v_lshlrev_b64 v[103:104], 3, v[180:181]
	s_waitcnt vmcnt(20)
	scratch_store_b128 off, v[106:109], off offset:96
	s_waitcnt vmcnt(18)
	scratch_store_b128 off, v[110:113], off offset:112
	v_lshlrev_b64 v[81:82], 3, v[101:102]
	v_lshlrev_b64 v[101:102], 3, v[178:179]
	;; [unrolled: 1-line block ×5, first 2 shown]
	s_clause 0x3
	global_load_b64 v[152:153], v[15:16], off
	global_load_b64 v[154:155], v[17:18], off
	;; [unrolled: 1-line block ×4, first 2 shown]
	v_add_co_u32 v81, vcc_lo, s2, v81
	v_add_co_ci_u32_e32 v82, vcc_lo, s3, v82, vcc_lo
	v_add_co_u32 v83, vcc_lo, s2, v83
	v_add_co_ci_u32_e32 v84, vcc_lo, s3, v84, vcc_lo
	;; [unrolled: 2-line block ×13, first 2 shown]
	v_lshlrev_b64 v[105:106], 3, v[186:187]
	v_add_co_u32 v109, vcc_lo, s2, v109
	v_add_co_ci_u32_e32 v110, vcc_lo, s3, v110, vcc_lo
	s_waitcnt vmcnt(20)
	scratch_store_b128 off, v[116:119], off offset:128
	s_waitcnt vmcnt(18)
	scratch_store_b128 off, v[120:123], off offset:144
	v_add_co_u32 v111, vcc_lo, s2, v105
	v_add_co_ci_u32_e32 v112, vcc_lo, s3, v106, vcc_lo
	v_add_co_u32 v105, vcc_lo, s2, v113
	s_clause 0x3
	global_load_b64 v[160:161], v[77:78], off
	global_load_b64 v[116:117], v[79:80], off
	;; [unrolled: 1-line block ×4, first 2 shown]
	v_add_co_ci_u32_e32 v106, vcc_lo, s3, v114, vcc_lo
	v_mov_b32_e32 v113, 0
	v_mov_b32_e32 v114, 0xbff00000
	s_cselect_b32 s2, -1, 0
	s_cmpk_eq_i32 s1, 0x84
	s_waitcnt vmcnt(19)
	scratch_store_b128 off, v[124:127], off offset:160
	s_waitcnt vmcnt(17)
	scratch_store_b128 off, v[130:133], off offset:176
	s_clause 0x3
	global_load_b64 v[122:123], v[85:86], off
	global_load_b64 v[130:131], v[87:88], off
	;; [unrolled: 1-line block ×4, first 2 shown]
	s_waitcnt vmcnt(19)
	scratch_store_b128 off, v[134:137], off offset:192
	s_waitcnt vmcnt(17)
	scratch_store_b128 off, v[138:141], off offset:208
	s_clause 0x3
	global_load_b64 v[164:165], v[93:94], off
	global_load_b64 v[134:135], v[95:96], off
	;; [unrolled: 1-line block ×4, first 2 shown]
	s_waitcnt vmcnt(19)
	scratch_store_b128 off, v[142:145], off offset:224
	s_clause 0x2
	global_load_b64 v[140:141], v[101:102], off
	global_load_b64 v[142:143], v[103:104], off
	;; [unrolled: 1-line block ×3, first 2 shown]
	s_waitcnt vmcnt(20)
	scratch_store_b128 off, v[146:149], off offset:240
	s_clause 0x2
	global_load_b64 v[146:147], v[109:110], off
	global_load_b64 v[148:149], v[111:112], off
	;; [unrolled: 1-line block ×3, first 2 shown]
	s_waitcnt vmcnt(21)
	scratch_store_b128 off, v[150:153], off offset:256
	s_waitcnt vmcnt(19)
	scratch_store_b128 off, v[154:157], off offset:272
	;; [unrolled: 2-line block ×12, first 2 shown]
	s_cbranch_scc1 .LBB55_3
; %bb.2:
	scratch_load_b64 v[113:114], v115, off
	s_waitcnt vmcnt(0)
	v_div_scale_f64 v[116:117], null, v[113:114], v[113:114], 1.0
	v_div_scale_f64 v[122:123], vcc_lo, 1.0, v[113:114], 1.0
	s_delay_alu instid0(VALU_DEP_2) | instskip(SKIP_2) | instid1(VALU_DEP_1)
	v_rcp_f64_e32 v[118:119], v[116:117]
	s_waitcnt_depctr 0xfff
	v_fma_f64 v[120:121], -v[116:117], v[118:119], 1.0
	v_fma_f64 v[118:119], v[118:119], v[120:121], v[118:119]
	s_delay_alu instid0(VALU_DEP_1) | instskip(NEXT) | instid1(VALU_DEP_1)
	v_fma_f64 v[120:121], -v[116:117], v[118:119], 1.0
	v_fma_f64 v[118:119], v[118:119], v[120:121], v[118:119]
	s_delay_alu instid0(VALU_DEP_1) | instskip(NEXT) | instid1(VALU_DEP_1)
	v_mul_f64 v[120:121], v[122:123], v[118:119]
	v_fma_f64 v[116:117], -v[116:117], v[120:121], v[122:123]
	s_delay_alu instid0(VALU_DEP_1) | instskip(NEXT) | instid1(VALU_DEP_1)
	v_div_fmas_f64 v[116:117], v[116:117], v[118:119], v[120:121]
	v_div_fixup_f64 v[113:114], v[116:117], v[113:114], 1.0
	scratch_store_b64 v115, v[113:114], off
	v_xor_b32_e32 v114, 0x80000000, v114
.LBB55_3:
	v_add_nc_u32_e32 v116, 0x1c0, v115
	v_add_nc_u32_e32 v117, 0, v115
	s_cmpk_eq_i32 s0, 0x79
	s_mov_b32 s0, -1
	ds_store_b64 v115, v[113:114]
	s_cbranch_scc1 .LBB55_549
; %bb.4:
	scratch_load_b64 v[113:114], off, off offset:432
	v_cmp_eq_u32_e64 s0, 55, v0
	s_movk_i32 s1, 0x50
	s_movk_i32 s3, 0x60
	;; [unrolled: 1-line block ×22, first 2 shown]
	s_waitcnt vmcnt(0)
	ds_store_b64 v116, v[113:114]
	s_waitcnt lgkmcnt(0)
	s_waitcnt_vscnt null, 0x0
	s_barrier
	buffer_gl0_inv
	s_and_saveexec_b32 s24, s0
	s_cbranch_execz .LBB55_10
; %bb.5:
	s_and_b32 vcc_lo, exec_lo, s2
	s_cbranch_vccz .LBB55_7
; %bb.6:
	scratch_load_b64 v[113:114], v117, off
	ds_load_b64 v[118:119], v116
	s_waitcnt vmcnt(0) lgkmcnt(0)
	v_mul_f64 v[113:114], v[113:114], v[118:119]
	s_cbranch_execz .LBB55_8
	s_branch .LBB55_9
.LBB55_7:
                                        ; implicit-def: $vgpr113_vgpr114
.LBB55_8:
	ds_load_b64 v[113:114], v116
.LBB55_9:
	v_mov_b32_e32 v118, 0
	ds_load_b64 v[118:119], v118 offset:432
	s_waitcnt lgkmcnt(0)
	v_mul_f64 v[113:114], v[113:114], v[118:119]
	scratch_store_b64 off, v[113:114], off offset:432
.LBB55_10:
	s_or_b32 exec_lo, exec_lo, s24
	scratch_load_b64 v[113:114], off, off offset:424
	v_add_nc_u32_e64 v118, 0, 16
	v_add_nc_u32_e64 v119, 0, 32
	v_add_nc_u32_e64 v120, 0, 48
	v_add_nc_u32_e64 v121, 0, 64
	v_add_nc_u32_e64 v122, s1, 0
	v_add_nc_u32_e64 v123, s3, 0
	v_add_nc_u32_e64 v124, s4, 0
	v_add_nc_u32_e64 v125, s5, 0
	v_add_nc_u32_e64 v126, s6, 0
	v_add_nc_u32_e64 v127, s7, 0
	v_add_nc_u32_e64 v128, s8, 0
	v_add_nc_u32_e64 v129, s9, 0
	v_add_nc_u32_e64 v130, s10, 0
	v_add_nc_u32_e64 v131, s11, 0
	v_add_nc_u32_e64 v132, s12, 0
	v_add_nc_u32_e64 v133, s13, 0
	v_add_nc_u32_e64 v134, s14, 0
	v_add_nc_u32_e64 v135, s15, 0
	v_add_nc_u32_e64 v136, s16, 0
	v_add_nc_u32_e64 v137, s17, 0
	v_add_nc_u32_e64 v138, s18, 0
	v_add_nc_u32_e64 v139, s19, 0
	v_add_nc_u32_e64 v140, s20, 0
	v_add_nc_u32_e64 v141, s21, 0
	v_add_nc_u32_e64 v142, s22, 0
	v_add_nc_u32_e64 v143, s23, 0
	v_cmp_lt_u32_e64 s1, 53, v0
	s_waitcnt vmcnt(0)
	ds_store_b64 v116, v[113:114]
	s_waitcnt lgkmcnt(0)
	s_waitcnt_vscnt null, 0x0
	s_barrier
	buffer_gl0_inv
	s_and_saveexec_b32 s3, s1
	s_cbranch_execz .LBB55_18
; %bb.11:
	s_and_not1_b32 vcc_lo, exec_lo, s2
	s_cbranch_vccnz .LBB55_13
; %bb.12:
	scratch_load_b64 v[113:114], v117, off
	ds_load_b64 v[144:145], v116
	s_waitcnt vmcnt(0) lgkmcnt(0)
	v_mul_f64 v[113:114], v[113:114], v[144:145]
	s_cbranch_execz .LBB55_14
	s_branch .LBB55_15
.LBB55_13:
                                        ; implicit-def: $vgpr113_vgpr114
.LBB55_14:
	ds_load_b64 v[113:114], v116
.LBB55_15:
	s_and_saveexec_b32 s4, s0
	s_cbranch_execz .LBB55_17
; %bb.16:
	scratch_load_b64 v[144:145], off, off offset:432
	v_mov_b32_e32 v146, 0
	ds_load_b64 v[146:147], v146 offset:880
	s_waitcnt vmcnt(0) lgkmcnt(0)
	v_fma_f64 v[113:114], v[144:145], v[146:147], v[113:114]
.LBB55_17:
	s_or_b32 exec_lo, exec_lo, s4
	v_mov_b32_e32 v144, 0
	ds_load_b64 v[144:145], v144 offset:424
	s_waitcnt lgkmcnt(0)
	v_mul_f64 v[113:114], v[113:114], v[144:145]
	scratch_store_b64 off, v[113:114], off offset:424
.LBB55_18:
	s_or_b32 exec_lo, exec_lo, s3
	scratch_load_b64 v[113:114], off, off offset:416
	v_cmp_lt_u32_e64 s0, 52, v0
	s_waitcnt vmcnt(0)
	ds_store_b64 v116, v[113:114]
	s_waitcnt lgkmcnt(0)
	s_waitcnt_vscnt null, 0x0
	s_barrier
	buffer_gl0_inv
	s_and_saveexec_b32 s3, s0
	s_cbranch_execz .LBB55_28
; %bb.19:
	s_and_not1_b32 vcc_lo, exec_lo, s2
	s_cbranch_vccnz .LBB55_21
; %bb.20:
	scratch_load_b64 v[113:114], v117, off
	ds_load_b64 v[144:145], v116
	s_waitcnt vmcnt(0) lgkmcnt(0)
	v_mul_f64 v[113:114], v[113:114], v[144:145]
	s_cbranch_execz .LBB55_22
	s_branch .LBB55_23
.LBB55_21:
                                        ; implicit-def: $vgpr113_vgpr114
.LBB55_22:
	ds_load_b64 v[113:114], v116
.LBB55_23:
	s_and_saveexec_b32 s4, s1
	s_cbranch_execz .LBB55_27
; %bb.24:
	v_mov_b32_e32 v144, 0
	v_subrev_nc_u32_e32 v145, 53, v0
	s_movk_i32 s5, 0x368
	s_mov_b32 s1, 0
	s_delay_alu instid0(VALU_DEP_2)
	v_add_nc_u32_e32 v144, 0x1a8, v144
.LBB55_25:                              ; =>This Inner Loop Header: Depth=1
	scratch_load_b64 v[146:147], v144, off
	v_dual_mov_b32 v148, s5 :: v_dual_add_nc_u32 v145, -1, v145
	v_add_nc_u32_e32 v144, 8, v144
	s_add_i32 s5, s5, 8
	ds_load_b64 v[148:149], v148
	v_cmp_eq_u32_e32 vcc_lo, 0, v145
	s_or_b32 s1, vcc_lo, s1
	s_waitcnt vmcnt(0) lgkmcnt(0)
	v_fma_f64 v[113:114], v[146:147], v[148:149], v[113:114]
	s_and_not1_b32 exec_lo, exec_lo, s1
	s_cbranch_execnz .LBB55_25
; %bb.26:
	s_or_b32 exec_lo, exec_lo, s1
.LBB55_27:
	s_delay_alu instid0(SALU_CYCLE_1)
	s_or_b32 exec_lo, exec_lo, s4
	v_mov_b32_e32 v144, 0
	ds_load_b64 v[144:145], v144 offset:416
	s_waitcnt lgkmcnt(0)
	v_mul_f64 v[113:114], v[113:114], v[144:145]
	scratch_store_b64 off, v[113:114], off offset:416
.LBB55_28:
	s_or_b32 exec_lo, exec_lo, s3
	scratch_load_b64 v[113:114], off, off offset:408
	v_cmp_lt_u32_e64 s1, 51, v0
	s_waitcnt vmcnt(0)
	ds_store_b64 v116, v[113:114]
	s_waitcnt lgkmcnt(0)
	s_waitcnt_vscnt null, 0x0
	s_barrier
	buffer_gl0_inv
	s_and_saveexec_b32 s3, s1
	s_cbranch_execz .LBB55_38
; %bb.29:
	s_and_not1_b32 vcc_lo, exec_lo, s2
	s_cbranch_vccnz .LBB55_31
; %bb.30:
	scratch_load_b64 v[113:114], v117, off
	ds_load_b64 v[144:145], v116
	s_waitcnt vmcnt(0) lgkmcnt(0)
	v_mul_f64 v[113:114], v[113:114], v[144:145]
	s_cbranch_execz .LBB55_32
	s_branch .LBB55_33
.LBB55_31:
                                        ; implicit-def: $vgpr113_vgpr114
.LBB55_32:
	ds_load_b64 v[113:114], v116
.LBB55_33:
	s_and_saveexec_b32 s4, s0
	s_cbranch_execz .LBB55_37
; %bb.34:
	v_subrev_nc_u32_e32 v144, 52, v0
	s_movk_i32 s5, 0x360
	s_mov_b32 s0, 0
.LBB55_35:                              ; =>This Inner Loop Header: Depth=1
	scratch_load_b64 v[145:146], v143, off
	v_dual_mov_b32 v147, s5 :: v_dual_add_nc_u32 v144, -1, v144
	v_add_nc_u32_e32 v143, 8, v143
	s_add_i32 s5, s5, 8
	ds_load_b64 v[147:148], v147
	v_cmp_eq_u32_e32 vcc_lo, 0, v144
	s_or_b32 s0, vcc_lo, s0
	s_waitcnt vmcnt(0) lgkmcnt(0)
	v_fma_f64 v[113:114], v[145:146], v[147:148], v[113:114]
	s_and_not1_b32 exec_lo, exec_lo, s0
	s_cbranch_execnz .LBB55_35
; %bb.36:
	s_or_b32 exec_lo, exec_lo, s0
.LBB55_37:
	s_delay_alu instid0(SALU_CYCLE_1)
	s_or_b32 exec_lo, exec_lo, s4
	v_mov_b32_e32 v143, 0
	ds_load_b64 v[143:144], v143 offset:408
	s_waitcnt lgkmcnt(0)
	v_mul_f64 v[113:114], v[113:114], v[143:144]
	scratch_store_b64 off, v[113:114], off offset:408
.LBB55_38:
	s_or_b32 exec_lo, exec_lo, s3
	scratch_load_b64 v[113:114], off, off offset:400
	v_cmp_lt_u32_e64 s0, 50, v0
	s_waitcnt vmcnt(0)
	ds_store_b64 v116, v[113:114]
	s_waitcnt lgkmcnt(0)
	s_waitcnt_vscnt null, 0x0
	s_barrier
	buffer_gl0_inv
	s_and_saveexec_b32 s3, s0
	s_cbranch_execz .LBB55_48
; %bb.39:
	s_and_not1_b32 vcc_lo, exec_lo, s2
	s_cbranch_vccnz .LBB55_41
; %bb.40:
	scratch_load_b64 v[113:114], v117, off
	ds_load_b64 v[143:144], v116
	s_waitcnt vmcnt(0) lgkmcnt(0)
	v_mul_f64 v[113:114], v[113:114], v[143:144]
	s_cbranch_execz .LBB55_42
	s_branch .LBB55_43
.LBB55_41:
                                        ; implicit-def: $vgpr113_vgpr114
.LBB55_42:
	ds_load_b64 v[113:114], v116
.LBB55_43:
	s_and_saveexec_b32 s4, s1
	s_cbranch_execz .LBB55_47
; %bb.44:
	v_mov_b32_e32 v143, 0
	v_subrev_nc_u32_e32 v144, 51, v0
	s_movk_i32 s5, 0x358
	s_mov_b32 s1, 0
	s_delay_alu instid0(VALU_DEP_2)
	v_add_nc_u32_e32 v143, 0x198, v143
.LBB55_45:                              ; =>This Inner Loop Header: Depth=1
	scratch_load_b64 v[145:146], v143, off
	v_dual_mov_b32 v147, s5 :: v_dual_add_nc_u32 v144, -1, v144
	v_add_nc_u32_e32 v143, 8, v143
	s_add_i32 s5, s5, 8
	ds_load_b64 v[147:148], v147
	v_cmp_eq_u32_e32 vcc_lo, 0, v144
	s_or_b32 s1, vcc_lo, s1
	s_waitcnt vmcnt(0) lgkmcnt(0)
	v_fma_f64 v[113:114], v[145:146], v[147:148], v[113:114]
	s_and_not1_b32 exec_lo, exec_lo, s1
	s_cbranch_execnz .LBB55_45
; %bb.46:
	s_or_b32 exec_lo, exec_lo, s1
.LBB55_47:
	s_delay_alu instid0(SALU_CYCLE_1)
	s_or_b32 exec_lo, exec_lo, s4
	v_mov_b32_e32 v143, 0
	ds_load_b64 v[143:144], v143 offset:400
	s_waitcnt lgkmcnt(0)
	v_mul_f64 v[113:114], v[113:114], v[143:144]
	scratch_store_b64 off, v[113:114], off offset:400
.LBB55_48:
	s_or_b32 exec_lo, exec_lo, s3
	scratch_load_b64 v[113:114], off, off offset:392
	v_cmp_lt_u32_e64 s1, 49, v0
	s_waitcnt vmcnt(0)
	ds_store_b64 v116, v[113:114]
	s_waitcnt lgkmcnt(0)
	s_waitcnt_vscnt null, 0x0
	s_barrier
	buffer_gl0_inv
	s_and_saveexec_b32 s3, s1
	s_cbranch_execz .LBB55_58
; %bb.49:
	s_and_not1_b32 vcc_lo, exec_lo, s2
	s_cbranch_vccnz .LBB55_51
; %bb.50:
	scratch_load_b64 v[113:114], v117, off
	ds_load_b64 v[143:144], v116
	s_waitcnt vmcnt(0) lgkmcnt(0)
	v_mul_f64 v[113:114], v[113:114], v[143:144]
	s_cbranch_execz .LBB55_52
	s_branch .LBB55_53
.LBB55_51:
                                        ; implicit-def: $vgpr113_vgpr114
.LBB55_52:
	ds_load_b64 v[113:114], v116
.LBB55_53:
	s_and_saveexec_b32 s4, s0
	s_cbranch_execz .LBB55_57
; %bb.54:
	v_subrev_nc_u32_e32 v143, 50, v0
	s_movk_i32 s5, 0x350
	s_mov_b32 s0, 0
.LBB55_55:                              ; =>This Inner Loop Header: Depth=1
	scratch_load_b64 v[144:145], v142, off
	v_dual_mov_b32 v146, s5 :: v_dual_add_nc_u32 v143, -1, v143
	v_add_nc_u32_e32 v142, 8, v142
	s_add_i32 s5, s5, 8
	ds_load_b64 v[146:147], v146
	v_cmp_eq_u32_e32 vcc_lo, 0, v143
	s_or_b32 s0, vcc_lo, s0
	s_waitcnt vmcnt(0) lgkmcnt(0)
	v_fma_f64 v[113:114], v[144:145], v[146:147], v[113:114]
	s_and_not1_b32 exec_lo, exec_lo, s0
	s_cbranch_execnz .LBB55_55
; %bb.56:
	s_or_b32 exec_lo, exec_lo, s0
.LBB55_57:
	s_delay_alu instid0(SALU_CYCLE_1)
	s_or_b32 exec_lo, exec_lo, s4
	v_mov_b32_e32 v142, 0
	ds_load_b64 v[142:143], v142 offset:392
	s_waitcnt lgkmcnt(0)
	v_mul_f64 v[113:114], v[113:114], v[142:143]
	scratch_store_b64 off, v[113:114], off offset:392
.LBB55_58:
	s_or_b32 exec_lo, exec_lo, s3
	scratch_load_b64 v[113:114], off, off offset:384
	v_cmp_lt_u32_e64 s0, 48, v0
	s_waitcnt vmcnt(0)
	ds_store_b64 v116, v[113:114]
	s_waitcnt lgkmcnt(0)
	s_waitcnt_vscnt null, 0x0
	s_barrier
	buffer_gl0_inv
	s_and_saveexec_b32 s3, s0
	s_cbranch_execz .LBB55_68
; %bb.59:
	s_and_not1_b32 vcc_lo, exec_lo, s2
	s_cbranch_vccnz .LBB55_61
; %bb.60:
	scratch_load_b64 v[113:114], v117, off
	ds_load_b64 v[142:143], v116
	s_waitcnt vmcnt(0) lgkmcnt(0)
	v_mul_f64 v[113:114], v[113:114], v[142:143]
	s_cbranch_execz .LBB55_62
	s_branch .LBB55_63
.LBB55_61:
                                        ; implicit-def: $vgpr113_vgpr114
.LBB55_62:
	ds_load_b64 v[113:114], v116
.LBB55_63:
	s_and_saveexec_b32 s4, s1
	s_cbranch_execz .LBB55_67
; %bb.64:
	v_mov_b32_e32 v142, 0
	v_subrev_nc_u32_e32 v143, 49, v0
	s_movk_i32 s5, 0x348
	s_mov_b32 s1, 0
	s_delay_alu instid0(VALU_DEP_2)
	v_add_nc_u32_e32 v142, 0x188, v142
.LBB55_65:                              ; =>This Inner Loop Header: Depth=1
	scratch_load_b64 v[144:145], v142, off
	v_dual_mov_b32 v146, s5 :: v_dual_add_nc_u32 v143, -1, v143
	v_add_nc_u32_e32 v142, 8, v142
	s_add_i32 s5, s5, 8
	ds_load_b64 v[146:147], v146
	v_cmp_eq_u32_e32 vcc_lo, 0, v143
	s_or_b32 s1, vcc_lo, s1
	s_waitcnt vmcnt(0) lgkmcnt(0)
	v_fma_f64 v[113:114], v[144:145], v[146:147], v[113:114]
	s_and_not1_b32 exec_lo, exec_lo, s1
	s_cbranch_execnz .LBB55_65
; %bb.66:
	s_or_b32 exec_lo, exec_lo, s1
.LBB55_67:
	s_delay_alu instid0(SALU_CYCLE_1)
	s_or_b32 exec_lo, exec_lo, s4
	v_mov_b32_e32 v142, 0
	ds_load_b64 v[142:143], v142 offset:384
	s_waitcnt lgkmcnt(0)
	v_mul_f64 v[113:114], v[113:114], v[142:143]
	scratch_store_b64 off, v[113:114], off offset:384
.LBB55_68:
	s_or_b32 exec_lo, exec_lo, s3
	scratch_load_b64 v[113:114], off, off offset:376
	v_cmp_lt_u32_e64 s1, 47, v0
	s_waitcnt vmcnt(0)
	ds_store_b64 v116, v[113:114]
	s_waitcnt lgkmcnt(0)
	s_waitcnt_vscnt null, 0x0
	s_barrier
	buffer_gl0_inv
	s_and_saveexec_b32 s3, s1
	s_cbranch_execz .LBB55_78
; %bb.69:
	s_and_not1_b32 vcc_lo, exec_lo, s2
	s_cbranch_vccnz .LBB55_71
; %bb.70:
	scratch_load_b64 v[113:114], v117, off
	ds_load_b64 v[142:143], v116
	s_waitcnt vmcnt(0) lgkmcnt(0)
	v_mul_f64 v[113:114], v[113:114], v[142:143]
	s_cbranch_execz .LBB55_72
	s_branch .LBB55_73
.LBB55_71:
                                        ; implicit-def: $vgpr113_vgpr114
.LBB55_72:
	ds_load_b64 v[113:114], v116
.LBB55_73:
	s_and_saveexec_b32 s4, s0
	s_cbranch_execz .LBB55_77
; %bb.74:
	v_subrev_nc_u32_e32 v142, 48, v0
	s_movk_i32 s5, 0x340
	s_mov_b32 s0, 0
.LBB55_75:                              ; =>This Inner Loop Header: Depth=1
	scratch_load_b64 v[143:144], v141, off
	v_dual_mov_b32 v145, s5 :: v_dual_add_nc_u32 v142, -1, v142
	v_add_nc_u32_e32 v141, 8, v141
	s_add_i32 s5, s5, 8
	ds_load_b64 v[145:146], v145
	v_cmp_eq_u32_e32 vcc_lo, 0, v142
	s_or_b32 s0, vcc_lo, s0
	s_waitcnt vmcnt(0) lgkmcnt(0)
	v_fma_f64 v[113:114], v[143:144], v[145:146], v[113:114]
	s_and_not1_b32 exec_lo, exec_lo, s0
	s_cbranch_execnz .LBB55_75
; %bb.76:
	s_or_b32 exec_lo, exec_lo, s0
.LBB55_77:
	s_delay_alu instid0(SALU_CYCLE_1)
	s_or_b32 exec_lo, exec_lo, s4
	v_mov_b32_e32 v141, 0
	ds_load_b64 v[141:142], v141 offset:376
	s_waitcnt lgkmcnt(0)
	v_mul_f64 v[113:114], v[113:114], v[141:142]
	scratch_store_b64 off, v[113:114], off offset:376
.LBB55_78:
	s_or_b32 exec_lo, exec_lo, s3
	scratch_load_b64 v[113:114], off, off offset:368
	v_cmp_lt_u32_e64 s0, 46, v0
	s_waitcnt vmcnt(0)
	ds_store_b64 v116, v[113:114]
	s_waitcnt lgkmcnt(0)
	s_waitcnt_vscnt null, 0x0
	s_barrier
	buffer_gl0_inv
	s_and_saveexec_b32 s3, s0
	s_cbranch_execz .LBB55_88
; %bb.79:
	s_and_not1_b32 vcc_lo, exec_lo, s2
	s_cbranch_vccnz .LBB55_81
; %bb.80:
	scratch_load_b64 v[113:114], v117, off
	ds_load_b64 v[141:142], v116
	s_waitcnt vmcnt(0) lgkmcnt(0)
	v_mul_f64 v[113:114], v[113:114], v[141:142]
	s_cbranch_execz .LBB55_82
	s_branch .LBB55_83
.LBB55_81:
                                        ; implicit-def: $vgpr113_vgpr114
.LBB55_82:
	ds_load_b64 v[113:114], v116
.LBB55_83:
	s_and_saveexec_b32 s4, s1
	s_cbranch_execz .LBB55_87
; %bb.84:
	v_mov_b32_e32 v141, 0
	v_subrev_nc_u32_e32 v142, 47, v0
	s_movk_i32 s5, 0x338
	s_mov_b32 s1, 0
	s_delay_alu instid0(VALU_DEP_2)
	v_add_nc_u32_e32 v141, 0x178, v141
.LBB55_85:                              ; =>This Inner Loop Header: Depth=1
	scratch_load_b64 v[143:144], v141, off
	v_dual_mov_b32 v145, s5 :: v_dual_add_nc_u32 v142, -1, v142
	v_add_nc_u32_e32 v141, 8, v141
	s_add_i32 s5, s5, 8
	ds_load_b64 v[145:146], v145
	v_cmp_eq_u32_e32 vcc_lo, 0, v142
	s_or_b32 s1, vcc_lo, s1
	s_waitcnt vmcnt(0) lgkmcnt(0)
	v_fma_f64 v[113:114], v[143:144], v[145:146], v[113:114]
	s_and_not1_b32 exec_lo, exec_lo, s1
	s_cbranch_execnz .LBB55_85
; %bb.86:
	s_or_b32 exec_lo, exec_lo, s1
.LBB55_87:
	s_delay_alu instid0(SALU_CYCLE_1)
	s_or_b32 exec_lo, exec_lo, s4
	v_mov_b32_e32 v141, 0
	ds_load_b64 v[141:142], v141 offset:368
	s_waitcnt lgkmcnt(0)
	v_mul_f64 v[113:114], v[113:114], v[141:142]
	scratch_store_b64 off, v[113:114], off offset:368
.LBB55_88:
	s_or_b32 exec_lo, exec_lo, s3
	scratch_load_b64 v[113:114], off, off offset:360
	v_cmp_lt_u32_e64 s1, 45, v0
	s_waitcnt vmcnt(0)
	ds_store_b64 v116, v[113:114]
	s_waitcnt lgkmcnt(0)
	s_waitcnt_vscnt null, 0x0
	s_barrier
	buffer_gl0_inv
	s_and_saveexec_b32 s3, s1
	s_cbranch_execz .LBB55_98
; %bb.89:
	s_and_not1_b32 vcc_lo, exec_lo, s2
	s_cbranch_vccnz .LBB55_91
; %bb.90:
	scratch_load_b64 v[113:114], v117, off
	ds_load_b64 v[141:142], v116
	s_waitcnt vmcnt(0) lgkmcnt(0)
	v_mul_f64 v[113:114], v[113:114], v[141:142]
	s_cbranch_execz .LBB55_92
	s_branch .LBB55_93
.LBB55_91:
                                        ; implicit-def: $vgpr113_vgpr114
.LBB55_92:
	ds_load_b64 v[113:114], v116
.LBB55_93:
	s_and_saveexec_b32 s4, s0
	s_cbranch_execz .LBB55_97
; %bb.94:
	v_subrev_nc_u32_e32 v141, 46, v0
	s_movk_i32 s5, 0x330
	s_mov_b32 s0, 0
.LBB55_95:                              ; =>This Inner Loop Header: Depth=1
	scratch_load_b64 v[142:143], v140, off
	v_dual_mov_b32 v144, s5 :: v_dual_add_nc_u32 v141, -1, v141
	v_add_nc_u32_e32 v140, 8, v140
	s_add_i32 s5, s5, 8
	ds_load_b64 v[144:145], v144
	v_cmp_eq_u32_e32 vcc_lo, 0, v141
	s_or_b32 s0, vcc_lo, s0
	s_waitcnt vmcnt(0) lgkmcnt(0)
	v_fma_f64 v[113:114], v[142:143], v[144:145], v[113:114]
	s_and_not1_b32 exec_lo, exec_lo, s0
	s_cbranch_execnz .LBB55_95
; %bb.96:
	s_or_b32 exec_lo, exec_lo, s0
.LBB55_97:
	s_delay_alu instid0(SALU_CYCLE_1)
	s_or_b32 exec_lo, exec_lo, s4
	v_mov_b32_e32 v140, 0
	ds_load_b64 v[140:141], v140 offset:360
	s_waitcnt lgkmcnt(0)
	v_mul_f64 v[113:114], v[113:114], v[140:141]
	scratch_store_b64 off, v[113:114], off offset:360
.LBB55_98:
	s_or_b32 exec_lo, exec_lo, s3
	scratch_load_b64 v[113:114], off, off offset:352
	v_cmp_lt_u32_e64 s0, 44, v0
	s_waitcnt vmcnt(0)
	ds_store_b64 v116, v[113:114]
	s_waitcnt lgkmcnt(0)
	s_waitcnt_vscnt null, 0x0
	s_barrier
	buffer_gl0_inv
	s_and_saveexec_b32 s3, s0
	s_cbranch_execz .LBB55_108
; %bb.99:
	s_and_not1_b32 vcc_lo, exec_lo, s2
	s_cbranch_vccnz .LBB55_101
; %bb.100:
	scratch_load_b64 v[113:114], v117, off
	ds_load_b64 v[140:141], v116
	s_waitcnt vmcnt(0) lgkmcnt(0)
	v_mul_f64 v[113:114], v[113:114], v[140:141]
	s_cbranch_execz .LBB55_102
	s_branch .LBB55_103
.LBB55_101:
                                        ; implicit-def: $vgpr113_vgpr114
.LBB55_102:
	ds_load_b64 v[113:114], v116
.LBB55_103:
	s_and_saveexec_b32 s4, s1
	s_cbranch_execz .LBB55_107
; %bb.104:
	v_mov_b32_e32 v140, 0
	v_subrev_nc_u32_e32 v141, 45, v0
	s_movk_i32 s5, 0x328
	s_mov_b32 s1, 0
	s_delay_alu instid0(VALU_DEP_2)
	v_add_nc_u32_e32 v140, 0x168, v140
.LBB55_105:                             ; =>This Inner Loop Header: Depth=1
	scratch_load_b64 v[142:143], v140, off
	v_dual_mov_b32 v144, s5 :: v_dual_add_nc_u32 v141, -1, v141
	v_add_nc_u32_e32 v140, 8, v140
	s_add_i32 s5, s5, 8
	ds_load_b64 v[144:145], v144
	v_cmp_eq_u32_e32 vcc_lo, 0, v141
	s_or_b32 s1, vcc_lo, s1
	s_waitcnt vmcnt(0) lgkmcnt(0)
	v_fma_f64 v[113:114], v[142:143], v[144:145], v[113:114]
	s_and_not1_b32 exec_lo, exec_lo, s1
	s_cbranch_execnz .LBB55_105
; %bb.106:
	s_or_b32 exec_lo, exec_lo, s1
.LBB55_107:
	s_delay_alu instid0(SALU_CYCLE_1)
	s_or_b32 exec_lo, exec_lo, s4
	v_mov_b32_e32 v140, 0
	ds_load_b64 v[140:141], v140 offset:352
	s_waitcnt lgkmcnt(0)
	v_mul_f64 v[113:114], v[113:114], v[140:141]
	scratch_store_b64 off, v[113:114], off offset:352
.LBB55_108:
	s_or_b32 exec_lo, exec_lo, s3
	scratch_load_b64 v[113:114], off, off offset:344
	v_cmp_lt_u32_e64 s1, 43, v0
	s_waitcnt vmcnt(0)
	ds_store_b64 v116, v[113:114]
	s_waitcnt lgkmcnt(0)
	s_waitcnt_vscnt null, 0x0
	s_barrier
	buffer_gl0_inv
	s_and_saveexec_b32 s3, s1
	s_cbranch_execz .LBB55_118
; %bb.109:
	s_and_not1_b32 vcc_lo, exec_lo, s2
	s_cbranch_vccnz .LBB55_111
; %bb.110:
	scratch_load_b64 v[113:114], v117, off
	ds_load_b64 v[140:141], v116
	s_waitcnt vmcnt(0) lgkmcnt(0)
	v_mul_f64 v[113:114], v[113:114], v[140:141]
	s_cbranch_execz .LBB55_112
	s_branch .LBB55_113
.LBB55_111:
                                        ; implicit-def: $vgpr113_vgpr114
.LBB55_112:
	ds_load_b64 v[113:114], v116
.LBB55_113:
	s_and_saveexec_b32 s4, s0
	s_cbranch_execz .LBB55_117
; %bb.114:
	v_subrev_nc_u32_e32 v140, 44, v0
	s_movk_i32 s5, 0x320
	s_mov_b32 s0, 0
.LBB55_115:                             ; =>This Inner Loop Header: Depth=1
	scratch_load_b64 v[141:142], v139, off
	v_dual_mov_b32 v143, s5 :: v_dual_add_nc_u32 v140, -1, v140
	v_add_nc_u32_e32 v139, 8, v139
	s_add_i32 s5, s5, 8
	ds_load_b64 v[143:144], v143
	v_cmp_eq_u32_e32 vcc_lo, 0, v140
	s_or_b32 s0, vcc_lo, s0
	s_waitcnt vmcnt(0) lgkmcnt(0)
	v_fma_f64 v[113:114], v[141:142], v[143:144], v[113:114]
	s_and_not1_b32 exec_lo, exec_lo, s0
	s_cbranch_execnz .LBB55_115
; %bb.116:
	s_or_b32 exec_lo, exec_lo, s0
.LBB55_117:
	s_delay_alu instid0(SALU_CYCLE_1)
	s_or_b32 exec_lo, exec_lo, s4
	v_mov_b32_e32 v139, 0
	ds_load_b64 v[139:140], v139 offset:344
	s_waitcnt lgkmcnt(0)
	v_mul_f64 v[113:114], v[113:114], v[139:140]
	scratch_store_b64 off, v[113:114], off offset:344
.LBB55_118:
	s_or_b32 exec_lo, exec_lo, s3
	scratch_load_b64 v[113:114], off, off offset:336
	v_cmp_lt_u32_e64 s0, 42, v0
	s_waitcnt vmcnt(0)
	ds_store_b64 v116, v[113:114]
	s_waitcnt lgkmcnt(0)
	s_waitcnt_vscnt null, 0x0
	s_barrier
	buffer_gl0_inv
	s_and_saveexec_b32 s3, s0
	s_cbranch_execz .LBB55_128
; %bb.119:
	s_and_not1_b32 vcc_lo, exec_lo, s2
	s_cbranch_vccnz .LBB55_121
; %bb.120:
	scratch_load_b64 v[113:114], v117, off
	ds_load_b64 v[139:140], v116
	s_waitcnt vmcnt(0) lgkmcnt(0)
	v_mul_f64 v[113:114], v[113:114], v[139:140]
	s_cbranch_execz .LBB55_122
	s_branch .LBB55_123
.LBB55_121:
                                        ; implicit-def: $vgpr113_vgpr114
.LBB55_122:
	ds_load_b64 v[113:114], v116
.LBB55_123:
	s_and_saveexec_b32 s4, s1
	s_cbranch_execz .LBB55_127
; %bb.124:
	v_mov_b32_e32 v139, 0
	v_subrev_nc_u32_e32 v140, 43, v0
	s_movk_i32 s5, 0x318
	s_mov_b32 s1, 0
	s_delay_alu instid0(VALU_DEP_2)
	v_add_nc_u32_e32 v139, 0x158, v139
.LBB55_125:                             ; =>This Inner Loop Header: Depth=1
	scratch_load_b64 v[141:142], v139, off
	v_dual_mov_b32 v143, s5 :: v_dual_add_nc_u32 v140, -1, v140
	v_add_nc_u32_e32 v139, 8, v139
	s_add_i32 s5, s5, 8
	ds_load_b64 v[143:144], v143
	v_cmp_eq_u32_e32 vcc_lo, 0, v140
	s_or_b32 s1, vcc_lo, s1
	s_waitcnt vmcnt(0) lgkmcnt(0)
	v_fma_f64 v[113:114], v[141:142], v[143:144], v[113:114]
	s_and_not1_b32 exec_lo, exec_lo, s1
	s_cbranch_execnz .LBB55_125
; %bb.126:
	s_or_b32 exec_lo, exec_lo, s1
.LBB55_127:
	s_delay_alu instid0(SALU_CYCLE_1)
	s_or_b32 exec_lo, exec_lo, s4
	v_mov_b32_e32 v139, 0
	ds_load_b64 v[139:140], v139 offset:336
	s_waitcnt lgkmcnt(0)
	v_mul_f64 v[113:114], v[113:114], v[139:140]
	scratch_store_b64 off, v[113:114], off offset:336
.LBB55_128:
	s_or_b32 exec_lo, exec_lo, s3
	scratch_load_b64 v[113:114], off, off offset:328
	v_cmp_lt_u32_e64 s1, 41, v0
	s_waitcnt vmcnt(0)
	ds_store_b64 v116, v[113:114]
	s_waitcnt lgkmcnt(0)
	s_waitcnt_vscnt null, 0x0
	s_barrier
	buffer_gl0_inv
	s_and_saveexec_b32 s3, s1
	s_cbranch_execz .LBB55_138
; %bb.129:
	s_and_not1_b32 vcc_lo, exec_lo, s2
	s_cbranch_vccnz .LBB55_131
; %bb.130:
	scratch_load_b64 v[113:114], v117, off
	ds_load_b64 v[139:140], v116
	s_waitcnt vmcnt(0) lgkmcnt(0)
	v_mul_f64 v[113:114], v[113:114], v[139:140]
	s_cbranch_execz .LBB55_132
	s_branch .LBB55_133
.LBB55_131:
                                        ; implicit-def: $vgpr113_vgpr114
.LBB55_132:
	ds_load_b64 v[113:114], v116
.LBB55_133:
	s_and_saveexec_b32 s4, s0
	s_cbranch_execz .LBB55_137
; %bb.134:
	v_subrev_nc_u32_e32 v139, 42, v0
	s_movk_i32 s5, 0x310
	s_mov_b32 s0, 0
.LBB55_135:                             ; =>This Inner Loop Header: Depth=1
	scratch_load_b64 v[140:141], v138, off
	v_dual_mov_b32 v142, s5 :: v_dual_add_nc_u32 v139, -1, v139
	v_add_nc_u32_e32 v138, 8, v138
	s_add_i32 s5, s5, 8
	ds_load_b64 v[142:143], v142
	v_cmp_eq_u32_e32 vcc_lo, 0, v139
	s_or_b32 s0, vcc_lo, s0
	s_waitcnt vmcnt(0) lgkmcnt(0)
	v_fma_f64 v[113:114], v[140:141], v[142:143], v[113:114]
	s_and_not1_b32 exec_lo, exec_lo, s0
	s_cbranch_execnz .LBB55_135
; %bb.136:
	s_or_b32 exec_lo, exec_lo, s0
.LBB55_137:
	s_delay_alu instid0(SALU_CYCLE_1)
	s_or_b32 exec_lo, exec_lo, s4
	v_mov_b32_e32 v138, 0
	ds_load_b64 v[138:139], v138 offset:328
	s_waitcnt lgkmcnt(0)
	v_mul_f64 v[113:114], v[113:114], v[138:139]
	scratch_store_b64 off, v[113:114], off offset:328
.LBB55_138:
	s_or_b32 exec_lo, exec_lo, s3
	scratch_load_b64 v[113:114], off, off offset:320
	v_cmp_lt_u32_e64 s0, 40, v0
	s_waitcnt vmcnt(0)
	ds_store_b64 v116, v[113:114]
	s_waitcnt lgkmcnt(0)
	s_waitcnt_vscnt null, 0x0
	s_barrier
	buffer_gl0_inv
	s_and_saveexec_b32 s3, s0
	s_cbranch_execz .LBB55_148
; %bb.139:
	s_and_not1_b32 vcc_lo, exec_lo, s2
	s_cbranch_vccnz .LBB55_141
; %bb.140:
	scratch_load_b64 v[113:114], v117, off
	ds_load_b64 v[138:139], v116
	s_waitcnt vmcnt(0) lgkmcnt(0)
	v_mul_f64 v[113:114], v[113:114], v[138:139]
	s_cbranch_execz .LBB55_142
	s_branch .LBB55_143
.LBB55_141:
                                        ; implicit-def: $vgpr113_vgpr114
.LBB55_142:
	ds_load_b64 v[113:114], v116
.LBB55_143:
	s_and_saveexec_b32 s4, s1
	s_cbranch_execz .LBB55_147
; %bb.144:
	v_mov_b32_e32 v138, 0
	v_subrev_nc_u32_e32 v139, 41, v0
	s_movk_i32 s5, 0x308
	s_mov_b32 s1, 0
	s_delay_alu instid0(VALU_DEP_2)
	v_add_nc_u32_e32 v138, 0x148, v138
.LBB55_145:                             ; =>This Inner Loop Header: Depth=1
	scratch_load_b64 v[140:141], v138, off
	v_dual_mov_b32 v142, s5 :: v_dual_add_nc_u32 v139, -1, v139
	v_add_nc_u32_e32 v138, 8, v138
	s_add_i32 s5, s5, 8
	ds_load_b64 v[142:143], v142
	v_cmp_eq_u32_e32 vcc_lo, 0, v139
	s_or_b32 s1, vcc_lo, s1
	s_waitcnt vmcnt(0) lgkmcnt(0)
	v_fma_f64 v[113:114], v[140:141], v[142:143], v[113:114]
	s_and_not1_b32 exec_lo, exec_lo, s1
	s_cbranch_execnz .LBB55_145
; %bb.146:
	s_or_b32 exec_lo, exec_lo, s1
.LBB55_147:
	s_delay_alu instid0(SALU_CYCLE_1)
	s_or_b32 exec_lo, exec_lo, s4
	v_mov_b32_e32 v138, 0
	ds_load_b64 v[138:139], v138 offset:320
	s_waitcnt lgkmcnt(0)
	v_mul_f64 v[113:114], v[113:114], v[138:139]
	scratch_store_b64 off, v[113:114], off offset:320
.LBB55_148:
	s_or_b32 exec_lo, exec_lo, s3
	scratch_load_b64 v[113:114], off, off offset:312
	v_cmp_lt_u32_e64 s1, 39, v0
	s_waitcnt vmcnt(0)
	ds_store_b64 v116, v[113:114]
	s_waitcnt lgkmcnt(0)
	s_waitcnt_vscnt null, 0x0
	s_barrier
	buffer_gl0_inv
	s_and_saveexec_b32 s3, s1
	s_cbranch_execz .LBB55_158
; %bb.149:
	s_and_not1_b32 vcc_lo, exec_lo, s2
	s_cbranch_vccnz .LBB55_151
; %bb.150:
	scratch_load_b64 v[113:114], v117, off
	ds_load_b64 v[138:139], v116
	s_waitcnt vmcnt(0) lgkmcnt(0)
	v_mul_f64 v[113:114], v[113:114], v[138:139]
	s_cbranch_execz .LBB55_152
	s_branch .LBB55_153
.LBB55_151:
                                        ; implicit-def: $vgpr113_vgpr114
.LBB55_152:
	ds_load_b64 v[113:114], v116
.LBB55_153:
	s_and_saveexec_b32 s4, s0
	s_cbranch_execz .LBB55_157
; %bb.154:
	v_subrev_nc_u32_e32 v138, 40, v0
	s_movk_i32 s5, 0x300
	s_mov_b32 s0, 0
.LBB55_155:                             ; =>This Inner Loop Header: Depth=1
	scratch_load_b64 v[139:140], v137, off
	v_dual_mov_b32 v141, s5 :: v_dual_add_nc_u32 v138, -1, v138
	v_add_nc_u32_e32 v137, 8, v137
	s_add_i32 s5, s5, 8
	ds_load_b64 v[141:142], v141
	v_cmp_eq_u32_e32 vcc_lo, 0, v138
	s_or_b32 s0, vcc_lo, s0
	s_waitcnt vmcnt(0) lgkmcnt(0)
	v_fma_f64 v[113:114], v[139:140], v[141:142], v[113:114]
	s_and_not1_b32 exec_lo, exec_lo, s0
	s_cbranch_execnz .LBB55_155
; %bb.156:
	s_or_b32 exec_lo, exec_lo, s0
.LBB55_157:
	s_delay_alu instid0(SALU_CYCLE_1)
	s_or_b32 exec_lo, exec_lo, s4
	v_mov_b32_e32 v137, 0
	ds_load_b64 v[137:138], v137 offset:312
	s_waitcnt lgkmcnt(0)
	v_mul_f64 v[113:114], v[113:114], v[137:138]
	scratch_store_b64 off, v[113:114], off offset:312
.LBB55_158:
	s_or_b32 exec_lo, exec_lo, s3
	scratch_load_b64 v[113:114], off, off offset:304
	v_cmp_lt_u32_e64 s0, 38, v0
	s_waitcnt vmcnt(0)
	ds_store_b64 v116, v[113:114]
	s_waitcnt lgkmcnt(0)
	s_waitcnt_vscnt null, 0x0
	s_barrier
	buffer_gl0_inv
	s_and_saveexec_b32 s3, s0
	s_cbranch_execz .LBB55_168
; %bb.159:
	s_and_not1_b32 vcc_lo, exec_lo, s2
	s_cbranch_vccnz .LBB55_161
; %bb.160:
	scratch_load_b64 v[113:114], v117, off
	ds_load_b64 v[137:138], v116
	s_waitcnt vmcnt(0) lgkmcnt(0)
	v_mul_f64 v[113:114], v[113:114], v[137:138]
	s_cbranch_execz .LBB55_162
	s_branch .LBB55_163
.LBB55_161:
                                        ; implicit-def: $vgpr113_vgpr114
.LBB55_162:
	ds_load_b64 v[113:114], v116
.LBB55_163:
	s_and_saveexec_b32 s4, s1
	s_cbranch_execz .LBB55_167
; %bb.164:
	v_mov_b32_e32 v137, 0
	v_subrev_nc_u32_e32 v138, 39, v0
	s_movk_i32 s5, 0x2f8
	s_mov_b32 s1, 0
	s_delay_alu instid0(VALU_DEP_2)
	v_add_nc_u32_e32 v137, 0x138, v137
.LBB55_165:                             ; =>This Inner Loop Header: Depth=1
	scratch_load_b64 v[139:140], v137, off
	v_dual_mov_b32 v141, s5 :: v_dual_add_nc_u32 v138, -1, v138
	v_add_nc_u32_e32 v137, 8, v137
	s_add_i32 s5, s5, 8
	ds_load_b64 v[141:142], v141
	v_cmp_eq_u32_e32 vcc_lo, 0, v138
	s_or_b32 s1, vcc_lo, s1
	s_waitcnt vmcnt(0) lgkmcnt(0)
	v_fma_f64 v[113:114], v[139:140], v[141:142], v[113:114]
	s_and_not1_b32 exec_lo, exec_lo, s1
	s_cbranch_execnz .LBB55_165
; %bb.166:
	s_or_b32 exec_lo, exec_lo, s1
.LBB55_167:
	s_delay_alu instid0(SALU_CYCLE_1)
	s_or_b32 exec_lo, exec_lo, s4
	v_mov_b32_e32 v137, 0
	ds_load_b64 v[137:138], v137 offset:304
	s_waitcnt lgkmcnt(0)
	v_mul_f64 v[113:114], v[113:114], v[137:138]
	scratch_store_b64 off, v[113:114], off offset:304
.LBB55_168:
	s_or_b32 exec_lo, exec_lo, s3
	scratch_load_b64 v[113:114], off, off offset:296
	v_cmp_lt_u32_e64 s1, 37, v0
	s_waitcnt vmcnt(0)
	ds_store_b64 v116, v[113:114]
	s_waitcnt lgkmcnt(0)
	s_waitcnt_vscnt null, 0x0
	s_barrier
	buffer_gl0_inv
	s_and_saveexec_b32 s3, s1
	s_cbranch_execz .LBB55_178
; %bb.169:
	s_and_not1_b32 vcc_lo, exec_lo, s2
	s_cbranch_vccnz .LBB55_171
; %bb.170:
	scratch_load_b64 v[113:114], v117, off
	ds_load_b64 v[137:138], v116
	s_waitcnt vmcnt(0) lgkmcnt(0)
	v_mul_f64 v[113:114], v[113:114], v[137:138]
	s_cbranch_execz .LBB55_172
	s_branch .LBB55_173
.LBB55_171:
                                        ; implicit-def: $vgpr113_vgpr114
.LBB55_172:
	ds_load_b64 v[113:114], v116
.LBB55_173:
	s_and_saveexec_b32 s4, s0
	s_cbranch_execz .LBB55_177
; %bb.174:
	v_subrev_nc_u32_e32 v137, 38, v0
	s_movk_i32 s5, 0x2f0
	s_mov_b32 s0, 0
.LBB55_175:                             ; =>This Inner Loop Header: Depth=1
	scratch_load_b64 v[138:139], v136, off
	v_dual_mov_b32 v140, s5 :: v_dual_add_nc_u32 v137, -1, v137
	v_add_nc_u32_e32 v136, 8, v136
	s_add_i32 s5, s5, 8
	ds_load_b64 v[140:141], v140
	v_cmp_eq_u32_e32 vcc_lo, 0, v137
	s_or_b32 s0, vcc_lo, s0
	s_waitcnt vmcnt(0) lgkmcnt(0)
	v_fma_f64 v[113:114], v[138:139], v[140:141], v[113:114]
	s_and_not1_b32 exec_lo, exec_lo, s0
	s_cbranch_execnz .LBB55_175
; %bb.176:
	s_or_b32 exec_lo, exec_lo, s0
.LBB55_177:
	s_delay_alu instid0(SALU_CYCLE_1)
	s_or_b32 exec_lo, exec_lo, s4
	v_mov_b32_e32 v136, 0
	ds_load_b64 v[136:137], v136 offset:296
	s_waitcnt lgkmcnt(0)
	v_mul_f64 v[113:114], v[113:114], v[136:137]
	scratch_store_b64 off, v[113:114], off offset:296
.LBB55_178:
	s_or_b32 exec_lo, exec_lo, s3
	scratch_load_b64 v[113:114], off, off offset:288
	v_cmp_lt_u32_e64 s0, 36, v0
	s_waitcnt vmcnt(0)
	ds_store_b64 v116, v[113:114]
	s_waitcnt lgkmcnt(0)
	s_waitcnt_vscnt null, 0x0
	s_barrier
	buffer_gl0_inv
	s_and_saveexec_b32 s3, s0
	s_cbranch_execz .LBB55_188
; %bb.179:
	s_and_not1_b32 vcc_lo, exec_lo, s2
	s_cbranch_vccnz .LBB55_181
; %bb.180:
	scratch_load_b64 v[113:114], v117, off
	ds_load_b64 v[136:137], v116
	s_waitcnt vmcnt(0) lgkmcnt(0)
	v_mul_f64 v[113:114], v[113:114], v[136:137]
	s_cbranch_execz .LBB55_182
	s_branch .LBB55_183
.LBB55_181:
                                        ; implicit-def: $vgpr113_vgpr114
.LBB55_182:
	ds_load_b64 v[113:114], v116
.LBB55_183:
	s_and_saveexec_b32 s4, s1
	s_cbranch_execz .LBB55_187
; %bb.184:
	v_mov_b32_e32 v136, 0
	v_subrev_nc_u32_e32 v137, 37, v0
	s_movk_i32 s5, 0x2e8
	s_mov_b32 s1, 0
	s_delay_alu instid0(VALU_DEP_2)
	v_add_nc_u32_e32 v136, 0x128, v136
.LBB55_185:                             ; =>This Inner Loop Header: Depth=1
	scratch_load_b64 v[138:139], v136, off
	v_dual_mov_b32 v140, s5 :: v_dual_add_nc_u32 v137, -1, v137
	v_add_nc_u32_e32 v136, 8, v136
	s_add_i32 s5, s5, 8
	ds_load_b64 v[140:141], v140
	v_cmp_eq_u32_e32 vcc_lo, 0, v137
	s_or_b32 s1, vcc_lo, s1
	s_waitcnt vmcnt(0) lgkmcnt(0)
	v_fma_f64 v[113:114], v[138:139], v[140:141], v[113:114]
	s_and_not1_b32 exec_lo, exec_lo, s1
	s_cbranch_execnz .LBB55_185
; %bb.186:
	s_or_b32 exec_lo, exec_lo, s1
.LBB55_187:
	s_delay_alu instid0(SALU_CYCLE_1)
	s_or_b32 exec_lo, exec_lo, s4
	v_mov_b32_e32 v136, 0
	ds_load_b64 v[136:137], v136 offset:288
	s_waitcnt lgkmcnt(0)
	v_mul_f64 v[113:114], v[113:114], v[136:137]
	scratch_store_b64 off, v[113:114], off offset:288
.LBB55_188:
	s_or_b32 exec_lo, exec_lo, s3
	scratch_load_b64 v[113:114], off, off offset:280
	v_cmp_lt_u32_e64 s1, 35, v0
	s_waitcnt vmcnt(0)
	ds_store_b64 v116, v[113:114]
	s_waitcnt lgkmcnt(0)
	s_waitcnt_vscnt null, 0x0
	s_barrier
	buffer_gl0_inv
	s_and_saveexec_b32 s3, s1
	s_cbranch_execz .LBB55_198
; %bb.189:
	s_and_not1_b32 vcc_lo, exec_lo, s2
	s_cbranch_vccnz .LBB55_191
; %bb.190:
	scratch_load_b64 v[113:114], v117, off
	ds_load_b64 v[136:137], v116
	s_waitcnt vmcnt(0) lgkmcnt(0)
	v_mul_f64 v[113:114], v[113:114], v[136:137]
	s_cbranch_execz .LBB55_192
	s_branch .LBB55_193
.LBB55_191:
                                        ; implicit-def: $vgpr113_vgpr114
.LBB55_192:
	ds_load_b64 v[113:114], v116
.LBB55_193:
	s_and_saveexec_b32 s4, s0
	s_cbranch_execz .LBB55_197
; %bb.194:
	v_subrev_nc_u32_e32 v136, 36, v0
	s_movk_i32 s5, 0x2e0
	s_mov_b32 s0, 0
.LBB55_195:                             ; =>This Inner Loop Header: Depth=1
	scratch_load_b64 v[137:138], v135, off
	v_dual_mov_b32 v139, s5 :: v_dual_add_nc_u32 v136, -1, v136
	v_add_nc_u32_e32 v135, 8, v135
	s_add_i32 s5, s5, 8
	ds_load_b64 v[139:140], v139
	v_cmp_eq_u32_e32 vcc_lo, 0, v136
	s_or_b32 s0, vcc_lo, s0
	s_waitcnt vmcnt(0) lgkmcnt(0)
	v_fma_f64 v[113:114], v[137:138], v[139:140], v[113:114]
	s_and_not1_b32 exec_lo, exec_lo, s0
	s_cbranch_execnz .LBB55_195
; %bb.196:
	s_or_b32 exec_lo, exec_lo, s0
.LBB55_197:
	s_delay_alu instid0(SALU_CYCLE_1)
	s_or_b32 exec_lo, exec_lo, s4
	v_mov_b32_e32 v135, 0
	ds_load_b64 v[135:136], v135 offset:280
	s_waitcnt lgkmcnt(0)
	v_mul_f64 v[113:114], v[113:114], v[135:136]
	scratch_store_b64 off, v[113:114], off offset:280
.LBB55_198:
	s_or_b32 exec_lo, exec_lo, s3
	scratch_load_b64 v[113:114], off, off offset:272
	v_cmp_lt_u32_e64 s0, 34, v0
	s_waitcnt vmcnt(0)
	ds_store_b64 v116, v[113:114]
	s_waitcnt lgkmcnt(0)
	s_waitcnt_vscnt null, 0x0
	s_barrier
	buffer_gl0_inv
	s_and_saveexec_b32 s3, s0
	s_cbranch_execz .LBB55_208
; %bb.199:
	s_and_not1_b32 vcc_lo, exec_lo, s2
	s_cbranch_vccnz .LBB55_201
; %bb.200:
	scratch_load_b64 v[113:114], v117, off
	ds_load_b64 v[135:136], v116
	s_waitcnt vmcnt(0) lgkmcnt(0)
	v_mul_f64 v[113:114], v[113:114], v[135:136]
	s_cbranch_execz .LBB55_202
	s_branch .LBB55_203
.LBB55_201:
                                        ; implicit-def: $vgpr113_vgpr114
.LBB55_202:
	ds_load_b64 v[113:114], v116
.LBB55_203:
	s_and_saveexec_b32 s4, s1
	s_cbranch_execz .LBB55_207
; %bb.204:
	v_mov_b32_e32 v135, 0
	v_subrev_nc_u32_e32 v136, 35, v0
	s_movk_i32 s5, 0x2d8
	s_mov_b32 s1, 0
	s_delay_alu instid0(VALU_DEP_2)
	v_add_nc_u32_e32 v135, 0x118, v135
.LBB55_205:                             ; =>This Inner Loop Header: Depth=1
	scratch_load_b64 v[137:138], v135, off
	v_dual_mov_b32 v139, s5 :: v_dual_add_nc_u32 v136, -1, v136
	v_add_nc_u32_e32 v135, 8, v135
	s_add_i32 s5, s5, 8
	ds_load_b64 v[139:140], v139
	v_cmp_eq_u32_e32 vcc_lo, 0, v136
	s_or_b32 s1, vcc_lo, s1
	s_waitcnt vmcnt(0) lgkmcnt(0)
	v_fma_f64 v[113:114], v[137:138], v[139:140], v[113:114]
	s_and_not1_b32 exec_lo, exec_lo, s1
	s_cbranch_execnz .LBB55_205
; %bb.206:
	s_or_b32 exec_lo, exec_lo, s1
.LBB55_207:
	s_delay_alu instid0(SALU_CYCLE_1)
	s_or_b32 exec_lo, exec_lo, s4
	v_mov_b32_e32 v135, 0
	ds_load_b64 v[135:136], v135 offset:272
	s_waitcnt lgkmcnt(0)
	v_mul_f64 v[113:114], v[113:114], v[135:136]
	scratch_store_b64 off, v[113:114], off offset:272
.LBB55_208:
	s_or_b32 exec_lo, exec_lo, s3
	scratch_load_b64 v[113:114], off, off offset:264
	v_cmp_lt_u32_e64 s1, 33, v0
	s_waitcnt vmcnt(0)
	ds_store_b64 v116, v[113:114]
	s_waitcnt lgkmcnt(0)
	s_waitcnt_vscnt null, 0x0
	s_barrier
	buffer_gl0_inv
	s_and_saveexec_b32 s3, s1
	s_cbranch_execz .LBB55_218
; %bb.209:
	s_and_not1_b32 vcc_lo, exec_lo, s2
	s_cbranch_vccnz .LBB55_211
; %bb.210:
	scratch_load_b64 v[113:114], v117, off
	ds_load_b64 v[135:136], v116
	s_waitcnt vmcnt(0) lgkmcnt(0)
	v_mul_f64 v[113:114], v[113:114], v[135:136]
	s_cbranch_execz .LBB55_212
	s_branch .LBB55_213
.LBB55_211:
                                        ; implicit-def: $vgpr113_vgpr114
.LBB55_212:
	ds_load_b64 v[113:114], v116
.LBB55_213:
	s_and_saveexec_b32 s4, s0
	s_cbranch_execz .LBB55_217
; %bb.214:
	v_subrev_nc_u32_e32 v135, 34, v0
	s_movk_i32 s5, 0x2d0
	s_mov_b32 s0, 0
.LBB55_215:                             ; =>This Inner Loop Header: Depth=1
	scratch_load_b64 v[136:137], v134, off
	v_dual_mov_b32 v138, s5 :: v_dual_add_nc_u32 v135, -1, v135
	v_add_nc_u32_e32 v134, 8, v134
	s_add_i32 s5, s5, 8
	ds_load_b64 v[138:139], v138
	v_cmp_eq_u32_e32 vcc_lo, 0, v135
	s_or_b32 s0, vcc_lo, s0
	s_waitcnt vmcnt(0) lgkmcnt(0)
	v_fma_f64 v[113:114], v[136:137], v[138:139], v[113:114]
	s_and_not1_b32 exec_lo, exec_lo, s0
	s_cbranch_execnz .LBB55_215
; %bb.216:
	s_or_b32 exec_lo, exec_lo, s0
.LBB55_217:
	s_delay_alu instid0(SALU_CYCLE_1)
	s_or_b32 exec_lo, exec_lo, s4
	v_mov_b32_e32 v134, 0
	ds_load_b64 v[134:135], v134 offset:264
	s_waitcnt lgkmcnt(0)
	v_mul_f64 v[113:114], v[113:114], v[134:135]
	scratch_store_b64 off, v[113:114], off offset:264
.LBB55_218:
	s_or_b32 exec_lo, exec_lo, s3
	scratch_load_b64 v[113:114], off, off offset:256
	v_cmp_lt_u32_e64 s0, 32, v0
	s_waitcnt vmcnt(0)
	ds_store_b64 v116, v[113:114]
	s_waitcnt lgkmcnt(0)
	s_waitcnt_vscnt null, 0x0
	s_barrier
	buffer_gl0_inv
	s_and_saveexec_b32 s3, s0
	s_cbranch_execz .LBB55_228
; %bb.219:
	s_and_not1_b32 vcc_lo, exec_lo, s2
	s_cbranch_vccnz .LBB55_221
; %bb.220:
	scratch_load_b64 v[113:114], v117, off
	ds_load_b64 v[134:135], v116
	s_waitcnt vmcnt(0) lgkmcnt(0)
	v_mul_f64 v[113:114], v[113:114], v[134:135]
	s_cbranch_execz .LBB55_222
	s_branch .LBB55_223
.LBB55_221:
                                        ; implicit-def: $vgpr113_vgpr114
.LBB55_222:
	ds_load_b64 v[113:114], v116
.LBB55_223:
	s_and_saveexec_b32 s4, s1
	s_cbranch_execz .LBB55_227
; %bb.224:
	v_mov_b32_e32 v134, 0
	v_subrev_nc_u32_e32 v135, 33, v0
	s_movk_i32 s5, 0x2c8
	s_mov_b32 s1, 0
	s_delay_alu instid0(VALU_DEP_2)
	v_add_nc_u32_e32 v134, 0x108, v134
.LBB55_225:                             ; =>This Inner Loop Header: Depth=1
	scratch_load_b64 v[136:137], v134, off
	v_dual_mov_b32 v138, s5 :: v_dual_add_nc_u32 v135, -1, v135
	v_add_nc_u32_e32 v134, 8, v134
	s_add_i32 s5, s5, 8
	ds_load_b64 v[138:139], v138
	v_cmp_eq_u32_e32 vcc_lo, 0, v135
	s_or_b32 s1, vcc_lo, s1
	s_waitcnt vmcnt(0) lgkmcnt(0)
	v_fma_f64 v[113:114], v[136:137], v[138:139], v[113:114]
	s_and_not1_b32 exec_lo, exec_lo, s1
	s_cbranch_execnz .LBB55_225
; %bb.226:
	s_or_b32 exec_lo, exec_lo, s1
.LBB55_227:
	s_delay_alu instid0(SALU_CYCLE_1)
	s_or_b32 exec_lo, exec_lo, s4
	v_mov_b32_e32 v134, 0
	ds_load_b64 v[134:135], v134 offset:256
	s_waitcnt lgkmcnt(0)
	v_mul_f64 v[113:114], v[113:114], v[134:135]
	scratch_store_b64 off, v[113:114], off offset:256
.LBB55_228:
	s_or_b32 exec_lo, exec_lo, s3
	scratch_load_b64 v[113:114], off, off offset:248
	v_cmp_lt_u32_e64 s1, 31, v0
	s_waitcnt vmcnt(0)
	ds_store_b64 v116, v[113:114]
	s_waitcnt lgkmcnt(0)
	s_waitcnt_vscnt null, 0x0
	s_barrier
	buffer_gl0_inv
	s_and_saveexec_b32 s3, s1
	s_cbranch_execz .LBB55_238
; %bb.229:
	s_and_not1_b32 vcc_lo, exec_lo, s2
	s_cbranch_vccnz .LBB55_231
; %bb.230:
	scratch_load_b64 v[113:114], v117, off
	ds_load_b64 v[134:135], v116
	s_waitcnt vmcnt(0) lgkmcnt(0)
	v_mul_f64 v[113:114], v[113:114], v[134:135]
	s_cbranch_execz .LBB55_232
	s_branch .LBB55_233
.LBB55_231:
                                        ; implicit-def: $vgpr113_vgpr114
.LBB55_232:
	ds_load_b64 v[113:114], v116
.LBB55_233:
	s_and_saveexec_b32 s4, s0
	s_cbranch_execz .LBB55_237
; %bb.234:
	v_subrev_nc_u32_e32 v134, 32, v0
	s_movk_i32 s5, 0x2c0
	s_mov_b32 s0, 0
.LBB55_235:                             ; =>This Inner Loop Header: Depth=1
	scratch_load_b64 v[135:136], v133, off
	v_dual_mov_b32 v137, s5 :: v_dual_add_nc_u32 v134, -1, v134
	v_add_nc_u32_e32 v133, 8, v133
	s_add_i32 s5, s5, 8
	ds_load_b64 v[137:138], v137
	v_cmp_eq_u32_e32 vcc_lo, 0, v134
	s_or_b32 s0, vcc_lo, s0
	s_waitcnt vmcnt(0) lgkmcnt(0)
	v_fma_f64 v[113:114], v[135:136], v[137:138], v[113:114]
	s_and_not1_b32 exec_lo, exec_lo, s0
	s_cbranch_execnz .LBB55_235
; %bb.236:
	s_or_b32 exec_lo, exec_lo, s0
.LBB55_237:
	s_delay_alu instid0(SALU_CYCLE_1)
	s_or_b32 exec_lo, exec_lo, s4
	v_mov_b32_e32 v133, 0
	ds_load_b64 v[133:134], v133 offset:248
	s_waitcnt lgkmcnt(0)
	v_mul_f64 v[113:114], v[113:114], v[133:134]
	scratch_store_b64 off, v[113:114], off offset:248
.LBB55_238:
	s_or_b32 exec_lo, exec_lo, s3
	scratch_load_b64 v[113:114], off, off offset:240
	v_cmp_lt_u32_e64 s0, 30, v0
	s_waitcnt vmcnt(0)
	ds_store_b64 v116, v[113:114]
	s_waitcnt lgkmcnt(0)
	s_waitcnt_vscnt null, 0x0
	s_barrier
	buffer_gl0_inv
	s_and_saveexec_b32 s3, s0
	s_cbranch_execz .LBB55_248
; %bb.239:
	s_and_not1_b32 vcc_lo, exec_lo, s2
	s_cbranch_vccnz .LBB55_241
; %bb.240:
	scratch_load_b64 v[113:114], v117, off
	ds_load_b64 v[133:134], v116
	s_waitcnt vmcnt(0) lgkmcnt(0)
	v_mul_f64 v[113:114], v[113:114], v[133:134]
	s_cbranch_execz .LBB55_242
	s_branch .LBB55_243
.LBB55_241:
                                        ; implicit-def: $vgpr113_vgpr114
.LBB55_242:
	ds_load_b64 v[113:114], v116
.LBB55_243:
	s_and_saveexec_b32 s4, s1
	s_cbranch_execz .LBB55_247
; %bb.244:
	v_mov_b32_e32 v133, 0
	v_subrev_nc_u32_e32 v134, 31, v0
	s_movk_i32 s5, 0x2b8
	s_mov_b32 s1, 0
	s_delay_alu instid0(VALU_DEP_2)
	v_add_nc_u32_e32 v133, 0xf8, v133
.LBB55_245:                             ; =>This Inner Loop Header: Depth=1
	scratch_load_b64 v[135:136], v133, off
	v_dual_mov_b32 v137, s5 :: v_dual_add_nc_u32 v134, -1, v134
	v_add_nc_u32_e32 v133, 8, v133
	s_add_i32 s5, s5, 8
	ds_load_b64 v[137:138], v137
	v_cmp_eq_u32_e32 vcc_lo, 0, v134
	s_or_b32 s1, vcc_lo, s1
	s_waitcnt vmcnt(0) lgkmcnt(0)
	v_fma_f64 v[113:114], v[135:136], v[137:138], v[113:114]
	s_and_not1_b32 exec_lo, exec_lo, s1
	s_cbranch_execnz .LBB55_245
; %bb.246:
	s_or_b32 exec_lo, exec_lo, s1
.LBB55_247:
	s_delay_alu instid0(SALU_CYCLE_1)
	s_or_b32 exec_lo, exec_lo, s4
	v_mov_b32_e32 v133, 0
	ds_load_b64 v[133:134], v133 offset:240
	s_waitcnt lgkmcnt(0)
	v_mul_f64 v[113:114], v[113:114], v[133:134]
	scratch_store_b64 off, v[113:114], off offset:240
.LBB55_248:
	s_or_b32 exec_lo, exec_lo, s3
	scratch_load_b64 v[113:114], off, off offset:232
	v_cmp_lt_u32_e64 s1, 29, v0
	s_waitcnt vmcnt(0)
	ds_store_b64 v116, v[113:114]
	s_waitcnt lgkmcnt(0)
	s_waitcnt_vscnt null, 0x0
	s_barrier
	buffer_gl0_inv
	s_and_saveexec_b32 s3, s1
	s_cbranch_execz .LBB55_258
; %bb.249:
	s_and_not1_b32 vcc_lo, exec_lo, s2
	s_cbranch_vccnz .LBB55_251
; %bb.250:
	scratch_load_b64 v[113:114], v117, off
	ds_load_b64 v[133:134], v116
	s_waitcnt vmcnt(0) lgkmcnt(0)
	v_mul_f64 v[113:114], v[113:114], v[133:134]
	s_cbranch_execz .LBB55_252
	s_branch .LBB55_253
.LBB55_251:
                                        ; implicit-def: $vgpr113_vgpr114
.LBB55_252:
	ds_load_b64 v[113:114], v116
.LBB55_253:
	s_and_saveexec_b32 s4, s0
	s_cbranch_execz .LBB55_257
; %bb.254:
	v_subrev_nc_u32_e32 v133, 30, v0
	s_movk_i32 s5, 0x2b0
	s_mov_b32 s0, 0
.LBB55_255:                             ; =>This Inner Loop Header: Depth=1
	scratch_load_b64 v[134:135], v132, off
	v_dual_mov_b32 v136, s5 :: v_dual_add_nc_u32 v133, -1, v133
	v_add_nc_u32_e32 v132, 8, v132
	s_add_i32 s5, s5, 8
	ds_load_b64 v[136:137], v136
	v_cmp_eq_u32_e32 vcc_lo, 0, v133
	s_or_b32 s0, vcc_lo, s0
	s_waitcnt vmcnt(0) lgkmcnt(0)
	v_fma_f64 v[113:114], v[134:135], v[136:137], v[113:114]
	s_and_not1_b32 exec_lo, exec_lo, s0
	s_cbranch_execnz .LBB55_255
; %bb.256:
	s_or_b32 exec_lo, exec_lo, s0
.LBB55_257:
	s_delay_alu instid0(SALU_CYCLE_1)
	s_or_b32 exec_lo, exec_lo, s4
	v_mov_b32_e32 v132, 0
	ds_load_b64 v[132:133], v132 offset:232
	s_waitcnt lgkmcnt(0)
	v_mul_f64 v[113:114], v[113:114], v[132:133]
	scratch_store_b64 off, v[113:114], off offset:232
.LBB55_258:
	s_or_b32 exec_lo, exec_lo, s3
	scratch_load_b64 v[113:114], off, off offset:224
	v_cmp_lt_u32_e64 s0, 28, v0
	s_waitcnt vmcnt(0)
	ds_store_b64 v116, v[113:114]
	s_waitcnt lgkmcnt(0)
	s_waitcnt_vscnt null, 0x0
	s_barrier
	buffer_gl0_inv
	s_and_saveexec_b32 s3, s0
	s_cbranch_execz .LBB55_268
; %bb.259:
	s_and_not1_b32 vcc_lo, exec_lo, s2
	s_cbranch_vccnz .LBB55_261
; %bb.260:
	scratch_load_b64 v[113:114], v117, off
	ds_load_b64 v[132:133], v116
	s_waitcnt vmcnt(0) lgkmcnt(0)
	v_mul_f64 v[113:114], v[113:114], v[132:133]
	s_cbranch_execz .LBB55_262
	s_branch .LBB55_263
.LBB55_261:
                                        ; implicit-def: $vgpr113_vgpr114
.LBB55_262:
	ds_load_b64 v[113:114], v116
.LBB55_263:
	s_and_saveexec_b32 s4, s1
	s_cbranch_execz .LBB55_267
; %bb.264:
	v_mov_b32_e32 v132, 0
	v_subrev_nc_u32_e32 v133, 29, v0
	s_movk_i32 s5, 0x2a8
	s_mov_b32 s1, 0
	s_delay_alu instid0(VALU_DEP_2)
	v_add_nc_u32_e32 v132, 0xe8, v132
.LBB55_265:                             ; =>This Inner Loop Header: Depth=1
	scratch_load_b64 v[134:135], v132, off
	v_dual_mov_b32 v136, s5 :: v_dual_add_nc_u32 v133, -1, v133
	v_add_nc_u32_e32 v132, 8, v132
	s_add_i32 s5, s5, 8
	ds_load_b64 v[136:137], v136
	v_cmp_eq_u32_e32 vcc_lo, 0, v133
	s_or_b32 s1, vcc_lo, s1
	s_waitcnt vmcnt(0) lgkmcnt(0)
	v_fma_f64 v[113:114], v[134:135], v[136:137], v[113:114]
	s_and_not1_b32 exec_lo, exec_lo, s1
	s_cbranch_execnz .LBB55_265
; %bb.266:
	s_or_b32 exec_lo, exec_lo, s1
.LBB55_267:
	s_delay_alu instid0(SALU_CYCLE_1)
	s_or_b32 exec_lo, exec_lo, s4
	v_mov_b32_e32 v132, 0
	ds_load_b64 v[132:133], v132 offset:224
	s_waitcnt lgkmcnt(0)
	v_mul_f64 v[113:114], v[113:114], v[132:133]
	scratch_store_b64 off, v[113:114], off offset:224
.LBB55_268:
	s_or_b32 exec_lo, exec_lo, s3
	scratch_load_b64 v[113:114], off, off offset:216
	v_cmp_lt_u32_e64 s1, 27, v0
	s_waitcnt vmcnt(0)
	ds_store_b64 v116, v[113:114]
	s_waitcnt lgkmcnt(0)
	s_waitcnt_vscnt null, 0x0
	s_barrier
	buffer_gl0_inv
	s_and_saveexec_b32 s3, s1
	s_cbranch_execz .LBB55_278
; %bb.269:
	s_and_not1_b32 vcc_lo, exec_lo, s2
	s_cbranch_vccnz .LBB55_271
; %bb.270:
	scratch_load_b64 v[113:114], v117, off
	ds_load_b64 v[132:133], v116
	s_waitcnt vmcnt(0) lgkmcnt(0)
	v_mul_f64 v[113:114], v[113:114], v[132:133]
	s_cbranch_execz .LBB55_272
	s_branch .LBB55_273
.LBB55_271:
                                        ; implicit-def: $vgpr113_vgpr114
.LBB55_272:
	ds_load_b64 v[113:114], v116
.LBB55_273:
	s_and_saveexec_b32 s4, s0
	s_cbranch_execz .LBB55_277
; %bb.274:
	v_subrev_nc_u32_e32 v132, 28, v0
	s_movk_i32 s5, 0x2a0
	s_mov_b32 s0, 0
.LBB55_275:                             ; =>This Inner Loop Header: Depth=1
	scratch_load_b64 v[133:134], v131, off
	v_dual_mov_b32 v135, s5 :: v_dual_add_nc_u32 v132, -1, v132
	v_add_nc_u32_e32 v131, 8, v131
	s_add_i32 s5, s5, 8
	ds_load_b64 v[135:136], v135
	v_cmp_eq_u32_e32 vcc_lo, 0, v132
	s_or_b32 s0, vcc_lo, s0
	s_waitcnt vmcnt(0) lgkmcnt(0)
	v_fma_f64 v[113:114], v[133:134], v[135:136], v[113:114]
	s_and_not1_b32 exec_lo, exec_lo, s0
	s_cbranch_execnz .LBB55_275
; %bb.276:
	s_or_b32 exec_lo, exec_lo, s0
.LBB55_277:
	s_delay_alu instid0(SALU_CYCLE_1)
	s_or_b32 exec_lo, exec_lo, s4
	v_mov_b32_e32 v131, 0
	ds_load_b64 v[131:132], v131 offset:216
	s_waitcnt lgkmcnt(0)
	v_mul_f64 v[113:114], v[113:114], v[131:132]
	scratch_store_b64 off, v[113:114], off offset:216
.LBB55_278:
	s_or_b32 exec_lo, exec_lo, s3
	scratch_load_b64 v[113:114], off, off offset:208
	v_cmp_lt_u32_e64 s0, 26, v0
	s_waitcnt vmcnt(0)
	ds_store_b64 v116, v[113:114]
	s_waitcnt lgkmcnt(0)
	s_waitcnt_vscnt null, 0x0
	s_barrier
	buffer_gl0_inv
	s_and_saveexec_b32 s3, s0
	s_cbranch_execz .LBB55_288
; %bb.279:
	s_and_not1_b32 vcc_lo, exec_lo, s2
	s_cbranch_vccnz .LBB55_281
; %bb.280:
	scratch_load_b64 v[113:114], v117, off
	ds_load_b64 v[131:132], v116
	s_waitcnt vmcnt(0) lgkmcnt(0)
	v_mul_f64 v[113:114], v[113:114], v[131:132]
	s_cbranch_execz .LBB55_282
	s_branch .LBB55_283
.LBB55_281:
                                        ; implicit-def: $vgpr113_vgpr114
.LBB55_282:
	ds_load_b64 v[113:114], v116
.LBB55_283:
	s_and_saveexec_b32 s4, s1
	s_cbranch_execz .LBB55_287
; %bb.284:
	v_mov_b32_e32 v131, 0
	v_subrev_nc_u32_e32 v132, 27, v0
	s_movk_i32 s5, 0x298
	s_mov_b32 s1, 0
	s_delay_alu instid0(VALU_DEP_2)
	v_add_nc_u32_e32 v131, 0xd8, v131
.LBB55_285:                             ; =>This Inner Loop Header: Depth=1
	scratch_load_b64 v[133:134], v131, off
	v_dual_mov_b32 v135, s5 :: v_dual_add_nc_u32 v132, -1, v132
	v_add_nc_u32_e32 v131, 8, v131
	s_add_i32 s5, s5, 8
	ds_load_b64 v[135:136], v135
	v_cmp_eq_u32_e32 vcc_lo, 0, v132
	s_or_b32 s1, vcc_lo, s1
	s_waitcnt vmcnt(0) lgkmcnt(0)
	v_fma_f64 v[113:114], v[133:134], v[135:136], v[113:114]
	s_and_not1_b32 exec_lo, exec_lo, s1
	s_cbranch_execnz .LBB55_285
; %bb.286:
	s_or_b32 exec_lo, exec_lo, s1
.LBB55_287:
	s_delay_alu instid0(SALU_CYCLE_1)
	s_or_b32 exec_lo, exec_lo, s4
	v_mov_b32_e32 v131, 0
	ds_load_b64 v[131:132], v131 offset:208
	s_waitcnt lgkmcnt(0)
	v_mul_f64 v[113:114], v[113:114], v[131:132]
	scratch_store_b64 off, v[113:114], off offset:208
.LBB55_288:
	s_or_b32 exec_lo, exec_lo, s3
	scratch_load_b64 v[113:114], off, off offset:200
	v_cmp_lt_u32_e64 s1, 25, v0
	s_waitcnt vmcnt(0)
	ds_store_b64 v116, v[113:114]
	s_waitcnt lgkmcnt(0)
	s_waitcnt_vscnt null, 0x0
	s_barrier
	buffer_gl0_inv
	s_and_saveexec_b32 s3, s1
	s_cbranch_execz .LBB55_298
; %bb.289:
	s_and_not1_b32 vcc_lo, exec_lo, s2
	s_cbranch_vccnz .LBB55_291
; %bb.290:
	scratch_load_b64 v[113:114], v117, off
	ds_load_b64 v[131:132], v116
	s_waitcnt vmcnt(0) lgkmcnt(0)
	v_mul_f64 v[113:114], v[113:114], v[131:132]
	s_cbranch_execz .LBB55_292
	s_branch .LBB55_293
.LBB55_291:
                                        ; implicit-def: $vgpr113_vgpr114
.LBB55_292:
	ds_load_b64 v[113:114], v116
.LBB55_293:
	s_and_saveexec_b32 s4, s0
	s_cbranch_execz .LBB55_297
; %bb.294:
	v_subrev_nc_u32_e32 v131, 26, v0
	s_movk_i32 s5, 0x290
	s_mov_b32 s0, 0
.LBB55_295:                             ; =>This Inner Loop Header: Depth=1
	scratch_load_b64 v[132:133], v130, off
	v_dual_mov_b32 v134, s5 :: v_dual_add_nc_u32 v131, -1, v131
	v_add_nc_u32_e32 v130, 8, v130
	s_add_i32 s5, s5, 8
	ds_load_b64 v[134:135], v134
	v_cmp_eq_u32_e32 vcc_lo, 0, v131
	s_or_b32 s0, vcc_lo, s0
	s_waitcnt vmcnt(0) lgkmcnt(0)
	v_fma_f64 v[113:114], v[132:133], v[134:135], v[113:114]
	s_and_not1_b32 exec_lo, exec_lo, s0
	s_cbranch_execnz .LBB55_295
; %bb.296:
	s_or_b32 exec_lo, exec_lo, s0
.LBB55_297:
	s_delay_alu instid0(SALU_CYCLE_1)
	s_or_b32 exec_lo, exec_lo, s4
	v_mov_b32_e32 v130, 0
	ds_load_b64 v[130:131], v130 offset:200
	s_waitcnt lgkmcnt(0)
	v_mul_f64 v[113:114], v[113:114], v[130:131]
	scratch_store_b64 off, v[113:114], off offset:200
.LBB55_298:
	s_or_b32 exec_lo, exec_lo, s3
	scratch_load_b64 v[113:114], off, off offset:192
	v_cmp_lt_u32_e64 s0, 24, v0
	s_waitcnt vmcnt(0)
	ds_store_b64 v116, v[113:114]
	s_waitcnt lgkmcnt(0)
	s_waitcnt_vscnt null, 0x0
	s_barrier
	buffer_gl0_inv
	s_and_saveexec_b32 s3, s0
	s_cbranch_execz .LBB55_308
; %bb.299:
	s_and_not1_b32 vcc_lo, exec_lo, s2
	s_cbranch_vccnz .LBB55_301
; %bb.300:
	scratch_load_b64 v[113:114], v117, off
	ds_load_b64 v[130:131], v116
	s_waitcnt vmcnt(0) lgkmcnt(0)
	v_mul_f64 v[113:114], v[113:114], v[130:131]
	s_cbranch_execz .LBB55_302
	s_branch .LBB55_303
.LBB55_301:
                                        ; implicit-def: $vgpr113_vgpr114
.LBB55_302:
	ds_load_b64 v[113:114], v116
.LBB55_303:
	s_and_saveexec_b32 s4, s1
	s_cbranch_execz .LBB55_307
; %bb.304:
	v_mov_b32_e32 v130, 0
	v_subrev_nc_u32_e32 v131, 25, v0
	s_movk_i32 s5, 0x288
	s_mov_b32 s1, 0
	s_delay_alu instid0(VALU_DEP_2)
	v_add_nc_u32_e32 v130, 0xc8, v130
.LBB55_305:                             ; =>This Inner Loop Header: Depth=1
	scratch_load_b64 v[132:133], v130, off
	v_dual_mov_b32 v134, s5 :: v_dual_add_nc_u32 v131, -1, v131
	v_add_nc_u32_e32 v130, 8, v130
	s_add_i32 s5, s5, 8
	ds_load_b64 v[134:135], v134
	v_cmp_eq_u32_e32 vcc_lo, 0, v131
	s_or_b32 s1, vcc_lo, s1
	s_waitcnt vmcnt(0) lgkmcnt(0)
	v_fma_f64 v[113:114], v[132:133], v[134:135], v[113:114]
	s_and_not1_b32 exec_lo, exec_lo, s1
	s_cbranch_execnz .LBB55_305
; %bb.306:
	s_or_b32 exec_lo, exec_lo, s1
.LBB55_307:
	s_delay_alu instid0(SALU_CYCLE_1)
	s_or_b32 exec_lo, exec_lo, s4
	v_mov_b32_e32 v130, 0
	ds_load_b64 v[130:131], v130 offset:192
	s_waitcnt lgkmcnt(0)
	v_mul_f64 v[113:114], v[113:114], v[130:131]
	scratch_store_b64 off, v[113:114], off offset:192
.LBB55_308:
	s_or_b32 exec_lo, exec_lo, s3
	scratch_load_b64 v[113:114], off, off offset:184
	v_cmp_lt_u32_e64 s1, 23, v0
	s_waitcnt vmcnt(0)
	ds_store_b64 v116, v[113:114]
	s_waitcnt lgkmcnt(0)
	s_waitcnt_vscnt null, 0x0
	s_barrier
	buffer_gl0_inv
	s_and_saveexec_b32 s3, s1
	s_cbranch_execz .LBB55_318
; %bb.309:
	s_and_not1_b32 vcc_lo, exec_lo, s2
	s_cbranch_vccnz .LBB55_311
; %bb.310:
	scratch_load_b64 v[113:114], v117, off
	ds_load_b64 v[130:131], v116
	s_waitcnt vmcnt(0) lgkmcnt(0)
	v_mul_f64 v[113:114], v[113:114], v[130:131]
	s_cbranch_execz .LBB55_312
	s_branch .LBB55_313
.LBB55_311:
                                        ; implicit-def: $vgpr113_vgpr114
.LBB55_312:
	ds_load_b64 v[113:114], v116
.LBB55_313:
	s_and_saveexec_b32 s4, s0
	s_cbranch_execz .LBB55_317
; %bb.314:
	v_subrev_nc_u32_e32 v130, 24, v0
	s_movk_i32 s5, 0x280
	s_mov_b32 s0, 0
.LBB55_315:                             ; =>This Inner Loop Header: Depth=1
	scratch_load_b64 v[131:132], v129, off
	v_dual_mov_b32 v133, s5 :: v_dual_add_nc_u32 v130, -1, v130
	v_add_nc_u32_e32 v129, 8, v129
	s_add_i32 s5, s5, 8
	ds_load_b64 v[133:134], v133
	v_cmp_eq_u32_e32 vcc_lo, 0, v130
	s_or_b32 s0, vcc_lo, s0
	s_waitcnt vmcnt(0) lgkmcnt(0)
	v_fma_f64 v[113:114], v[131:132], v[133:134], v[113:114]
	s_and_not1_b32 exec_lo, exec_lo, s0
	s_cbranch_execnz .LBB55_315
; %bb.316:
	s_or_b32 exec_lo, exec_lo, s0
.LBB55_317:
	s_delay_alu instid0(SALU_CYCLE_1)
	s_or_b32 exec_lo, exec_lo, s4
	v_mov_b32_e32 v129, 0
	ds_load_b64 v[129:130], v129 offset:184
	s_waitcnt lgkmcnt(0)
	v_mul_f64 v[113:114], v[113:114], v[129:130]
	scratch_store_b64 off, v[113:114], off offset:184
.LBB55_318:
	s_or_b32 exec_lo, exec_lo, s3
	scratch_load_b64 v[113:114], off, off offset:176
	v_cmp_lt_u32_e64 s0, 22, v0
	s_waitcnt vmcnt(0)
	ds_store_b64 v116, v[113:114]
	s_waitcnt lgkmcnt(0)
	s_waitcnt_vscnt null, 0x0
	s_barrier
	buffer_gl0_inv
	s_and_saveexec_b32 s3, s0
	s_cbranch_execz .LBB55_328
; %bb.319:
	s_and_not1_b32 vcc_lo, exec_lo, s2
	s_cbranch_vccnz .LBB55_321
; %bb.320:
	scratch_load_b64 v[113:114], v117, off
	ds_load_b64 v[129:130], v116
	s_waitcnt vmcnt(0) lgkmcnt(0)
	v_mul_f64 v[113:114], v[113:114], v[129:130]
	s_cbranch_execz .LBB55_322
	s_branch .LBB55_323
.LBB55_321:
                                        ; implicit-def: $vgpr113_vgpr114
.LBB55_322:
	ds_load_b64 v[113:114], v116
.LBB55_323:
	s_and_saveexec_b32 s4, s1
	s_cbranch_execz .LBB55_327
; %bb.324:
	v_mov_b32_e32 v129, 0
	v_subrev_nc_u32_e32 v130, 23, v0
	s_movk_i32 s5, 0x278
	s_mov_b32 s1, 0
	s_delay_alu instid0(VALU_DEP_2)
	v_add_nc_u32_e32 v129, 0xb8, v129
.LBB55_325:                             ; =>This Inner Loop Header: Depth=1
	scratch_load_b64 v[131:132], v129, off
	v_dual_mov_b32 v133, s5 :: v_dual_add_nc_u32 v130, -1, v130
	v_add_nc_u32_e32 v129, 8, v129
	s_add_i32 s5, s5, 8
	ds_load_b64 v[133:134], v133
	v_cmp_eq_u32_e32 vcc_lo, 0, v130
	s_or_b32 s1, vcc_lo, s1
	s_waitcnt vmcnt(0) lgkmcnt(0)
	v_fma_f64 v[113:114], v[131:132], v[133:134], v[113:114]
	s_and_not1_b32 exec_lo, exec_lo, s1
	s_cbranch_execnz .LBB55_325
; %bb.326:
	s_or_b32 exec_lo, exec_lo, s1
.LBB55_327:
	s_delay_alu instid0(SALU_CYCLE_1)
	s_or_b32 exec_lo, exec_lo, s4
	v_mov_b32_e32 v129, 0
	ds_load_b64 v[129:130], v129 offset:176
	s_waitcnt lgkmcnt(0)
	v_mul_f64 v[113:114], v[113:114], v[129:130]
	scratch_store_b64 off, v[113:114], off offset:176
.LBB55_328:
	s_or_b32 exec_lo, exec_lo, s3
	scratch_load_b64 v[113:114], off, off offset:168
	v_cmp_lt_u32_e64 s1, 21, v0
	s_waitcnt vmcnt(0)
	ds_store_b64 v116, v[113:114]
	s_waitcnt lgkmcnt(0)
	s_waitcnt_vscnt null, 0x0
	s_barrier
	buffer_gl0_inv
	s_and_saveexec_b32 s3, s1
	s_cbranch_execz .LBB55_338
; %bb.329:
	s_and_not1_b32 vcc_lo, exec_lo, s2
	s_cbranch_vccnz .LBB55_331
; %bb.330:
	scratch_load_b64 v[113:114], v117, off
	ds_load_b64 v[129:130], v116
	s_waitcnt vmcnt(0) lgkmcnt(0)
	v_mul_f64 v[113:114], v[113:114], v[129:130]
	s_cbranch_execz .LBB55_332
	s_branch .LBB55_333
.LBB55_331:
                                        ; implicit-def: $vgpr113_vgpr114
.LBB55_332:
	ds_load_b64 v[113:114], v116
.LBB55_333:
	s_and_saveexec_b32 s4, s0
	s_cbranch_execz .LBB55_337
; %bb.334:
	v_subrev_nc_u32_e32 v129, 22, v0
	s_movk_i32 s5, 0x270
	s_mov_b32 s0, 0
.LBB55_335:                             ; =>This Inner Loop Header: Depth=1
	scratch_load_b64 v[130:131], v128, off
	v_dual_mov_b32 v132, s5 :: v_dual_add_nc_u32 v129, -1, v129
	v_add_nc_u32_e32 v128, 8, v128
	s_add_i32 s5, s5, 8
	ds_load_b64 v[132:133], v132
	v_cmp_eq_u32_e32 vcc_lo, 0, v129
	s_or_b32 s0, vcc_lo, s0
	s_waitcnt vmcnt(0) lgkmcnt(0)
	v_fma_f64 v[113:114], v[130:131], v[132:133], v[113:114]
	s_and_not1_b32 exec_lo, exec_lo, s0
	s_cbranch_execnz .LBB55_335
; %bb.336:
	s_or_b32 exec_lo, exec_lo, s0
.LBB55_337:
	s_delay_alu instid0(SALU_CYCLE_1)
	s_or_b32 exec_lo, exec_lo, s4
	v_mov_b32_e32 v128, 0
	ds_load_b64 v[128:129], v128 offset:168
	s_waitcnt lgkmcnt(0)
	v_mul_f64 v[113:114], v[113:114], v[128:129]
	scratch_store_b64 off, v[113:114], off offset:168
.LBB55_338:
	s_or_b32 exec_lo, exec_lo, s3
	scratch_load_b64 v[113:114], off, off offset:160
	v_cmp_lt_u32_e64 s0, 20, v0
	s_waitcnt vmcnt(0)
	ds_store_b64 v116, v[113:114]
	s_waitcnt lgkmcnt(0)
	s_waitcnt_vscnt null, 0x0
	s_barrier
	buffer_gl0_inv
	s_and_saveexec_b32 s3, s0
	s_cbranch_execz .LBB55_348
; %bb.339:
	s_and_not1_b32 vcc_lo, exec_lo, s2
	s_cbranch_vccnz .LBB55_341
; %bb.340:
	scratch_load_b64 v[113:114], v117, off
	ds_load_b64 v[128:129], v116
	s_waitcnt vmcnt(0) lgkmcnt(0)
	v_mul_f64 v[113:114], v[113:114], v[128:129]
	s_cbranch_execz .LBB55_342
	s_branch .LBB55_343
.LBB55_341:
                                        ; implicit-def: $vgpr113_vgpr114
.LBB55_342:
	ds_load_b64 v[113:114], v116
.LBB55_343:
	s_and_saveexec_b32 s4, s1
	s_cbranch_execz .LBB55_347
; %bb.344:
	v_mov_b32_e32 v128, 0
	v_subrev_nc_u32_e32 v129, 21, v0
	s_movk_i32 s5, 0x268
	s_mov_b32 s1, 0
	s_delay_alu instid0(VALU_DEP_2)
	v_add_nc_u32_e32 v128, 0xa8, v128
.LBB55_345:                             ; =>This Inner Loop Header: Depth=1
	scratch_load_b64 v[130:131], v128, off
	v_dual_mov_b32 v132, s5 :: v_dual_add_nc_u32 v129, -1, v129
	v_add_nc_u32_e32 v128, 8, v128
	s_add_i32 s5, s5, 8
	ds_load_b64 v[132:133], v132
	v_cmp_eq_u32_e32 vcc_lo, 0, v129
	s_or_b32 s1, vcc_lo, s1
	s_waitcnt vmcnt(0) lgkmcnt(0)
	v_fma_f64 v[113:114], v[130:131], v[132:133], v[113:114]
	s_and_not1_b32 exec_lo, exec_lo, s1
	s_cbranch_execnz .LBB55_345
; %bb.346:
	s_or_b32 exec_lo, exec_lo, s1
.LBB55_347:
	s_delay_alu instid0(SALU_CYCLE_1)
	s_or_b32 exec_lo, exec_lo, s4
	v_mov_b32_e32 v128, 0
	ds_load_b64 v[128:129], v128 offset:160
	s_waitcnt lgkmcnt(0)
	v_mul_f64 v[113:114], v[113:114], v[128:129]
	scratch_store_b64 off, v[113:114], off offset:160
.LBB55_348:
	s_or_b32 exec_lo, exec_lo, s3
	scratch_load_b64 v[113:114], off, off offset:152
	v_cmp_lt_u32_e64 s1, 19, v0
	s_waitcnt vmcnt(0)
	ds_store_b64 v116, v[113:114]
	s_waitcnt lgkmcnt(0)
	s_waitcnt_vscnt null, 0x0
	s_barrier
	buffer_gl0_inv
	s_and_saveexec_b32 s3, s1
	s_cbranch_execz .LBB55_358
; %bb.349:
	s_and_not1_b32 vcc_lo, exec_lo, s2
	s_cbranch_vccnz .LBB55_351
; %bb.350:
	scratch_load_b64 v[113:114], v117, off
	ds_load_b64 v[128:129], v116
	s_waitcnt vmcnt(0) lgkmcnt(0)
	v_mul_f64 v[113:114], v[113:114], v[128:129]
	s_cbranch_execz .LBB55_352
	s_branch .LBB55_353
.LBB55_351:
                                        ; implicit-def: $vgpr113_vgpr114
.LBB55_352:
	ds_load_b64 v[113:114], v116
.LBB55_353:
	s_and_saveexec_b32 s4, s0
	s_cbranch_execz .LBB55_357
; %bb.354:
	v_subrev_nc_u32_e32 v128, 20, v0
	s_movk_i32 s5, 0x260
	s_mov_b32 s0, 0
.LBB55_355:                             ; =>This Inner Loop Header: Depth=1
	scratch_load_b64 v[129:130], v127, off
	v_dual_mov_b32 v131, s5 :: v_dual_add_nc_u32 v128, -1, v128
	v_add_nc_u32_e32 v127, 8, v127
	s_add_i32 s5, s5, 8
	ds_load_b64 v[131:132], v131
	v_cmp_eq_u32_e32 vcc_lo, 0, v128
	s_or_b32 s0, vcc_lo, s0
	s_waitcnt vmcnt(0) lgkmcnt(0)
	v_fma_f64 v[113:114], v[129:130], v[131:132], v[113:114]
	s_and_not1_b32 exec_lo, exec_lo, s0
	s_cbranch_execnz .LBB55_355
; %bb.356:
	s_or_b32 exec_lo, exec_lo, s0
.LBB55_357:
	s_delay_alu instid0(SALU_CYCLE_1)
	s_or_b32 exec_lo, exec_lo, s4
	v_mov_b32_e32 v127, 0
	ds_load_b64 v[127:128], v127 offset:152
	s_waitcnt lgkmcnt(0)
	v_mul_f64 v[113:114], v[113:114], v[127:128]
	scratch_store_b64 off, v[113:114], off offset:152
.LBB55_358:
	s_or_b32 exec_lo, exec_lo, s3
	scratch_load_b64 v[113:114], off, off offset:144
	v_cmp_lt_u32_e64 s0, 18, v0
	s_waitcnt vmcnt(0)
	ds_store_b64 v116, v[113:114]
	s_waitcnt lgkmcnt(0)
	s_waitcnt_vscnt null, 0x0
	s_barrier
	buffer_gl0_inv
	s_and_saveexec_b32 s3, s0
	s_cbranch_execz .LBB55_368
; %bb.359:
	s_and_not1_b32 vcc_lo, exec_lo, s2
	s_cbranch_vccnz .LBB55_361
; %bb.360:
	scratch_load_b64 v[113:114], v117, off
	ds_load_b64 v[127:128], v116
	s_waitcnt vmcnt(0) lgkmcnt(0)
	v_mul_f64 v[113:114], v[113:114], v[127:128]
	s_cbranch_execz .LBB55_362
	s_branch .LBB55_363
.LBB55_361:
                                        ; implicit-def: $vgpr113_vgpr114
.LBB55_362:
	ds_load_b64 v[113:114], v116
.LBB55_363:
	s_and_saveexec_b32 s4, s1
	s_cbranch_execz .LBB55_367
; %bb.364:
	v_mov_b32_e32 v127, 0
	v_subrev_nc_u32_e32 v128, 19, v0
	s_movk_i32 s5, 0x258
	s_mov_b32 s1, 0
	s_delay_alu instid0(VALU_DEP_2)
	v_add_nc_u32_e32 v127, 0x98, v127
.LBB55_365:                             ; =>This Inner Loop Header: Depth=1
	scratch_load_b64 v[129:130], v127, off
	v_dual_mov_b32 v131, s5 :: v_dual_add_nc_u32 v128, -1, v128
	v_add_nc_u32_e32 v127, 8, v127
	s_add_i32 s5, s5, 8
	ds_load_b64 v[131:132], v131
	v_cmp_eq_u32_e32 vcc_lo, 0, v128
	s_or_b32 s1, vcc_lo, s1
	s_waitcnt vmcnt(0) lgkmcnt(0)
	v_fma_f64 v[113:114], v[129:130], v[131:132], v[113:114]
	s_and_not1_b32 exec_lo, exec_lo, s1
	s_cbranch_execnz .LBB55_365
; %bb.366:
	s_or_b32 exec_lo, exec_lo, s1
.LBB55_367:
	s_delay_alu instid0(SALU_CYCLE_1)
	s_or_b32 exec_lo, exec_lo, s4
	v_mov_b32_e32 v127, 0
	ds_load_b64 v[127:128], v127 offset:144
	s_waitcnt lgkmcnt(0)
	v_mul_f64 v[113:114], v[113:114], v[127:128]
	scratch_store_b64 off, v[113:114], off offset:144
.LBB55_368:
	s_or_b32 exec_lo, exec_lo, s3
	scratch_load_b64 v[113:114], off, off offset:136
	v_cmp_lt_u32_e64 s1, 17, v0
	s_waitcnt vmcnt(0)
	ds_store_b64 v116, v[113:114]
	s_waitcnt lgkmcnt(0)
	s_waitcnt_vscnt null, 0x0
	s_barrier
	buffer_gl0_inv
	s_and_saveexec_b32 s3, s1
	s_cbranch_execz .LBB55_378
; %bb.369:
	s_and_not1_b32 vcc_lo, exec_lo, s2
	s_cbranch_vccnz .LBB55_371
; %bb.370:
	scratch_load_b64 v[113:114], v117, off
	ds_load_b64 v[127:128], v116
	s_waitcnt vmcnt(0) lgkmcnt(0)
	v_mul_f64 v[113:114], v[113:114], v[127:128]
	s_cbranch_execz .LBB55_372
	s_branch .LBB55_373
.LBB55_371:
                                        ; implicit-def: $vgpr113_vgpr114
.LBB55_372:
	ds_load_b64 v[113:114], v116
.LBB55_373:
	s_and_saveexec_b32 s4, s0
	s_cbranch_execz .LBB55_377
; %bb.374:
	v_subrev_nc_u32_e32 v127, 18, v0
	s_movk_i32 s5, 0x250
	s_mov_b32 s0, 0
.LBB55_375:                             ; =>This Inner Loop Header: Depth=1
	scratch_load_b64 v[128:129], v126, off
	v_dual_mov_b32 v130, s5 :: v_dual_add_nc_u32 v127, -1, v127
	v_add_nc_u32_e32 v126, 8, v126
	s_add_i32 s5, s5, 8
	ds_load_b64 v[130:131], v130
	v_cmp_eq_u32_e32 vcc_lo, 0, v127
	s_or_b32 s0, vcc_lo, s0
	s_waitcnt vmcnt(0) lgkmcnt(0)
	v_fma_f64 v[113:114], v[128:129], v[130:131], v[113:114]
	s_and_not1_b32 exec_lo, exec_lo, s0
	s_cbranch_execnz .LBB55_375
; %bb.376:
	s_or_b32 exec_lo, exec_lo, s0
.LBB55_377:
	s_delay_alu instid0(SALU_CYCLE_1)
	s_or_b32 exec_lo, exec_lo, s4
	v_mov_b32_e32 v126, 0
	ds_load_b64 v[126:127], v126 offset:136
	s_waitcnt lgkmcnt(0)
	v_mul_f64 v[113:114], v[113:114], v[126:127]
	scratch_store_b64 off, v[113:114], off offset:136
.LBB55_378:
	s_or_b32 exec_lo, exec_lo, s3
	scratch_load_b64 v[113:114], off, off offset:128
	v_cmp_lt_u32_e64 s0, 16, v0
	s_waitcnt vmcnt(0)
	ds_store_b64 v116, v[113:114]
	s_waitcnt lgkmcnt(0)
	s_waitcnt_vscnt null, 0x0
	s_barrier
	buffer_gl0_inv
	s_and_saveexec_b32 s3, s0
	s_cbranch_execz .LBB55_388
; %bb.379:
	s_and_not1_b32 vcc_lo, exec_lo, s2
	s_cbranch_vccnz .LBB55_381
; %bb.380:
	scratch_load_b64 v[113:114], v117, off
	ds_load_b64 v[126:127], v116
	s_waitcnt vmcnt(0) lgkmcnt(0)
	v_mul_f64 v[113:114], v[113:114], v[126:127]
	s_cbranch_execz .LBB55_382
	s_branch .LBB55_383
.LBB55_381:
                                        ; implicit-def: $vgpr113_vgpr114
.LBB55_382:
	ds_load_b64 v[113:114], v116
.LBB55_383:
	s_and_saveexec_b32 s4, s1
	s_cbranch_execz .LBB55_387
; %bb.384:
	v_mov_b32_e32 v126, 0
	v_subrev_nc_u32_e32 v127, 17, v0
	s_movk_i32 s5, 0x248
	s_mov_b32 s1, 0
	s_delay_alu instid0(VALU_DEP_2)
	v_add_nc_u32_e32 v126, 0x88, v126
.LBB55_385:                             ; =>This Inner Loop Header: Depth=1
	scratch_load_b64 v[128:129], v126, off
	v_dual_mov_b32 v130, s5 :: v_dual_add_nc_u32 v127, -1, v127
	v_add_nc_u32_e32 v126, 8, v126
	s_add_i32 s5, s5, 8
	ds_load_b64 v[130:131], v130
	v_cmp_eq_u32_e32 vcc_lo, 0, v127
	s_or_b32 s1, vcc_lo, s1
	s_waitcnt vmcnt(0) lgkmcnt(0)
	v_fma_f64 v[113:114], v[128:129], v[130:131], v[113:114]
	s_and_not1_b32 exec_lo, exec_lo, s1
	s_cbranch_execnz .LBB55_385
; %bb.386:
	s_or_b32 exec_lo, exec_lo, s1
.LBB55_387:
	s_delay_alu instid0(SALU_CYCLE_1)
	s_or_b32 exec_lo, exec_lo, s4
	v_mov_b32_e32 v126, 0
	ds_load_b64 v[126:127], v126 offset:128
	s_waitcnt lgkmcnt(0)
	v_mul_f64 v[113:114], v[113:114], v[126:127]
	scratch_store_b64 off, v[113:114], off offset:128
.LBB55_388:
	s_or_b32 exec_lo, exec_lo, s3
	scratch_load_b64 v[113:114], off, off offset:120
	v_cmp_lt_u32_e64 s1, 15, v0
	s_waitcnt vmcnt(0)
	ds_store_b64 v116, v[113:114]
	s_waitcnt lgkmcnt(0)
	s_waitcnt_vscnt null, 0x0
	s_barrier
	buffer_gl0_inv
	s_and_saveexec_b32 s3, s1
	s_cbranch_execz .LBB55_398
; %bb.389:
	s_and_not1_b32 vcc_lo, exec_lo, s2
	s_cbranch_vccnz .LBB55_391
; %bb.390:
	scratch_load_b64 v[113:114], v117, off
	ds_load_b64 v[126:127], v116
	s_waitcnt vmcnt(0) lgkmcnt(0)
	v_mul_f64 v[113:114], v[113:114], v[126:127]
	s_cbranch_execz .LBB55_392
	s_branch .LBB55_393
.LBB55_391:
                                        ; implicit-def: $vgpr113_vgpr114
.LBB55_392:
	ds_load_b64 v[113:114], v116
.LBB55_393:
	s_and_saveexec_b32 s4, s0
	s_cbranch_execz .LBB55_397
; %bb.394:
	v_add_nc_u32_e32 v126, -16, v0
	s_movk_i32 s5, 0x240
	s_mov_b32 s0, 0
.LBB55_395:                             ; =>This Inner Loop Header: Depth=1
	scratch_load_b64 v[127:128], v125, off
	v_dual_mov_b32 v129, s5 :: v_dual_add_nc_u32 v126, -1, v126
	v_add_nc_u32_e32 v125, 8, v125
	s_add_i32 s5, s5, 8
	ds_load_b64 v[129:130], v129
	v_cmp_eq_u32_e32 vcc_lo, 0, v126
	s_or_b32 s0, vcc_lo, s0
	s_waitcnt vmcnt(0) lgkmcnt(0)
	v_fma_f64 v[113:114], v[127:128], v[129:130], v[113:114]
	s_and_not1_b32 exec_lo, exec_lo, s0
	s_cbranch_execnz .LBB55_395
; %bb.396:
	s_or_b32 exec_lo, exec_lo, s0
.LBB55_397:
	s_delay_alu instid0(SALU_CYCLE_1)
	s_or_b32 exec_lo, exec_lo, s4
	v_mov_b32_e32 v125, 0
	ds_load_b64 v[125:126], v125 offset:120
	s_waitcnt lgkmcnt(0)
	v_mul_f64 v[113:114], v[113:114], v[125:126]
	scratch_store_b64 off, v[113:114], off offset:120
.LBB55_398:
	s_or_b32 exec_lo, exec_lo, s3
	scratch_load_b64 v[113:114], off, off offset:112
	v_cmp_lt_u32_e64 s0, 14, v0
	s_waitcnt vmcnt(0)
	ds_store_b64 v116, v[113:114]
	s_waitcnt lgkmcnt(0)
	s_waitcnt_vscnt null, 0x0
	s_barrier
	buffer_gl0_inv
	s_and_saveexec_b32 s3, s0
	s_cbranch_execz .LBB55_408
; %bb.399:
	s_and_not1_b32 vcc_lo, exec_lo, s2
	s_cbranch_vccnz .LBB55_401
; %bb.400:
	scratch_load_b64 v[113:114], v117, off
	ds_load_b64 v[125:126], v116
	s_waitcnt vmcnt(0) lgkmcnt(0)
	v_mul_f64 v[113:114], v[113:114], v[125:126]
	s_cbranch_execz .LBB55_402
	s_branch .LBB55_403
.LBB55_401:
                                        ; implicit-def: $vgpr113_vgpr114
.LBB55_402:
	ds_load_b64 v[113:114], v116
.LBB55_403:
	s_and_saveexec_b32 s4, s1
	s_cbranch_execz .LBB55_407
; %bb.404:
	v_dual_mov_b32 v125, 0 :: v_dual_add_nc_u32 v126, -15, v0
	s_movk_i32 s5, 0x238
	s_mov_b32 s1, 0
	s_delay_alu instid0(VALU_DEP_1)
	v_add_nc_u32_e32 v125, 0x78, v125
.LBB55_405:                             ; =>This Inner Loop Header: Depth=1
	scratch_load_b64 v[127:128], v125, off
	v_dual_mov_b32 v129, s5 :: v_dual_add_nc_u32 v126, -1, v126
	v_add_nc_u32_e32 v125, 8, v125
	s_add_i32 s5, s5, 8
	ds_load_b64 v[129:130], v129
	v_cmp_eq_u32_e32 vcc_lo, 0, v126
	s_or_b32 s1, vcc_lo, s1
	s_waitcnt vmcnt(0) lgkmcnt(0)
	v_fma_f64 v[113:114], v[127:128], v[129:130], v[113:114]
	s_and_not1_b32 exec_lo, exec_lo, s1
	s_cbranch_execnz .LBB55_405
; %bb.406:
	s_or_b32 exec_lo, exec_lo, s1
.LBB55_407:
	s_delay_alu instid0(SALU_CYCLE_1)
	s_or_b32 exec_lo, exec_lo, s4
	v_mov_b32_e32 v125, 0
	ds_load_b64 v[125:126], v125 offset:112
	s_waitcnt lgkmcnt(0)
	v_mul_f64 v[113:114], v[113:114], v[125:126]
	scratch_store_b64 off, v[113:114], off offset:112
.LBB55_408:
	s_or_b32 exec_lo, exec_lo, s3
	scratch_load_b64 v[113:114], off, off offset:104
	v_cmp_lt_u32_e64 s1, 13, v0
	s_waitcnt vmcnt(0)
	ds_store_b64 v116, v[113:114]
	s_waitcnt lgkmcnt(0)
	s_waitcnt_vscnt null, 0x0
	s_barrier
	buffer_gl0_inv
	s_and_saveexec_b32 s3, s1
	s_cbranch_execz .LBB55_418
; %bb.409:
	s_and_not1_b32 vcc_lo, exec_lo, s2
	s_cbranch_vccnz .LBB55_411
; %bb.410:
	scratch_load_b64 v[113:114], v117, off
	ds_load_b64 v[125:126], v116
	s_waitcnt vmcnt(0) lgkmcnt(0)
	v_mul_f64 v[113:114], v[113:114], v[125:126]
	s_cbranch_execz .LBB55_412
	s_branch .LBB55_413
.LBB55_411:
                                        ; implicit-def: $vgpr113_vgpr114
.LBB55_412:
	ds_load_b64 v[113:114], v116
.LBB55_413:
	s_and_saveexec_b32 s4, s0
	s_cbranch_execz .LBB55_417
; %bb.414:
	v_add_nc_u32_e32 v125, -14, v0
	s_movk_i32 s5, 0x230
	s_mov_b32 s0, 0
.LBB55_415:                             ; =>This Inner Loop Header: Depth=1
	scratch_load_b64 v[126:127], v124, off
	v_dual_mov_b32 v128, s5 :: v_dual_add_nc_u32 v125, -1, v125
	v_add_nc_u32_e32 v124, 8, v124
	s_add_i32 s5, s5, 8
	ds_load_b64 v[128:129], v128
	v_cmp_eq_u32_e32 vcc_lo, 0, v125
	s_or_b32 s0, vcc_lo, s0
	s_waitcnt vmcnt(0) lgkmcnt(0)
	v_fma_f64 v[113:114], v[126:127], v[128:129], v[113:114]
	s_and_not1_b32 exec_lo, exec_lo, s0
	s_cbranch_execnz .LBB55_415
; %bb.416:
	s_or_b32 exec_lo, exec_lo, s0
.LBB55_417:
	s_delay_alu instid0(SALU_CYCLE_1)
	s_or_b32 exec_lo, exec_lo, s4
	v_mov_b32_e32 v124, 0
	ds_load_b64 v[124:125], v124 offset:104
	s_waitcnt lgkmcnt(0)
	v_mul_f64 v[113:114], v[113:114], v[124:125]
	scratch_store_b64 off, v[113:114], off offset:104
.LBB55_418:
	s_or_b32 exec_lo, exec_lo, s3
	scratch_load_b64 v[113:114], off, off offset:96
	v_cmp_lt_u32_e64 s0, 12, v0
	s_waitcnt vmcnt(0)
	ds_store_b64 v116, v[113:114]
	s_waitcnt lgkmcnt(0)
	s_waitcnt_vscnt null, 0x0
	s_barrier
	buffer_gl0_inv
	s_and_saveexec_b32 s3, s0
	s_cbranch_execz .LBB55_428
; %bb.419:
	s_and_not1_b32 vcc_lo, exec_lo, s2
	s_cbranch_vccnz .LBB55_421
; %bb.420:
	scratch_load_b64 v[113:114], v117, off
	ds_load_b64 v[124:125], v116
	s_waitcnt vmcnt(0) lgkmcnt(0)
	v_mul_f64 v[113:114], v[113:114], v[124:125]
	s_cbranch_execz .LBB55_422
	s_branch .LBB55_423
.LBB55_421:
                                        ; implicit-def: $vgpr113_vgpr114
.LBB55_422:
	ds_load_b64 v[113:114], v116
.LBB55_423:
	s_and_saveexec_b32 s4, s1
	s_cbranch_execz .LBB55_427
; %bb.424:
	v_dual_mov_b32 v124, 0 :: v_dual_add_nc_u32 v125, -13, v0
	s_movk_i32 s5, 0x228
	s_mov_b32 s1, 0
	s_delay_alu instid0(VALU_DEP_1)
	v_add_nc_u32_e32 v124, 0x68, v124
.LBB55_425:                             ; =>This Inner Loop Header: Depth=1
	scratch_load_b64 v[126:127], v124, off
	v_dual_mov_b32 v128, s5 :: v_dual_add_nc_u32 v125, -1, v125
	v_add_nc_u32_e32 v124, 8, v124
	s_add_i32 s5, s5, 8
	ds_load_b64 v[128:129], v128
	v_cmp_eq_u32_e32 vcc_lo, 0, v125
	s_or_b32 s1, vcc_lo, s1
	s_waitcnt vmcnt(0) lgkmcnt(0)
	v_fma_f64 v[113:114], v[126:127], v[128:129], v[113:114]
	s_and_not1_b32 exec_lo, exec_lo, s1
	s_cbranch_execnz .LBB55_425
; %bb.426:
	s_or_b32 exec_lo, exec_lo, s1
.LBB55_427:
	s_delay_alu instid0(SALU_CYCLE_1)
	s_or_b32 exec_lo, exec_lo, s4
	v_mov_b32_e32 v124, 0
	ds_load_b64 v[124:125], v124 offset:96
	s_waitcnt lgkmcnt(0)
	v_mul_f64 v[113:114], v[113:114], v[124:125]
	scratch_store_b64 off, v[113:114], off offset:96
.LBB55_428:
	s_or_b32 exec_lo, exec_lo, s3
	scratch_load_b64 v[113:114], off, off offset:88
	v_cmp_lt_u32_e64 s1, 11, v0
	s_waitcnt vmcnt(0)
	ds_store_b64 v116, v[113:114]
	s_waitcnt lgkmcnt(0)
	s_waitcnt_vscnt null, 0x0
	s_barrier
	buffer_gl0_inv
	s_and_saveexec_b32 s3, s1
	s_cbranch_execz .LBB55_438
; %bb.429:
	s_and_not1_b32 vcc_lo, exec_lo, s2
	s_cbranch_vccnz .LBB55_431
; %bb.430:
	scratch_load_b64 v[113:114], v117, off
	ds_load_b64 v[124:125], v116
	s_waitcnt vmcnt(0) lgkmcnt(0)
	v_mul_f64 v[113:114], v[113:114], v[124:125]
	s_cbranch_execz .LBB55_432
	s_branch .LBB55_433
.LBB55_431:
                                        ; implicit-def: $vgpr113_vgpr114
.LBB55_432:
	ds_load_b64 v[113:114], v116
.LBB55_433:
	s_and_saveexec_b32 s4, s0
	s_cbranch_execz .LBB55_437
; %bb.434:
	v_add_nc_u32_e32 v124, -12, v0
	s_movk_i32 s5, 0x220
	s_mov_b32 s0, 0
.LBB55_435:                             ; =>This Inner Loop Header: Depth=1
	scratch_load_b64 v[125:126], v123, off
	v_dual_mov_b32 v127, s5 :: v_dual_add_nc_u32 v124, -1, v124
	v_add_nc_u32_e32 v123, 8, v123
	s_add_i32 s5, s5, 8
	ds_load_b64 v[127:128], v127
	v_cmp_eq_u32_e32 vcc_lo, 0, v124
	s_or_b32 s0, vcc_lo, s0
	s_waitcnt vmcnt(0) lgkmcnt(0)
	v_fma_f64 v[113:114], v[125:126], v[127:128], v[113:114]
	s_and_not1_b32 exec_lo, exec_lo, s0
	s_cbranch_execnz .LBB55_435
; %bb.436:
	s_or_b32 exec_lo, exec_lo, s0
.LBB55_437:
	s_delay_alu instid0(SALU_CYCLE_1)
	s_or_b32 exec_lo, exec_lo, s4
	v_mov_b32_e32 v123, 0
	ds_load_b64 v[123:124], v123 offset:88
	s_waitcnt lgkmcnt(0)
	v_mul_f64 v[113:114], v[113:114], v[123:124]
	scratch_store_b64 off, v[113:114], off offset:88
.LBB55_438:
	s_or_b32 exec_lo, exec_lo, s3
	scratch_load_b64 v[113:114], off, off offset:80
	v_cmp_lt_u32_e64 s0, 10, v0
	s_waitcnt vmcnt(0)
	ds_store_b64 v116, v[113:114]
	s_waitcnt lgkmcnt(0)
	s_waitcnt_vscnt null, 0x0
	s_barrier
	buffer_gl0_inv
	s_and_saveexec_b32 s3, s0
	s_cbranch_execz .LBB55_448
; %bb.439:
	s_and_not1_b32 vcc_lo, exec_lo, s2
	s_cbranch_vccnz .LBB55_441
; %bb.440:
	scratch_load_b64 v[113:114], v117, off
	ds_load_b64 v[123:124], v116
	s_waitcnt vmcnt(0) lgkmcnt(0)
	v_mul_f64 v[113:114], v[113:114], v[123:124]
	s_cbranch_execz .LBB55_442
	s_branch .LBB55_443
.LBB55_441:
                                        ; implicit-def: $vgpr113_vgpr114
.LBB55_442:
	ds_load_b64 v[113:114], v116
.LBB55_443:
	s_and_saveexec_b32 s4, s1
	s_cbranch_execz .LBB55_447
; %bb.444:
	v_dual_mov_b32 v123, 0 :: v_dual_add_nc_u32 v124, -11, v0
	s_movk_i32 s5, 0x218
	s_mov_b32 s1, 0
	s_delay_alu instid0(VALU_DEP_1)
	v_add_nc_u32_e32 v123, 0x58, v123
.LBB55_445:                             ; =>This Inner Loop Header: Depth=1
	scratch_load_b64 v[125:126], v123, off
	v_dual_mov_b32 v127, s5 :: v_dual_add_nc_u32 v124, -1, v124
	v_add_nc_u32_e32 v123, 8, v123
	s_add_i32 s5, s5, 8
	ds_load_b64 v[127:128], v127
	v_cmp_eq_u32_e32 vcc_lo, 0, v124
	s_or_b32 s1, vcc_lo, s1
	s_waitcnt vmcnt(0) lgkmcnt(0)
	v_fma_f64 v[113:114], v[125:126], v[127:128], v[113:114]
	s_and_not1_b32 exec_lo, exec_lo, s1
	s_cbranch_execnz .LBB55_445
; %bb.446:
	s_or_b32 exec_lo, exec_lo, s1
.LBB55_447:
	s_delay_alu instid0(SALU_CYCLE_1)
	s_or_b32 exec_lo, exec_lo, s4
	v_mov_b32_e32 v123, 0
	ds_load_b64 v[123:124], v123 offset:80
	s_waitcnt lgkmcnt(0)
	v_mul_f64 v[113:114], v[113:114], v[123:124]
	scratch_store_b64 off, v[113:114], off offset:80
.LBB55_448:
	s_or_b32 exec_lo, exec_lo, s3
	scratch_load_b64 v[113:114], off, off offset:72
	v_cmp_lt_u32_e64 s1, 9, v0
	s_waitcnt vmcnt(0)
	ds_store_b64 v116, v[113:114]
	s_waitcnt lgkmcnt(0)
	s_waitcnt_vscnt null, 0x0
	s_barrier
	buffer_gl0_inv
	s_and_saveexec_b32 s3, s1
	s_cbranch_execz .LBB55_458
; %bb.449:
	s_and_not1_b32 vcc_lo, exec_lo, s2
	s_cbranch_vccnz .LBB55_451
; %bb.450:
	scratch_load_b64 v[113:114], v117, off
	ds_load_b64 v[123:124], v116
	s_waitcnt vmcnt(0) lgkmcnt(0)
	v_mul_f64 v[113:114], v[113:114], v[123:124]
	s_cbranch_execz .LBB55_452
	s_branch .LBB55_453
.LBB55_451:
                                        ; implicit-def: $vgpr113_vgpr114
.LBB55_452:
	ds_load_b64 v[113:114], v116
.LBB55_453:
	s_and_saveexec_b32 s4, s0
	s_cbranch_execz .LBB55_457
; %bb.454:
	v_add_nc_u32_e32 v123, -10, v0
	s_movk_i32 s5, 0x210
	s_mov_b32 s0, 0
.LBB55_455:                             ; =>This Inner Loop Header: Depth=1
	scratch_load_b64 v[124:125], v122, off
	v_dual_mov_b32 v126, s5 :: v_dual_add_nc_u32 v123, -1, v123
	v_add_nc_u32_e32 v122, 8, v122
	s_add_i32 s5, s5, 8
	ds_load_b64 v[126:127], v126
	v_cmp_eq_u32_e32 vcc_lo, 0, v123
	s_or_b32 s0, vcc_lo, s0
	s_waitcnt vmcnt(0) lgkmcnt(0)
	v_fma_f64 v[113:114], v[124:125], v[126:127], v[113:114]
	s_and_not1_b32 exec_lo, exec_lo, s0
	s_cbranch_execnz .LBB55_455
; %bb.456:
	s_or_b32 exec_lo, exec_lo, s0
.LBB55_457:
	s_delay_alu instid0(SALU_CYCLE_1)
	s_or_b32 exec_lo, exec_lo, s4
	v_mov_b32_e32 v122, 0
	ds_load_b64 v[122:123], v122 offset:72
	s_waitcnt lgkmcnt(0)
	v_mul_f64 v[113:114], v[113:114], v[122:123]
	scratch_store_b64 off, v[113:114], off offset:72
.LBB55_458:
	s_or_b32 exec_lo, exec_lo, s3
	scratch_load_b64 v[113:114], off, off offset:64
	v_cmp_lt_u32_e64 s0, 8, v0
	s_waitcnt vmcnt(0)
	ds_store_b64 v116, v[113:114]
	s_waitcnt lgkmcnt(0)
	s_waitcnt_vscnt null, 0x0
	s_barrier
	buffer_gl0_inv
	s_and_saveexec_b32 s3, s0
	s_cbranch_execz .LBB55_468
; %bb.459:
	s_and_not1_b32 vcc_lo, exec_lo, s2
	s_cbranch_vccnz .LBB55_461
; %bb.460:
	scratch_load_b64 v[113:114], v117, off
	ds_load_b64 v[122:123], v116
	s_waitcnt vmcnt(0) lgkmcnt(0)
	v_mul_f64 v[113:114], v[113:114], v[122:123]
	s_cbranch_execz .LBB55_462
	s_branch .LBB55_463
.LBB55_461:
                                        ; implicit-def: $vgpr113_vgpr114
.LBB55_462:
	ds_load_b64 v[113:114], v116
.LBB55_463:
	s_and_saveexec_b32 s4, s1
	s_cbranch_execz .LBB55_467
; %bb.464:
	v_dual_mov_b32 v122, 0 :: v_dual_add_nc_u32 v123, -9, v0
	s_movk_i32 s5, 0x208
	s_mov_b32 s1, 0
	s_delay_alu instid0(VALU_DEP_1)
	v_add_nc_u32_e32 v122, 0x48, v122
.LBB55_465:                             ; =>This Inner Loop Header: Depth=1
	scratch_load_b64 v[124:125], v122, off
	v_dual_mov_b32 v126, s5 :: v_dual_add_nc_u32 v123, -1, v123
	v_add_nc_u32_e32 v122, 8, v122
	s_add_i32 s5, s5, 8
	ds_load_b64 v[126:127], v126
	v_cmp_eq_u32_e32 vcc_lo, 0, v123
	s_or_b32 s1, vcc_lo, s1
	s_waitcnt vmcnt(0) lgkmcnt(0)
	v_fma_f64 v[113:114], v[124:125], v[126:127], v[113:114]
	s_and_not1_b32 exec_lo, exec_lo, s1
	s_cbranch_execnz .LBB55_465
; %bb.466:
	s_or_b32 exec_lo, exec_lo, s1
.LBB55_467:
	s_delay_alu instid0(SALU_CYCLE_1)
	s_or_b32 exec_lo, exec_lo, s4
	v_mov_b32_e32 v122, 0
	ds_load_b64 v[122:123], v122 offset:64
	s_waitcnt lgkmcnt(0)
	v_mul_f64 v[113:114], v[113:114], v[122:123]
	scratch_store_b64 off, v[113:114], off offset:64
.LBB55_468:
	s_or_b32 exec_lo, exec_lo, s3
	scratch_load_b64 v[113:114], off, off offset:56
	v_cmp_lt_u32_e64 s1, 7, v0
	s_waitcnt vmcnt(0)
	ds_store_b64 v116, v[113:114]
	s_waitcnt lgkmcnt(0)
	s_waitcnt_vscnt null, 0x0
	s_barrier
	buffer_gl0_inv
	s_and_saveexec_b32 s3, s1
	s_cbranch_execz .LBB55_478
; %bb.469:
	s_and_not1_b32 vcc_lo, exec_lo, s2
	s_cbranch_vccnz .LBB55_471
; %bb.470:
	scratch_load_b64 v[113:114], v117, off
	ds_load_b64 v[122:123], v116
	s_waitcnt vmcnt(0) lgkmcnt(0)
	v_mul_f64 v[113:114], v[113:114], v[122:123]
	s_cbranch_execz .LBB55_472
	s_branch .LBB55_473
.LBB55_471:
                                        ; implicit-def: $vgpr113_vgpr114
.LBB55_472:
	ds_load_b64 v[113:114], v116
.LBB55_473:
	s_and_saveexec_b32 s4, s0
	s_cbranch_execz .LBB55_477
; %bb.474:
	v_add_nc_u32_e32 v122, -8, v0
	s_movk_i32 s5, 0x200
	s_mov_b32 s0, 0
.LBB55_475:                             ; =>This Inner Loop Header: Depth=1
	scratch_load_b64 v[123:124], v121, off
	v_dual_mov_b32 v125, s5 :: v_dual_add_nc_u32 v122, -1, v122
	v_add_nc_u32_e32 v121, 8, v121
	s_add_i32 s5, s5, 8
	ds_load_b64 v[125:126], v125
	v_cmp_eq_u32_e32 vcc_lo, 0, v122
	s_or_b32 s0, vcc_lo, s0
	s_waitcnt vmcnt(0) lgkmcnt(0)
	v_fma_f64 v[113:114], v[123:124], v[125:126], v[113:114]
	s_and_not1_b32 exec_lo, exec_lo, s0
	s_cbranch_execnz .LBB55_475
; %bb.476:
	s_or_b32 exec_lo, exec_lo, s0
.LBB55_477:
	s_delay_alu instid0(SALU_CYCLE_1)
	s_or_b32 exec_lo, exec_lo, s4
	v_mov_b32_e32 v121, 0
	ds_load_b64 v[121:122], v121 offset:56
	s_waitcnt lgkmcnt(0)
	v_mul_f64 v[113:114], v[113:114], v[121:122]
	scratch_store_b64 off, v[113:114], off offset:56
.LBB55_478:
	s_or_b32 exec_lo, exec_lo, s3
	scratch_load_b64 v[113:114], off, off offset:48
	v_cmp_lt_u32_e64 s0, 6, v0
	s_waitcnt vmcnt(0)
	ds_store_b64 v116, v[113:114]
	s_waitcnt lgkmcnt(0)
	s_waitcnt_vscnt null, 0x0
	s_barrier
	buffer_gl0_inv
	s_and_saveexec_b32 s3, s0
	s_cbranch_execz .LBB55_488
; %bb.479:
	s_and_not1_b32 vcc_lo, exec_lo, s2
	s_cbranch_vccnz .LBB55_481
; %bb.480:
	scratch_load_b64 v[113:114], v117, off
	ds_load_b64 v[121:122], v116
	s_waitcnt vmcnt(0) lgkmcnt(0)
	v_mul_f64 v[113:114], v[113:114], v[121:122]
	s_cbranch_execz .LBB55_482
	s_branch .LBB55_483
.LBB55_481:
                                        ; implicit-def: $vgpr113_vgpr114
.LBB55_482:
	ds_load_b64 v[113:114], v116
.LBB55_483:
	s_and_saveexec_b32 s4, s1
	s_cbranch_execz .LBB55_487
; %bb.484:
	v_add_nc_u32_e64 v121, 0, 56
	v_add_nc_u32_e32 v122, -7, v0
	s_movk_i32 s5, 0x1f8
	s_mov_b32 s1, 0
.LBB55_485:                             ; =>This Inner Loop Header: Depth=1
	scratch_load_b64 v[123:124], v121, off
	v_dual_mov_b32 v125, s5 :: v_dual_add_nc_u32 v122, -1, v122
	v_add_nc_u32_e32 v121, 8, v121
	s_add_i32 s5, s5, 8
	ds_load_b64 v[125:126], v125
	v_cmp_eq_u32_e32 vcc_lo, 0, v122
	s_or_b32 s1, vcc_lo, s1
	s_waitcnt vmcnt(0) lgkmcnt(0)
	v_fma_f64 v[113:114], v[123:124], v[125:126], v[113:114]
	s_and_not1_b32 exec_lo, exec_lo, s1
	s_cbranch_execnz .LBB55_485
; %bb.486:
	s_or_b32 exec_lo, exec_lo, s1
.LBB55_487:
	s_delay_alu instid0(SALU_CYCLE_1)
	s_or_b32 exec_lo, exec_lo, s4
	v_mov_b32_e32 v121, 0
	ds_load_b64 v[121:122], v121 offset:48
	s_waitcnt lgkmcnt(0)
	v_mul_f64 v[113:114], v[113:114], v[121:122]
	scratch_store_b64 off, v[113:114], off offset:48
.LBB55_488:
	s_or_b32 exec_lo, exec_lo, s3
	scratch_load_b64 v[113:114], off, off offset:40
	v_cmp_lt_u32_e64 s1, 5, v0
	s_waitcnt vmcnt(0)
	ds_store_b64 v116, v[113:114]
	s_waitcnt lgkmcnt(0)
	s_waitcnt_vscnt null, 0x0
	s_barrier
	buffer_gl0_inv
	s_and_saveexec_b32 s3, s1
	s_cbranch_execz .LBB55_498
; %bb.489:
	s_and_not1_b32 vcc_lo, exec_lo, s2
	s_cbranch_vccnz .LBB55_491
; %bb.490:
	scratch_load_b64 v[113:114], v117, off
	ds_load_b64 v[121:122], v116
	s_waitcnt vmcnt(0) lgkmcnt(0)
	v_mul_f64 v[113:114], v[113:114], v[121:122]
	s_cbranch_execz .LBB55_492
	s_branch .LBB55_493
.LBB55_491:
                                        ; implicit-def: $vgpr113_vgpr114
.LBB55_492:
	ds_load_b64 v[113:114], v116
.LBB55_493:
	s_and_saveexec_b32 s4, s0
	s_cbranch_execz .LBB55_497
; %bb.494:
	v_add_nc_u32_e32 v121, -6, v0
	s_movk_i32 s5, 0x1f0
	s_mov_b32 s0, 0
.LBB55_495:                             ; =>This Inner Loop Header: Depth=1
	scratch_load_b64 v[122:123], v120, off
	v_dual_mov_b32 v124, s5 :: v_dual_add_nc_u32 v121, -1, v121
	v_add_nc_u32_e32 v120, 8, v120
	s_add_i32 s5, s5, 8
	ds_load_b64 v[124:125], v124
	v_cmp_eq_u32_e32 vcc_lo, 0, v121
	s_or_b32 s0, vcc_lo, s0
	s_waitcnt vmcnt(0) lgkmcnt(0)
	v_fma_f64 v[113:114], v[122:123], v[124:125], v[113:114]
	s_and_not1_b32 exec_lo, exec_lo, s0
	s_cbranch_execnz .LBB55_495
; %bb.496:
	s_or_b32 exec_lo, exec_lo, s0
.LBB55_497:
	s_delay_alu instid0(SALU_CYCLE_1)
	s_or_b32 exec_lo, exec_lo, s4
	v_mov_b32_e32 v120, 0
	ds_load_b64 v[120:121], v120 offset:40
	s_waitcnt lgkmcnt(0)
	v_mul_f64 v[113:114], v[113:114], v[120:121]
	scratch_store_b64 off, v[113:114], off offset:40
.LBB55_498:
	s_or_b32 exec_lo, exec_lo, s3
	scratch_load_b64 v[113:114], off, off offset:32
	v_cmp_lt_u32_e64 s0, 4, v0
	s_waitcnt vmcnt(0)
	ds_store_b64 v116, v[113:114]
	s_waitcnt lgkmcnt(0)
	s_waitcnt_vscnt null, 0x0
	s_barrier
	buffer_gl0_inv
	s_and_saveexec_b32 s3, s0
	s_cbranch_execz .LBB55_508
; %bb.499:
	s_and_not1_b32 vcc_lo, exec_lo, s2
	s_cbranch_vccnz .LBB55_501
; %bb.500:
	scratch_load_b64 v[113:114], v117, off
	ds_load_b64 v[120:121], v116
	s_waitcnt vmcnt(0) lgkmcnt(0)
	v_mul_f64 v[113:114], v[113:114], v[120:121]
	s_cbranch_execz .LBB55_502
	s_branch .LBB55_503
.LBB55_501:
                                        ; implicit-def: $vgpr113_vgpr114
.LBB55_502:
	ds_load_b64 v[113:114], v116
.LBB55_503:
	s_and_saveexec_b32 s4, s1
	s_cbranch_execz .LBB55_507
; %bb.504:
	v_add_nc_u32_e64 v120, 0, 40
	v_add_nc_u32_e32 v121, -5, v0
	s_movk_i32 s5, 0x1e8
	s_mov_b32 s1, 0
.LBB55_505:                             ; =>This Inner Loop Header: Depth=1
	scratch_load_b64 v[122:123], v120, off
	v_dual_mov_b32 v124, s5 :: v_dual_add_nc_u32 v121, -1, v121
	v_add_nc_u32_e32 v120, 8, v120
	s_add_i32 s5, s5, 8
	ds_load_b64 v[124:125], v124
	v_cmp_eq_u32_e32 vcc_lo, 0, v121
	s_or_b32 s1, vcc_lo, s1
	s_waitcnt vmcnt(0) lgkmcnt(0)
	v_fma_f64 v[113:114], v[122:123], v[124:125], v[113:114]
	s_and_not1_b32 exec_lo, exec_lo, s1
	s_cbranch_execnz .LBB55_505
; %bb.506:
	s_or_b32 exec_lo, exec_lo, s1
.LBB55_507:
	s_delay_alu instid0(SALU_CYCLE_1)
	s_or_b32 exec_lo, exec_lo, s4
	v_mov_b32_e32 v120, 0
	ds_load_b64 v[120:121], v120 offset:32
	s_waitcnt lgkmcnt(0)
	v_mul_f64 v[113:114], v[113:114], v[120:121]
	scratch_store_b64 off, v[113:114], off offset:32
.LBB55_508:
	s_or_b32 exec_lo, exec_lo, s3
	scratch_load_b64 v[113:114], off, off offset:24
	v_cmp_lt_u32_e64 s1, 3, v0
	s_waitcnt vmcnt(0)
	ds_store_b64 v116, v[113:114]
	s_waitcnt lgkmcnt(0)
	s_waitcnt_vscnt null, 0x0
	s_barrier
	buffer_gl0_inv
	s_and_saveexec_b32 s3, s1
	s_cbranch_execz .LBB55_518
; %bb.509:
	s_and_not1_b32 vcc_lo, exec_lo, s2
	s_cbranch_vccnz .LBB55_511
; %bb.510:
	scratch_load_b64 v[113:114], v117, off
	ds_load_b64 v[120:121], v116
	s_waitcnt vmcnt(0) lgkmcnt(0)
	v_mul_f64 v[113:114], v[113:114], v[120:121]
	s_cbranch_execz .LBB55_512
	s_branch .LBB55_513
.LBB55_511:
                                        ; implicit-def: $vgpr113_vgpr114
.LBB55_512:
	ds_load_b64 v[113:114], v116
.LBB55_513:
	s_and_saveexec_b32 s4, s0
	s_cbranch_execz .LBB55_517
; %bb.514:
	v_add_nc_u32_e32 v120, -4, v0
	s_movk_i32 s5, 0x1e0
	s_mov_b32 s0, 0
.LBB55_515:                             ; =>This Inner Loop Header: Depth=1
	scratch_load_b64 v[121:122], v119, off
	v_dual_mov_b32 v123, s5 :: v_dual_add_nc_u32 v120, -1, v120
	v_add_nc_u32_e32 v119, 8, v119
	s_add_i32 s5, s5, 8
	ds_load_b64 v[123:124], v123
	v_cmp_eq_u32_e32 vcc_lo, 0, v120
	s_or_b32 s0, vcc_lo, s0
	s_waitcnt vmcnt(0) lgkmcnt(0)
	v_fma_f64 v[113:114], v[121:122], v[123:124], v[113:114]
	s_and_not1_b32 exec_lo, exec_lo, s0
	s_cbranch_execnz .LBB55_515
; %bb.516:
	s_or_b32 exec_lo, exec_lo, s0
.LBB55_517:
	s_delay_alu instid0(SALU_CYCLE_1)
	s_or_b32 exec_lo, exec_lo, s4
	v_mov_b32_e32 v119, 0
	ds_load_b64 v[119:120], v119 offset:24
	s_waitcnt lgkmcnt(0)
	v_mul_f64 v[113:114], v[113:114], v[119:120]
	scratch_store_b64 off, v[113:114], off offset:24
.LBB55_518:
	s_or_b32 exec_lo, exec_lo, s3
	scratch_load_b64 v[113:114], off, off offset:16
	v_cmp_lt_u32_e64 s0, 2, v0
	s_waitcnt vmcnt(0)
	ds_store_b64 v116, v[113:114]
	s_waitcnt lgkmcnt(0)
	s_waitcnt_vscnt null, 0x0
	s_barrier
	buffer_gl0_inv
	s_and_saveexec_b32 s3, s0
	s_cbranch_execz .LBB55_528
; %bb.519:
	s_and_not1_b32 vcc_lo, exec_lo, s2
	s_cbranch_vccnz .LBB55_521
; %bb.520:
	scratch_load_b64 v[113:114], v117, off
	ds_load_b64 v[119:120], v116
	s_waitcnt vmcnt(0) lgkmcnt(0)
	v_mul_f64 v[113:114], v[113:114], v[119:120]
	s_cbranch_execz .LBB55_522
	s_branch .LBB55_523
.LBB55_521:
                                        ; implicit-def: $vgpr113_vgpr114
.LBB55_522:
	ds_load_b64 v[113:114], v116
.LBB55_523:
	s_and_saveexec_b32 s4, s1
	s_cbranch_execz .LBB55_527
; %bb.524:
	v_add_nc_u32_e64 v119, 0, 24
	v_add_nc_u32_e32 v120, -3, v0
	s_movk_i32 s5, 0x1d8
	s_mov_b32 s1, 0
.LBB55_525:                             ; =>This Inner Loop Header: Depth=1
	scratch_load_b64 v[121:122], v119, off
	v_dual_mov_b32 v123, s5 :: v_dual_add_nc_u32 v120, -1, v120
	v_add_nc_u32_e32 v119, 8, v119
	s_add_i32 s5, s5, 8
	ds_load_b64 v[123:124], v123
	v_cmp_eq_u32_e32 vcc_lo, 0, v120
	s_or_b32 s1, vcc_lo, s1
	s_waitcnt vmcnt(0) lgkmcnt(0)
	v_fma_f64 v[113:114], v[121:122], v[123:124], v[113:114]
	s_and_not1_b32 exec_lo, exec_lo, s1
	s_cbranch_execnz .LBB55_525
; %bb.526:
	s_or_b32 exec_lo, exec_lo, s1
.LBB55_527:
	s_delay_alu instid0(SALU_CYCLE_1)
	s_or_b32 exec_lo, exec_lo, s4
	v_mov_b32_e32 v119, 0
	ds_load_b64 v[119:120], v119 offset:16
	s_waitcnt lgkmcnt(0)
	v_mul_f64 v[113:114], v[113:114], v[119:120]
	scratch_store_b64 off, v[113:114], off offset:16
.LBB55_528:
	s_or_b32 exec_lo, exec_lo, s3
	scratch_load_b64 v[113:114], off, off offset:8
	v_cmp_lt_u32_e64 s1, 1, v0
	s_waitcnt vmcnt(0)
	ds_store_b64 v116, v[113:114]
	s_waitcnt lgkmcnt(0)
	s_waitcnt_vscnt null, 0x0
	s_barrier
	buffer_gl0_inv
	s_and_saveexec_b32 s3, s1
	s_cbranch_execz .LBB55_538
; %bb.529:
	s_and_not1_b32 vcc_lo, exec_lo, s2
	s_cbranch_vccnz .LBB55_531
; %bb.530:
	scratch_load_b64 v[113:114], v117, off
	ds_load_b64 v[119:120], v116
	s_waitcnt vmcnt(0) lgkmcnt(0)
	v_mul_f64 v[113:114], v[113:114], v[119:120]
	s_cbranch_execz .LBB55_532
	s_branch .LBB55_533
.LBB55_531:
                                        ; implicit-def: $vgpr113_vgpr114
.LBB55_532:
	ds_load_b64 v[113:114], v116
.LBB55_533:
	s_and_saveexec_b32 s4, s0
	s_cbranch_execz .LBB55_537
; %bb.534:
	v_add_nc_u32_e32 v119, -2, v0
	s_movk_i32 s5, 0x1d0
	s_mov_b32 s0, 0
.LBB55_535:                             ; =>This Inner Loop Header: Depth=1
	scratch_load_b64 v[120:121], v118, off
	v_dual_mov_b32 v122, s5 :: v_dual_add_nc_u32 v119, -1, v119
	v_add_nc_u32_e32 v118, 8, v118
	s_add_i32 s5, s5, 8
	ds_load_b64 v[122:123], v122
	v_cmp_eq_u32_e32 vcc_lo, 0, v119
	s_or_b32 s0, vcc_lo, s0
	s_waitcnt vmcnt(0) lgkmcnt(0)
	v_fma_f64 v[113:114], v[120:121], v[122:123], v[113:114]
	s_and_not1_b32 exec_lo, exec_lo, s0
	s_cbranch_execnz .LBB55_535
; %bb.536:
	s_or_b32 exec_lo, exec_lo, s0
.LBB55_537:
	s_delay_alu instid0(SALU_CYCLE_1)
	s_or_b32 exec_lo, exec_lo, s4
	v_mov_b32_e32 v118, 0
	ds_load_b64 v[118:119], v118 offset:8
	s_waitcnt lgkmcnt(0)
	v_mul_f64 v[113:114], v[113:114], v[118:119]
	scratch_store_b64 off, v[113:114], off offset:8
.LBB55_538:
	s_or_b32 exec_lo, exec_lo, s3
	scratch_load_b64 v[113:114], off, off
	s_mov_b32 s0, 0
	s_mov_b32 s3, exec_lo
	s_waitcnt vmcnt(0)
	ds_store_b64 v116, v[113:114]
	s_waitcnt lgkmcnt(0)
	s_waitcnt_vscnt null, 0x0
	s_barrier
	buffer_gl0_inv
	v_cmpx_ne_u32_e32 0, v0
	s_cbranch_execz .LBB55_548
; %bb.539:
	s_and_not1_b32 vcc_lo, exec_lo, s2
	s_cbranch_vccnz .LBB55_541
; %bb.540:
	scratch_load_b64 v[113:114], v117, off
	ds_load_b64 v[118:119], v116
	s_waitcnt vmcnt(0) lgkmcnt(0)
	v_mul_f64 v[113:114], v[113:114], v[118:119]
	s_cbranch_execz .LBB55_542
	s_branch .LBB55_543
.LBB55_541:
                                        ; implicit-def: $vgpr113_vgpr114
.LBB55_542:
	ds_load_b64 v[113:114], v116
.LBB55_543:
	s_and_saveexec_b32 s4, s1
	s_cbranch_execz .LBB55_547
; %bb.544:
	v_or_b32_e64 v118, 0, 8
	v_add_nc_u32_e32 v119, -1, v0
	s_movk_i32 s5, 0x1c8
	s_mov_b32 s1, 0
.LBB55_545:                             ; =>This Inner Loop Header: Depth=1
	scratch_load_b64 v[120:121], v118, off
	v_dual_mov_b32 v122, s5 :: v_dual_add_nc_u32 v119, -1, v119
	v_add_nc_u32_e32 v118, 8, v118
	s_add_i32 s5, s5, 8
	ds_load_b64 v[122:123], v122
	v_cmp_eq_u32_e32 vcc_lo, 0, v119
	s_or_b32 s1, vcc_lo, s1
	s_waitcnt vmcnt(0) lgkmcnt(0)
	v_fma_f64 v[113:114], v[120:121], v[122:123], v[113:114]
	s_and_not1_b32 exec_lo, exec_lo, s1
	s_cbranch_execnz .LBB55_545
; %bb.546:
	s_or_b32 exec_lo, exec_lo, s1
.LBB55_547:
	s_delay_alu instid0(SALU_CYCLE_1)
	s_or_b32 exec_lo, exec_lo, s4
	v_mov_b32_e32 v118, 0
	ds_load_b64 v[118:119], v118
	s_waitcnt lgkmcnt(0)
	v_mul_f64 v[113:114], v[113:114], v[118:119]
	scratch_store_b64 off, v[113:114], off
.LBB55_548:
	s_or_b32 exec_lo, exec_lo, s3
.LBB55_549:
	s_delay_alu instid0(SALU_CYCLE_1)
	s_and_b32 vcc_lo, exec_lo, s0
	s_cbranch_vccz .LBB55_1095
; %bb.550:
	scratch_load_b64 v[113:114], off, off offset:8
	v_cmp_eq_u32_e64 s0, 0, v0
	s_waitcnt vmcnt(0)
	ds_store_b64 v116, v[113:114]
	s_waitcnt lgkmcnt(0)
	s_waitcnt_vscnt null, 0x0
	s_barrier
	buffer_gl0_inv
	s_and_saveexec_b32 s1, s0
	s_cbranch_execz .LBB55_556
; %bb.551:
	s_and_b32 vcc_lo, exec_lo, s2
	s_cbranch_vccz .LBB55_553
; %bb.552:
	scratch_load_b64 v[113:114], v117, off
	ds_load_b64 v[118:119], v116
	s_waitcnt vmcnt(0) lgkmcnt(0)
	v_mul_f64 v[113:114], v[113:114], v[118:119]
	s_cbranch_execz .LBB55_554
	s_branch .LBB55_555
.LBB55_553:
                                        ; implicit-def: $vgpr113_vgpr114
.LBB55_554:
	ds_load_b64 v[113:114], v116
.LBB55_555:
	v_mov_b32_e32 v118, 0
	ds_load_b64 v[118:119], v118 offset:8
	s_waitcnt lgkmcnt(0)
	v_mul_f64 v[113:114], v[113:114], v[118:119]
	scratch_store_b64 off, v[113:114], off offset:8
.LBB55_556:
	s_or_b32 exec_lo, exec_lo, s1
	scratch_load_b64 v[113:114], off, off offset:16
	v_cndmask_b32_e64 v118, 0, 1, s2
	s_mov_b32 s1, exec_lo
	s_waitcnt vmcnt(0)
	ds_store_b64 v116, v[113:114]
	s_waitcnt lgkmcnt(0)
	s_waitcnt_vscnt null, 0x0
	s_barrier
	buffer_gl0_inv
	v_cmpx_gt_u32_e32 2, v0
	s_cbranch_execz .LBB55_564
; %bb.557:
	s_and_not1_b32 vcc_lo, exec_lo, s2
	s_cbranch_vccnz .LBB55_559
; %bb.558:
	scratch_load_b64 v[113:114], v117, off
	ds_load_b64 v[119:120], v116
	s_waitcnt vmcnt(0) lgkmcnt(0)
	v_mul_f64 v[113:114], v[113:114], v[119:120]
	s_cbranch_execz .LBB55_560
	s_branch .LBB55_561
.LBB55_559:
                                        ; implicit-def: $vgpr113_vgpr114
.LBB55_560:
	ds_load_b64 v[113:114], v116
.LBB55_561:
	s_and_saveexec_b32 s2, s0
	s_cbranch_execz .LBB55_563
; %bb.562:
	scratch_load_b64 v[119:120], v117, off offset:8
	ds_load_b64 v[121:122], v116 offset:8
	s_waitcnt vmcnt(0) lgkmcnt(0)
	v_fma_f64 v[113:114], v[119:120], v[121:122], v[113:114]
.LBB55_563:
	s_or_b32 exec_lo, exec_lo, s2
	v_mov_b32_e32 v119, 0
	ds_load_b64 v[119:120], v119 offset:16
	s_waitcnt lgkmcnt(0)
	v_mul_f64 v[113:114], v[113:114], v[119:120]
	scratch_store_b64 off, v[113:114], off offset:16
.LBB55_564:
	s_or_b32 exec_lo, exec_lo, s1
	scratch_load_b64 v[113:114], off, off offset:24
	s_mov_b32 s1, exec_lo
	s_waitcnt vmcnt(0)
	ds_store_b64 v116, v[113:114]
	s_waitcnt lgkmcnt(0)
	s_waitcnt_vscnt null, 0x0
	s_barrier
	buffer_gl0_inv
	v_cmpx_gt_u32_e32 3, v0
	s_cbranch_execz .LBB55_574
; %bb.565:
	v_cmp_ne_u32_e32 vcc_lo, 1, v118
	s_cbranch_vccnz .LBB55_567
; %bb.566:
	scratch_load_b64 v[113:114], v117, off
	ds_load_b64 v[119:120], v116
	s_waitcnt vmcnt(0) lgkmcnt(0)
	v_mul_f64 v[113:114], v[113:114], v[119:120]
	s_cbranch_execz .LBB55_568
	s_branch .LBB55_569
.LBB55_567:
                                        ; implicit-def: $vgpr113_vgpr114
.LBB55_568:
	ds_load_b64 v[113:114], v116
.LBB55_569:
	s_mov_b32 s2, exec_lo
	v_cmpx_ne_u32_e32 2, v0
	s_cbranch_execz .LBB55_573
; %bb.570:
	scratch_load_b64 v[119:120], v117, off offset:8
	ds_load_b64 v[121:122], v116 offset:8
	s_waitcnt vmcnt(0) lgkmcnt(0)
	v_fma_f64 v[113:114], v[119:120], v[121:122], v[113:114]
	s_and_saveexec_b32 s3, s0
	s_cbranch_execz .LBB55_572
; %bb.571:
	scratch_load_b64 v[119:120], off, off offset:16
	v_mov_b32_e32 v121, 0
	ds_load_b64 v[121:122], v121 offset:464
	s_waitcnt vmcnt(0) lgkmcnt(0)
	v_fma_f64 v[113:114], v[119:120], v[121:122], v[113:114]
.LBB55_572:
	s_or_b32 exec_lo, exec_lo, s3
.LBB55_573:
	s_delay_alu instid0(SALU_CYCLE_1)
	s_or_b32 exec_lo, exec_lo, s2
	v_mov_b32_e32 v119, 0
	ds_load_b64 v[119:120], v119 offset:24
	s_waitcnt lgkmcnt(0)
	v_mul_f64 v[113:114], v[113:114], v[119:120]
	scratch_store_b64 off, v[113:114], off offset:24
.LBB55_574:
	s_or_b32 exec_lo, exec_lo, s1
	scratch_load_b64 v[113:114], off, off offset:32
	s_mov_b32 s0, exec_lo
	s_waitcnt vmcnt(0)
	ds_store_b64 v116, v[113:114]
	s_waitcnt lgkmcnt(0)
	s_waitcnt_vscnt null, 0x0
	s_barrier
	buffer_gl0_inv
	v_cmpx_gt_u32_e32 4, v0
	s_cbranch_execz .LBB55_584
; %bb.575:
	v_cmp_ne_u32_e32 vcc_lo, 1, v118
	s_cbranch_vccnz .LBB55_577
; %bb.576:
	scratch_load_b64 v[113:114], v117, off
	ds_load_b64 v[119:120], v116
	s_waitcnt vmcnt(0) lgkmcnt(0)
	v_mul_f64 v[113:114], v[113:114], v[119:120]
	s_cbranch_execz .LBB55_578
	s_branch .LBB55_579
.LBB55_577:
                                        ; implicit-def: $vgpr113_vgpr114
.LBB55_578:
	ds_load_b64 v[113:114], v116
.LBB55_579:
	s_mov_b32 s1, exec_lo
	v_cmpx_ne_u32_e32 3, v0
	s_cbranch_execz .LBB55_583
; %bb.580:
	v_add_nc_u32_e32 v119, 0x1c8, v115
	v_add3_u32 v120, 0, v115, 8
	v_mov_b32_e32 v121, v0
	s_mov_b32 s2, 0
.LBB55_581:                             ; =>This Inner Loop Header: Depth=1
	scratch_load_b64 v[122:123], v120, off
	ds_load_b64 v[124:125], v119
	v_add_nc_u32_e32 v121, 1, v121
	v_add_nc_u32_e32 v119, 8, v119
	v_add_nc_u32_e32 v120, 8, v120
	s_delay_alu instid0(VALU_DEP_3)
	v_cmp_lt_u32_e32 vcc_lo, 2, v121
	s_or_b32 s2, vcc_lo, s2
	s_waitcnt vmcnt(0) lgkmcnt(0)
	v_fma_f64 v[113:114], v[122:123], v[124:125], v[113:114]
	s_and_not1_b32 exec_lo, exec_lo, s2
	s_cbranch_execnz .LBB55_581
; %bb.582:
	s_or_b32 exec_lo, exec_lo, s2
.LBB55_583:
	s_delay_alu instid0(SALU_CYCLE_1)
	s_or_b32 exec_lo, exec_lo, s1
	v_mov_b32_e32 v119, 0
	ds_load_b64 v[119:120], v119 offset:32
	s_waitcnt lgkmcnt(0)
	v_mul_f64 v[113:114], v[113:114], v[119:120]
	scratch_store_b64 off, v[113:114], off offset:32
.LBB55_584:
	s_or_b32 exec_lo, exec_lo, s0
	scratch_load_b64 v[113:114], off, off offset:40
	s_mov_b32 s0, exec_lo
	s_waitcnt vmcnt(0)
	ds_store_b64 v116, v[113:114]
	s_waitcnt lgkmcnt(0)
	s_waitcnt_vscnt null, 0x0
	s_barrier
	buffer_gl0_inv
	v_cmpx_gt_u32_e32 5, v0
	s_cbranch_execz .LBB55_594
; %bb.585:
	v_cmp_ne_u32_e32 vcc_lo, 1, v118
	s_cbranch_vccnz .LBB55_587
; %bb.586:
	scratch_load_b64 v[113:114], v117, off
	ds_load_b64 v[119:120], v116
	s_waitcnt vmcnt(0) lgkmcnt(0)
	v_mul_f64 v[113:114], v[113:114], v[119:120]
	s_cbranch_execz .LBB55_588
	s_branch .LBB55_589
.LBB55_587:
                                        ; implicit-def: $vgpr113_vgpr114
.LBB55_588:
	ds_load_b64 v[113:114], v116
.LBB55_589:
	s_mov_b32 s1, exec_lo
	v_cmpx_ne_u32_e32 4, v0
	s_cbranch_execz .LBB55_593
; %bb.590:
	v_add_nc_u32_e32 v119, 0x1c8, v115
	v_add3_u32 v120, 0, v115, 8
	v_mov_b32_e32 v121, v0
	s_mov_b32 s2, 0
.LBB55_591:                             ; =>This Inner Loop Header: Depth=1
	scratch_load_b64 v[122:123], v120, off
	ds_load_b64 v[124:125], v119
	v_add_nc_u32_e32 v121, 1, v121
	v_add_nc_u32_e32 v119, 8, v119
	v_add_nc_u32_e32 v120, 8, v120
	s_delay_alu instid0(VALU_DEP_3)
	v_cmp_lt_u32_e32 vcc_lo, 3, v121
	s_or_b32 s2, vcc_lo, s2
	s_waitcnt vmcnt(0) lgkmcnt(0)
	v_fma_f64 v[113:114], v[122:123], v[124:125], v[113:114]
	s_and_not1_b32 exec_lo, exec_lo, s2
	s_cbranch_execnz .LBB55_591
; %bb.592:
	s_or_b32 exec_lo, exec_lo, s2
.LBB55_593:
	s_delay_alu instid0(SALU_CYCLE_1)
	s_or_b32 exec_lo, exec_lo, s1
	v_mov_b32_e32 v119, 0
	ds_load_b64 v[119:120], v119 offset:40
	s_waitcnt lgkmcnt(0)
	v_mul_f64 v[113:114], v[113:114], v[119:120]
	scratch_store_b64 off, v[113:114], off offset:40
.LBB55_594:
	;; [unrolled: 58-line block ×42, first 2 shown]
	s_or_b32 exec_lo, exec_lo, s0
	scratch_load_b64 v[113:114], off, off offset:368
	s_mov_b32 s0, exec_lo
	s_waitcnt vmcnt(0)
	ds_store_b64 v116, v[113:114]
	s_waitcnt lgkmcnt(0)
	s_waitcnt_vscnt null, 0x0
	s_barrier
	buffer_gl0_inv
	v_cmpx_gt_u32_e32 46, v0
	s_cbranch_execz .LBB55_1004
; %bb.995:
	v_cmp_ne_u32_e32 vcc_lo, 1, v118
	s_cbranch_vccnz .LBB55_997
; %bb.996:
	scratch_load_b64 v[113:114], v117, off
	ds_load_b64 v[119:120], v116
	s_waitcnt vmcnt(0) lgkmcnt(0)
	v_mul_f64 v[113:114], v[113:114], v[119:120]
	s_cbranch_execz .LBB55_998
	s_branch .LBB55_999
.LBB55_997:
                                        ; implicit-def: $vgpr113_vgpr114
.LBB55_998:
	ds_load_b64 v[113:114], v116
.LBB55_999:
	s_mov_b32 s1, exec_lo
	v_cmpx_ne_u32_e32 45, v0
	s_cbranch_execz .LBB55_1003
; %bb.1000:
	v_add_nc_u32_e32 v119, 0x1c8, v115
	v_add3_u32 v120, 0, v115, 8
	v_mov_b32_e32 v121, v0
	s_mov_b32 s2, 0
.LBB55_1001:                            ; =>This Inner Loop Header: Depth=1
	scratch_load_b64 v[122:123], v120, off
	ds_load_b64 v[124:125], v119
	v_add_nc_u32_e32 v121, 1, v121
	v_add_nc_u32_e32 v119, 8, v119
	v_add_nc_u32_e32 v120, 8, v120
	s_delay_alu instid0(VALU_DEP_3)
	v_cmp_lt_u32_e32 vcc_lo, 44, v121
	s_or_b32 s2, vcc_lo, s2
	s_waitcnt vmcnt(0) lgkmcnt(0)
	v_fma_f64 v[113:114], v[122:123], v[124:125], v[113:114]
	s_and_not1_b32 exec_lo, exec_lo, s2
	s_cbranch_execnz .LBB55_1001
; %bb.1002:
	s_or_b32 exec_lo, exec_lo, s2
.LBB55_1003:
	s_delay_alu instid0(SALU_CYCLE_1)
	s_or_b32 exec_lo, exec_lo, s1
	v_mov_b32_e32 v119, 0
	ds_load_b64 v[119:120], v119 offset:368
	s_waitcnt lgkmcnt(0)
	v_mul_f64 v[113:114], v[113:114], v[119:120]
	scratch_store_b64 off, v[113:114], off offset:368
.LBB55_1004:
	s_or_b32 exec_lo, exec_lo, s0
	scratch_load_b64 v[113:114], off, off offset:376
	s_mov_b32 s0, exec_lo
	s_waitcnt vmcnt(0)
	ds_store_b64 v116, v[113:114]
	s_waitcnt lgkmcnt(0)
	s_waitcnt_vscnt null, 0x0
	s_barrier
	buffer_gl0_inv
	v_cmpx_gt_u32_e32 47, v0
	s_cbranch_execz .LBB55_1014
; %bb.1005:
	v_cmp_ne_u32_e32 vcc_lo, 1, v118
	s_cbranch_vccnz .LBB55_1007
; %bb.1006:
	scratch_load_b64 v[113:114], v117, off
	ds_load_b64 v[119:120], v116
	s_waitcnt vmcnt(0) lgkmcnt(0)
	v_mul_f64 v[113:114], v[113:114], v[119:120]
	s_cbranch_execz .LBB55_1008
	s_branch .LBB55_1009
.LBB55_1007:
                                        ; implicit-def: $vgpr113_vgpr114
.LBB55_1008:
	ds_load_b64 v[113:114], v116
.LBB55_1009:
	s_mov_b32 s1, exec_lo
	v_cmpx_ne_u32_e32 46, v0
	s_cbranch_execz .LBB55_1013
; %bb.1010:
	v_add_nc_u32_e32 v119, 0x1c8, v115
	v_add3_u32 v120, 0, v115, 8
	v_mov_b32_e32 v121, v0
	s_mov_b32 s2, 0
.LBB55_1011:                            ; =>This Inner Loop Header: Depth=1
	scratch_load_b64 v[122:123], v120, off
	ds_load_b64 v[124:125], v119
	v_add_nc_u32_e32 v121, 1, v121
	v_add_nc_u32_e32 v119, 8, v119
	v_add_nc_u32_e32 v120, 8, v120
	s_delay_alu instid0(VALU_DEP_3)
	v_cmp_lt_u32_e32 vcc_lo, 45, v121
	s_or_b32 s2, vcc_lo, s2
	s_waitcnt vmcnt(0) lgkmcnt(0)
	v_fma_f64 v[113:114], v[122:123], v[124:125], v[113:114]
	s_and_not1_b32 exec_lo, exec_lo, s2
	s_cbranch_execnz .LBB55_1011
; %bb.1012:
	s_or_b32 exec_lo, exec_lo, s2
.LBB55_1013:
	s_delay_alu instid0(SALU_CYCLE_1)
	s_or_b32 exec_lo, exec_lo, s1
	v_mov_b32_e32 v119, 0
	ds_load_b64 v[119:120], v119 offset:376
	s_waitcnt lgkmcnt(0)
	v_mul_f64 v[113:114], v[113:114], v[119:120]
	scratch_store_b64 off, v[113:114], off offset:376
.LBB55_1014:
	;; [unrolled: 58-line block ×8, first 2 shown]
	s_or_b32 exec_lo, exec_lo, s0
	scratch_load_b64 v[113:114], off, off offset:432
	v_cmp_gt_u32_e64 s0, 54, v0
	s_waitcnt vmcnt(0)
	ds_store_b64 v116, v[113:114]
	s_waitcnt lgkmcnt(0)
	s_waitcnt_vscnt null, 0x0
	s_barrier
	buffer_gl0_inv
	s_and_saveexec_b32 s1, s0
	s_cbranch_execz .LBB55_1084
; %bb.1075:
	v_cmp_ne_u32_e32 vcc_lo, 1, v118
	s_cbranch_vccnz .LBB55_1077
; %bb.1076:
	scratch_load_b64 v[113:114], v117, off
	ds_load_b64 v[119:120], v116
	s_waitcnt vmcnt(0) lgkmcnt(0)
	v_mul_f64 v[113:114], v[113:114], v[119:120]
	s_cbranch_execz .LBB55_1078
	s_branch .LBB55_1079
.LBB55_1077:
                                        ; implicit-def: $vgpr113_vgpr114
.LBB55_1078:
	ds_load_b64 v[113:114], v116
.LBB55_1079:
	s_mov_b32 s2, exec_lo
	v_cmpx_ne_u32_e32 53, v0
	s_cbranch_execz .LBB55_1083
; %bb.1080:
	v_add_nc_u32_e32 v119, 0x1c8, v115
	v_add3_u32 v120, 0, v115, 8
	v_mov_b32_e32 v121, v0
	s_mov_b32 s3, 0
.LBB55_1081:                            ; =>This Inner Loop Header: Depth=1
	scratch_load_b64 v[122:123], v120, off
	ds_load_b64 v[124:125], v119
	v_add_nc_u32_e32 v121, 1, v121
	v_add_nc_u32_e32 v119, 8, v119
	;; [unrolled: 1-line block ×3, first 2 shown]
	s_delay_alu instid0(VALU_DEP_3)
	v_cmp_lt_u32_e32 vcc_lo, 52, v121
	s_or_b32 s3, vcc_lo, s3
	s_waitcnt vmcnt(0) lgkmcnt(0)
	v_fma_f64 v[113:114], v[122:123], v[124:125], v[113:114]
	s_and_not1_b32 exec_lo, exec_lo, s3
	s_cbranch_execnz .LBB55_1081
; %bb.1082:
	s_or_b32 exec_lo, exec_lo, s3
.LBB55_1083:
	s_delay_alu instid0(SALU_CYCLE_1)
	s_or_b32 exec_lo, exec_lo, s2
	v_mov_b32_e32 v119, 0
	ds_load_b64 v[119:120], v119 offset:432
	s_waitcnt lgkmcnt(0)
	v_mul_f64 v[113:114], v[113:114], v[119:120]
	scratch_store_b64 off, v[113:114], off offset:432
.LBB55_1084:
	s_or_b32 exec_lo, exec_lo, s1
	scratch_load_b64 v[113:114], off, off offset:440
	s_mov_b32 s1, exec_lo
	s_waitcnt vmcnt(0)
	ds_store_b64 v116, v[113:114]
	s_waitcnt lgkmcnt(0)
	s_waitcnt_vscnt null, 0x0
	s_barrier
	buffer_gl0_inv
	v_cmpx_ne_u32_e32 55, v0
	s_cbranch_execz .LBB55_1094
; %bb.1085:
	v_cmp_ne_u32_e32 vcc_lo, 1, v118
	s_cbranch_vccnz .LBB55_1087
; %bb.1086:
	scratch_load_b64 v[113:114], v117, off
	ds_load_b64 v[117:118], v116
	s_waitcnt vmcnt(0) lgkmcnt(0)
	v_mul_f64 v[113:114], v[113:114], v[117:118]
	s_cbranch_execz .LBB55_1088
	s_branch .LBB55_1089
.LBB55_1087:
                                        ; implicit-def: $vgpr113_vgpr114
.LBB55_1088:
	ds_load_b64 v[113:114], v116
.LBB55_1089:
	s_and_saveexec_b32 s2, s0
	s_cbranch_execz .LBB55_1093
; %bb.1090:
	v_add_nc_u32_e32 v116, 0x1c8, v115
	v_add3_u32 v115, 0, v115, 8
	s_mov_b32 s0, 0
.LBB55_1091:                            ; =>This Inner Loop Header: Depth=1
	scratch_load_b64 v[117:118], v115, off
	ds_load_b64 v[119:120], v116
	v_add_nc_u32_e32 v0, 1, v0
	v_add_nc_u32_e32 v116, 8, v116
	;; [unrolled: 1-line block ×3, first 2 shown]
	s_delay_alu instid0(VALU_DEP_3)
	v_cmp_lt_u32_e32 vcc_lo, 53, v0
	s_or_b32 s0, vcc_lo, s0
	s_waitcnt vmcnt(0) lgkmcnt(0)
	v_fma_f64 v[113:114], v[117:118], v[119:120], v[113:114]
	s_and_not1_b32 exec_lo, exec_lo, s0
	s_cbranch_execnz .LBB55_1091
; %bb.1092:
	s_or_b32 exec_lo, exec_lo, s0
.LBB55_1093:
	s_delay_alu instid0(SALU_CYCLE_1)
	s_or_b32 exec_lo, exec_lo, s2
	v_mov_b32_e32 v0, 0
	ds_load_b64 v[115:116], v0 offset:440
	s_waitcnt lgkmcnt(0)
	v_mul_f64 v[113:114], v[113:114], v[115:116]
	scratch_store_b64 off, v[113:114], off offset:440
.LBB55_1094:
	s_or_b32 exec_lo, exec_lo, s1
.LBB55_1095:
	s_clause 0xc
	scratch_load_b128 v[113:116], off, off
	scratch_load_b128 v[117:120], off, off offset:16
	scratch_load_b128 v[121:124], off, off offset:32
	scratch_load_b128 v[125:128], off, off offset:48
	scratch_load_b128 v[129:132], off, off offset:64
	scratch_load_b128 v[133:136], off, off offset:80
	scratch_load_b128 v[137:140], off, off offset:96
	scratch_load_b128 v[141:144], off, off offset:112
	scratch_load_b128 v[145:148], off, off offset:128
	scratch_load_b128 v[149:152], off, off offset:144
	scratch_load_b128 v[153:156], off, off offset:160
	scratch_load_b128 v[157:160], off, off offset:176
	scratch_load_b128 v[161:164], off, off offset:192
	s_waitcnt vmcnt(12)
	s_clause 0x1
	global_store_b64 v[23:24], v[113:114], off
	global_store_b64 v[21:22], v[115:116], off
	s_clause 0x1
	scratch_load_b128 v[21:24], off, off offset:208
	scratch_load_b128 v[113:116], off, off offset:224
	s_waitcnt vmcnt(13)
	s_clause 0x1
	global_store_b64 v[27:28], v[117:118], off
	global_store_b64 v[31:32], v[119:120], off
	scratch_load_b128 v[117:120], off, off offset:240
	s_waitcnt vmcnt(13)
	global_store_b64 v[29:30], v[121:122], off
	scratch_load_b128 v[27:30], off, off offset:256
	global_store_b64 v[25:26], v[123:124], off
	scratch_load_b128 v[121:124], off, off offset:272
	s_waitcnt vmcnt(14)
	global_store_b64 v[33:34], v[125:126], off
	scratch_load_b128 v[31:34], off, off offset:288
	;; [unrolled: 5-line block ×6, first 2 shown]
	global_store_b64 v[51:52], v[143:144], off
	scratch_load_b128 v[141:144], off, off offset:432
	s_waitcnt vmcnt(19)
	s_clause 0x1
	global_store_b64 v[53:54], v[145:146], off
	global_store_b64 v[55:56], v[147:148], off
	s_waitcnt vmcnt(18)
	s_clause 0x1
	global_store_b64 v[57:58], v[149:150], off
	global_store_b64 v[59:60], v[151:152], off
	;; [unrolled: 4-line block ×20, first 2 shown]
.LBB55_1096:
	s_endpgm
	.section	.rodata,"a",@progbits
	.p2align	6, 0x0
	.amdhsa_kernel _ZN9rocsolver6v33100L18trti2_kernel_smallILi56EdPdEEv13rocblas_fill_17rocblas_diagonal_T1_iil
		.amdhsa_group_segment_fixed_size 896
		.amdhsa_private_segment_fixed_size 464
		.amdhsa_kernarg_size 32
		.amdhsa_user_sgpr_count 15
		.amdhsa_user_sgpr_dispatch_ptr 0
		.amdhsa_user_sgpr_queue_ptr 0
		.amdhsa_user_sgpr_kernarg_segment_ptr 1
		.amdhsa_user_sgpr_dispatch_id 0
		.amdhsa_user_sgpr_private_segment_size 0
		.amdhsa_wavefront_size32 1
		.amdhsa_uses_dynamic_stack 0
		.amdhsa_enable_private_segment 1
		.amdhsa_system_sgpr_workgroup_id_x 1
		.amdhsa_system_sgpr_workgroup_id_y 0
		.amdhsa_system_sgpr_workgroup_id_z 0
		.amdhsa_system_sgpr_workgroup_info 0
		.amdhsa_system_vgpr_workitem_id 0
		.amdhsa_next_free_vgpr 190
		.amdhsa_next_free_sgpr 25
		.amdhsa_reserve_vcc 1
		.amdhsa_float_round_mode_32 0
		.amdhsa_float_round_mode_16_64 0
		.amdhsa_float_denorm_mode_32 3
		.amdhsa_float_denorm_mode_16_64 3
		.amdhsa_dx10_clamp 1
		.amdhsa_ieee_mode 1
		.amdhsa_fp16_overflow 0
		.amdhsa_workgroup_processor_mode 1
		.amdhsa_memory_ordered 1
		.amdhsa_forward_progress 0
		.amdhsa_shared_vgpr_count 0
		.amdhsa_exception_fp_ieee_invalid_op 0
		.amdhsa_exception_fp_denorm_src 0
		.amdhsa_exception_fp_ieee_div_zero 0
		.amdhsa_exception_fp_ieee_overflow 0
		.amdhsa_exception_fp_ieee_underflow 0
		.amdhsa_exception_fp_ieee_inexact 0
		.amdhsa_exception_int_div_zero 0
	.end_amdhsa_kernel
	.section	.text._ZN9rocsolver6v33100L18trti2_kernel_smallILi56EdPdEEv13rocblas_fill_17rocblas_diagonal_T1_iil,"axG",@progbits,_ZN9rocsolver6v33100L18trti2_kernel_smallILi56EdPdEEv13rocblas_fill_17rocblas_diagonal_T1_iil,comdat
.Lfunc_end55:
	.size	_ZN9rocsolver6v33100L18trti2_kernel_smallILi56EdPdEEv13rocblas_fill_17rocblas_diagonal_T1_iil, .Lfunc_end55-_ZN9rocsolver6v33100L18trti2_kernel_smallILi56EdPdEEv13rocblas_fill_17rocblas_diagonal_T1_iil
                                        ; -- End function
	.section	.AMDGPU.csdata,"",@progbits
; Kernel info:
; codeLenInByte = 30680
; NumSgprs: 27
; NumVgprs: 190
; ScratchSize: 464
; MemoryBound: 0
; FloatMode: 240
; IeeeMode: 1
; LDSByteSize: 896 bytes/workgroup (compile time only)
; SGPRBlocks: 3
; VGPRBlocks: 23
; NumSGPRsForWavesPerEU: 27
; NumVGPRsForWavesPerEU: 190
; Occupancy: 8
; WaveLimiterHint : 0
; COMPUTE_PGM_RSRC2:SCRATCH_EN: 1
; COMPUTE_PGM_RSRC2:USER_SGPR: 15
; COMPUTE_PGM_RSRC2:TRAP_HANDLER: 0
; COMPUTE_PGM_RSRC2:TGID_X_EN: 1
; COMPUTE_PGM_RSRC2:TGID_Y_EN: 0
; COMPUTE_PGM_RSRC2:TGID_Z_EN: 0
; COMPUTE_PGM_RSRC2:TIDIG_COMP_CNT: 0
	.section	.text._ZN9rocsolver6v33100L18trti2_kernel_smallILi57EdPdEEv13rocblas_fill_17rocblas_diagonal_T1_iil,"axG",@progbits,_ZN9rocsolver6v33100L18trti2_kernel_smallILi57EdPdEEv13rocblas_fill_17rocblas_diagonal_T1_iil,comdat
	.globl	_ZN9rocsolver6v33100L18trti2_kernel_smallILi57EdPdEEv13rocblas_fill_17rocblas_diagonal_T1_iil ; -- Begin function _ZN9rocsolver6v33100L18trti2_kernel_smallILi57EdPdEEv13rocblas_fill_17rocblas_diagonal_T1_iil
	.p2align	8
	.type	_ZN9rocsolver6v33100L18trti2_kernel_smallILi57EdPdEEv13rocblas_fill_17rocblas_diagonal_T1_iil,@function
_ZN9rocsolver6v33100L18trti2_kernel_smallILi57EdPdEEv13rocblas_fill_17rocblas_diagonal_T1_iil: ; @_ZN9rocsolver6v33100L18trti2_kernel_smallILi57EdPdEEv13rocblas_fill_17rocblas_diagonal_T1_iil
; %bb.0:
	s_mov_b32 s2, exec_lo
	v_cmpx_gt_u32_e32 57, v0
	s_cbranch_execz .LBB56_1116
; %bb.1:
	s_load_b256 s[0:7], s[0:1], 0x0
	s_ashr_i32 s10, s15, 31
	v_lshlrev_b32_e32 v149, 3, v0
	s_waitcnt lgkmcnt(0)
	s_ashr_i32 s9, s4, 31
	s_mov_b32 s8, s4
	s_mul_i32 s4, s15, s7
	s_mul_hi_u32 s7, s15, s6
	s_mul_i32 s11, s10, s6
	s_add_i32 s4, s7, s4
	v_add3_u32 v1, s5, s5, v0
	s_mul_i32 s6, s15, s6
	s_add_i32 s7, s4, s11
	s_mov_b32 s10, s5
	s_lshl_b64 s[6:7], s[6:7], 3
	v_add_nc_u32_e32 v3, s5, v1
	s_add_u32 s4, s2, s6
	s_addc_u32 s6, s3, s7
	s_lshl_b64 s[2:3], s[8:9], 3
	v_ashrrev_i32_e32 v2, 31, v1
	s_add_u32 s2, s4, s2
	v_add_nc_u32_e32 v7, s5, v3
	s_addc_u32 s3, s6, s3
	v_add_co_u32 v59, s4, s2, v149
	s_ashr_i32 s11, s5, 31
	v_lshlrev_b64 v[5:6], 3, v[1:2]
	v_add_co_ci_u32_e64 v60, null, s3, 0, s4
	s_lshl_b64 s[6:7], s[10:11], 3
	v_ashrrev_i32_e32 v8, 31, v7
	v_add_co_u32 v57, vcc_lo, v59, s6
	s_delay_alu instid0(VALU_DEP_3)
	v_add_co_ci_u32_e32 v58, vcc_lo, s7, v60, vcc_lo
	v_add_co_u32 v53, vcc_lo, s2, v5
	v_add_co_ci_u32_e32 v54, vcc_lo, s3, v6, vcc_lo
	v_lshlrev_b64 v[5:6], 3, v[7:8]
	v_add_nc_u32_e32 v7, s5, v7
	v_ashrrev_i32_e32 v4, 31, v3
	global_load_b64 v[1:2], v149, s[2:3]
	s_cmpk_lg_i32 s1, 0x84
	v_add_nc_u32_e32 v11, s5, v7
	v_lshlrev_b64 v[3:4], 3, v[3:4]
	v_ashrrev_i32_e32 v8, 31, v7
	s_delay_alu instid0(VALU_DEP_3) | instskip(SKIP_1) | instid1(VALU_DEP_4)
	v_add_nc_u32_e32 v15, s5, v11
	v_ashrrev_i32_e32 v12, 31, v11
	v_add_co_u32 v55, vcc_lo, s2, v3
	s_delay_alu instid0(VALU_DEP_4) | instskip(NEXT) | instid1(VALU_DEP_4)
	v_lshlrev_b64 v[13:14], 3, v[7:8]
	v_add_nc_u32_e32 v17, s5, v15
	v_add_co_ci_u32_e32 v56, vcc_lo, s3, v4, vcc_lo
	v_add_co_u32 v61, vcc_lo, s2, v5
	v_ashrrev_i32_e32 v16, 31, v15
	v_add_co_ci_u32_e32 v62, vcc_lo, s3, v6, vcc_lo
	v_lshlrev_b64 v[11:12], 3, v[11:12]
	v_add_co_u32 v67, vcc_lo, s2, v13
	v_add_nc_u32_e32 v21, s5, v17
	v_add_co_ci_u32_e32 v68, vcc_lo, s3, v14, vcc_lo
	v_lshlrev_b64 v[13:14], 3, v[15:16]
	v_ashrrev_i32_e32 v18, 31, v17
	v_add_co_u32 v71, vcc_lo, s2, v11
	v_ashrrev_i32_e32 v22, 31, v21
	v_add_co_ci_u32_e32 v72, vcc_lo, s3, v12, vcc_lo
	s_delay_alu instid0(VALU_DEP_4) | instskip(SKIP_3) | instid1(VALU_DEP_4)
	v_lshlrev_b64 v[11:12], 3, v[17:18]
	v_add_co_u32 v69, vcc_lo, s2, v13
	v_add_co_ci_u32_e32 v70, vcc_lo, s3, v14, vcc_lo
	v_lshlrev_b64 v[13:14], 3, v[21:22]
	v_add_co_u32 v65, vcc_lo, s2, v11
	v_add_co_ci_u32_e32 v66, vcc_lo, s3, v12, vcc_lo
	s_clause 0x3
	global_load_b64 v[3:4], v[57:58], off
	global_load_b64 v[5:6], v[53:54], off
	;; [unrolled: 1-line block ×4, first 2 shown]
	v_add_co_u32 v63, vcc_lo, s2, v13
	v_add_co_ci_u32_e32 v64, vcc_lo, s3, v14, vcc_lo
	s_clause 0x4
	global_load_b64 v[11:12], v[67:68], off
	global_load_b64 v[13:14], v[71:72], off
	;; [unrolled: 1-line block ×5, first 2 shown]
	v_add_nc_u32_e32 v21, s5, v21
	s_delay_alu instid0(VALU_DEP_1) | instskip(SKIP_1) | instid1(VALU_DEP_2)
	v_add_nc_u32_e32 v23, s5, v21
	v_ashrrev_i32_e32 v22, 31, v21
	v_add_nc_u32_e32 v25, s5, v23
	s_delay_alu instid0(VALU_DEP_2) | instskip(SKIP_1) | instid1(VALU_DEP_3)
	v_lshlrev_b64 v[21:22], 3, v[21:22]
	v_ashrrev_i32_e32 v24, 31, v23
	v_ashrrev_i32_e32 v26, 31, v25
	v_add_nc_u32_e32 v27, s5, v25
	s_delay_alu instid0(VALU_DEP_4) | instskip(SKIP_1) | instid1(VALU_DEP_4)
	v_add_co_u32 v73, vcc_lo, s2, v21
	v_add_co_ci_u32_e32 v74, vcc_lo, s3, v22, vcc_lo
	v_lshlrev_b64 v[21:22], 3, v[25:26]
	s_delay_alu instid0(VALU_DEP_4) | instskip(SKIP_2) | instid1(VALU_DEP_3)
	v_add_nc_u32_e32 v25, s5, v27
	v_lshlrev_b64 v[23:24], 3, v[23:24]
	v_ashrrev_i32_e32 v28, 31, v27
	v_add_nc_u32_e32 v29, s5, v25
	v_ashrrev_i32_e32 v26, 31, v25
	s_delay_alu instid0(VALU_DEP_4) | instskip(NEXT) | instid1(VALU_DEP_4)
	v_add_co_u32 v75, vcc_lo, s2, v23
	v_lshlrev_b64 v[27:28], 3, v[27:28]
	v_add_co_ci_u32_e32 v76, vcc_lo, s3, v24, vcc_lo
	v_add_co_u32 v77, vcc_lo, s2, v21
	v_ashrrev_i32_e32 v30, 31, v29
	v_add_nc_u32_e32 v33, s5, v29
	v_add_co_ci_u32_e32 v78, vcc_lo, s3, v22, vcc_lo
	v_lshlrev_b64 v[31:32], 3, v[25:26]
	v_add_co_u32 v79, vcc_lo, s2, v27
	v_add_co_ci_u32_e32 v80, vcc_lo, s3, v28, vcc_lo
	v_lshlrev_b64 v[27:28], 3, v[29:30]
	v_ashrrev_i32_e32 v34, 31, v33
	v_add_nc_u32_e32 v29, s5, v33
	v_add_co_u32 v81, vcc_lo, s2, v31
	v_add_co_ci_u32_e32 v82, vcc_lo, s3, v32, vcc_lo
	s_delay_alu instid0(VALU_DEP_4) | instskip(NEXT) | instid1(VALU_DEP_4)
	v_lshlrev_b64 v[31:32], 3, v[33:34]
	v_add_nc_u32_e32 v33, s5, v29
	v_ashrrev_i32_e32 v30, 31, v29
	v_add_co_u32 v85, vcc_lo, s2, v27
	v_add_co_ci_u32_e32 v86, vcc_lo, s3, v28, vcc_lo
	s_delay_alu instid0(VALU_DEP_4) | instskip(NEXT) | instid1(VALU_DEP_4)
	v_add_nc_u32_e32 v37, s5, v33
	v_lshlrev_b64 v[35:36], 3, v[29:30]
	v_ashrrev_i32_e32 v34, 31, v33
	v_add_co_u32 v83, vcc_lo, s2, v31
	s_delay_alu instid0(VALU_DEP_4)
	v_ashrrev_i32_e32 v38, 31, v37
	v_add_nc_u32_e32 v41, s5, v37
	v_add_co_ci_u32_e32 v84, vcc_lo, s3, v32, vcc_lo
	v_lshlrev_b64 v[39:40], 3, v[33:34]
	v_add_co_u32 v87, vcc_lo, s2, v35
	v_add_co_ci_u32_e32 v88, vcc_lo, s3, v36, vcc_lo
	v_lshlrev_b64 v[35:36], 3, v[37:38]
	v_ashrrev_i32_e32 v42, 31, v41
	v_add_nc_u32_e32 v37, s5, v41
	v_add_co_u32 v89, vcc_lo, s2, v39
	v_add_co_ci_u32_e32 v90, vcc_lo, s3, v40, vcc_lo
	s_delay_alu instid0(VALU_DEP_4) | instskip(NEXT) | instid1(VALU_DEP_4)
	v_lshlrev_b64 v[39:40], 3, v[41:42]
	v_add_nc_u32_e32 v41, s5, v37
	v_ashrrev_i32_e32 v38, 31, v37
	v_add_co_u32 v91, vcc_lo, s2, v35
	v_add_co_ci_u32_e32 v92, vcc_lo, s3, v36, vcc_lo
	s_delay_alu instid0(VALU_DEP_4) | instskip(NEXT) | instid1(VALU_DEP_4)
	v_add_nc_u32_e32 v45, s5, v41
	v_lshlrev_b64 v[43:44], 3, v[37:38]
	v_ashrrev_i32_e32 v42, 31, v41
	v_add_co_u32 v93, vcc_lo, s2, v39
	s_delay_alu instid0(VALU_DEP_4)
	v_ashrrev_i32_e32 v46, 31, v45
	v_add_nc_u32_e32 v49, s5, v45
	v_add_co_ci_u32_e32 v94, vcc_lo, s3, v40, vcc_lo
	v_lshlrev_b64 v[47:48], 3, v[41:42]
	v_add_co_u32 v95, vcc_lo, s2, v43
	v_add_co_ci_u32_e32 v96, vcc_lo, s3, v44, vcc_lo
	v_lshlrev_b64 v[43:44], 3, v[45:46]
	v_ashrrev_i32_e32 v50, 31, v49
	v_add_nc_u32_e32 v45, s5, v49
	v_add_co_u32 v97, vcc_lo, s2, v47
	v_add_co_ci_u32_e32 v98, vcc_lo, s3, v48, vcc_lo
	s_delay_alu instid0(VALU_DEP_4) | instskip(NEXT) | instid1(VALU_DEP_4)
	v_lshlrev_b64 v[47:48], 3, v[49:50]
	v_add_nc_u32_e32 v49, s5, v45
	v_ashrrev_i32_e32 v46, 31, v45
	v_add_co_u32 v99, vcc_lo, s2, v43
	v_add_co_ci_u32_e32 v100, vcc_lo, s3, v44, vcc_lo
	s_delay_alu instid0(VALU_DEP_4) | instskip(NEXT) | instid1(VALU_DEP_4)
	v_add_nc_u32_e32 v105, s5, v49
	v_lshlrev_b64 v[51:52], 3, v[45:46]
	v_ashrrev_i32_e32 v50, 31, v49
	v_add_co_u32 v101, vcc_lo, s2, v47
	s_delay_alu instid0(VALU_DEP_4) | instskip(SKIP_3) | instid1(VALU_DEP_4)
	v_add_nc_u32_e32 v109, s5, v105
	v_ashrrev_i32_e32 v106, 31, v105
	v_add_co_ci_u32_e32 v102, vcc_lo, s3, v48, vcc_lo
	v_lshlrev_b64 v[107:108], 3, v[49:50]
	v_add_nc_u32_e32 v111, s5, v109
	v_add_co_u32 v103, vcc_lo, s2, v51
	v_add_co_ci_u32_e32 v104, vcc_lo, s3, v52, vcc_lo
	s_delay_alu instid0(VALU_DEP_3) | instskip(SKIP_3) | instid1(VALU_DEP_4)
	v_add_nc_u32_e32 v113, s5, v111
	v_lshlrev_b64 v[51:52], 3, v[105:106]
	v_ashrrev_i32_e32 v110, 31, v109
	v_add_co_u32 v105, vcc_lo, s2, v107
	v_add_nc_u32_e32 v115, s5, v113
	v_ashrrev_i32_e32 v112, 31, v111
	v_add_co_ci_u32_e32 v106, vcc_lo, s3, v108, vcc_lo
	v_lshlrev_b64 v[109:110], 3, v[109:110]
	s_delay_alu instid0(VALU_DEP_4) | instskip(SKIP_2) | instid1(VALU_DEP_3)
	v_add_nc_u32_e32 v117, s5, v115
	v_add_co_u32 v107, vcc_lo, s2, v51
	v_add_co_ci_u32_e32 v108, vcc_lo, s3, v52, vcc_lo
	v_add_nc_u32_e32 v119, s5, v117
	v_lshlrev_b64 v[51:52], 3, v[111:112]
	v_ashrrev_i32_e32 v114, 31, v113
	v_add_co_u32 v109, vcc_lo, s2, v109
	s_delay_alu instid0(VALU_DEP_4) | instskip(SKIP_3) | instid1(VALU_DEP_4)
	v_add_nc_u32_e32 v121, s5, v119
	v_ashrrev_i32_e32 v116, 31, v115
	v_add_co_ci_u32_e32 v110, vcc_lo, s3, v110, vcc_lo
	v_lshlrev_b64 v[113:114], 3, v[113:114]
	v_add_nc_u32_e32 v123, s5, v121
	v_add_co_u32 v111, vcc_lo, s2, v51
	v_add_co_ci_u32_e32 v112, vcc_lo, s3, v52, vcc_lo
	s_delay_alu instid0(VALU_DEP_3) | instskip(SKIP_3) | instid1(VALU_DEP_4)
	v_add_nc_u32_e32 v125, s5, v123
	v_lshlrev_b64 v[51:52], 3, v[115:116]
	v_ashrrev_i32_e32 v118, 31, v117
	v_add_co_u32 v113, vcc_lo, s2, v113
	v_add_nc_u32_e32 v127, s5, v125
	v_ashrrev_i32_e32 v120, 31, v119
	v_add_co_ci_u32_e32 v114, vcc_lo, s3, v114, vcc_lo
	v_lshlrev_b64 v[117:118], 3, v[117:118]
	s_delay_alu instid0(VALU_DEP_4)
	v_add_nc_u32_e32 v129, s5, v127
	v_add_co_u32 v115, vcc_lo, s2, v51
	v_add_co_ci_u32_e32 v116, vcc_lo, s3, v52, vcc_lo
	v_lshlrev_b64 v[51:52], 3, v[119:120]
	v_ashrrev_i32_e32 v122, 31, v121
	v_add_nc_u32_e32 v131, s5, v129
	v_add_co_u32 v117, vcc_lo, s2, v117
	v_ashrrev_i32_e32 v124, 31, v123
	v_add_co_ci_u32_e32 v118, vcc_lo, s3, v118, vcc_lo
	v_lshlrev_b64 v[121:122], 3, v[121:122]
	v_add_nc_u32_e32 v133, s5, v131
	v_add_co_u32 v119, vcc_lo, s2, v51
	v_add_co_ci_u32_e32 v120, vcc_lo, s3, v52, vcc_lo
	v_lshlrev_b64 v[51:52], 3, v[123:124]
	v_ashrrev_i32_e32 v126, 31, v125
	v_add_nc_u32_e32 v135, s5, v133
	v_add_co_u32 v121, vcc_lo, s2, v121
	v_ashrrev_i32_e32 v128, 31, v127
	v_add_co_ci_u32_e32 v122, vcc_lo, s3, v122, vcc_lo
	v_lshlrev_b64 v[125:126], 3, v[125:126]
	v_add_co_u32 v123, vcc_lo, s2, v51
	v_add_nc_u32_e32 v137, s5, v135
	v_add_co_ci_u32_e32 v124, vcc_lo, s3, v52, vcc_lo
	v_lshlrev_b64 v[51:52], 3, v[127:128]
	v_ashrrev_i32_e32 v130, 31, v129
	v_add_co_u32 v125, vcc_lo, s2, v125
	v_ashrrev_i32_e32 v132, 31, v131
	v_add_nc_u32_e32 v139, s5, v137
	v_add_co_ci_u32_e32 v126, vcc_lo, s3, v126, vcc_lo
	v_lshlrev_b64 v[129:130], 3, v[129:130]
	v_add_co_u32 v127, vcc_lo, s2, v51
	v_add_co_ci_u32_e32 v128, vcc_lo, s3, v52, vcc_lo
	v_lshlrev_b64 v[51:52], 3, v[131:132]
	v_ashrrev_i32_e32 v134, 31, v133
	v_add_nc_u32_e32 v141, s5, v139
	v_add_co_u32 v129, vcc_lo, s2, v129
	v_ashrrev_i32_e32 v136, 31, v135
	v_add_co_ci_u32_e32 v130, vcc_lo, s3, v130, vcc_lo
	v_lshlrev_b64 v[133:134], 3, v[133:134]
	v_add_co_u32 v131, vcc_lo, s2, v51
	v_add_nc_u32_e32 v143, s5, v141
	v_add_co_ci_u32_e32 v132, vcc_lo, s3, v52, vcc_lo
	v_lshlrev_b64 v[51:52], 3, v[135:136]
	v_ashrrev_i32_e32 v138, 31, v137
	v_add_co_u32 v133, vcc_lo, s2, v133
	v_ashrrev_i32_e32 v140, 31, v139
	v_add_nc_u32_e32 v145, s5, v143
	v_add_co_ci_u32_e32 v134, vcc_lo, s3, v134, vcc_lo
	v_lshlrev_b64 v[137:138], 3, v[137:138]
	v_add_co_u32 v135, vcc_lo, s2, v51
	v_add_co_ci_u32_e32 v136, vcc_lo, s3, v52, vcc_lo
	v_lshlrev_b64 v[51:52], 3, v[139:140]
	v_ashrrev_i32_e32 v142, 31, v141
	v_add_nc_u32_e32 v147, s5, v145
	v_add_co_u32 v137, vcc_lo, s2, v137
	v_ashrrev_i32_e32 v144, 31, v143
	v_add_co_ci_u32_e32 v138, vcc_lo, s3, v138, vcc_lo
	v_lshlrev_b64 v[141:142], 3, v[141:142]
	v_add_nc_u32_e32 v158, s5, v147
	v_add_co_u32 v139, vcc_lo, s2, v51
	v_add_co_ci_u32_e32 v140, vcc_lo, s3, v52, vcc_lo
	v_lshlrev_b64 v[51:52], 3, v[143:144]
	v_ashrrev_i32_e32 v146, 31, v145
	v_add_nc_u32_e32 v160, s5, v158
	v_add_co_u32 v141, vcc_lo, s2, v141
	v_ashrrev_i32_e32 v148, 31, v147
	v_add_co_ci_u32_e32 v142, vcc_lo, s3, v142, vcc_lo
	v_lshlrev_b64 v[145:146], 3, v[145:146]
	v_add_co_u32 v143, vcc_lo, s2, v51
	v_ashrrev_i32_e32 v159, 31, v158
	v_add_nc_u32_e32 v162, s5, v160
	v_add_co_ci_u32_e32 v144, vcc_lo, s3, v52, vcc_lo
	v_lshlrev_b64 v[51:52], 3, v[147:148]
	v_ashrrev_i32_e32 v161, 31, v160
	v_add_co_u32 v145, vcc_lo, s2, v145
	v_lshlrev_b64 v[158:159], 3, v[158:159]
	v_add_nc_u32_e32 v164, s5, v162
	s_clause 0x2
	global_load_b64 v[21:22], v[73:74], off
	global_load_b64 v[23:24], v[75:76], off
	;; [unrolled: 1-line block ×3, first 2 shown]
	v_add_co_ci_u32_e32 v146, vcc_lo, s3, v146, vcc_lo
	s_clause 0x3
	global_load_b64 v[27:28], v[79:80], off
	global_load_b64 v[29:30], v[81:82], off
	;; [unrolled: 1-line block ×4, first 2 shown]
	v_add_co_u32 v147, vcc_lo, s2, v51
	v_lshlrev_b64 v[160:161], 3, v[160:161]
	s_clause 0x7
	global_load_b64 v[35:36], v[87:88], off
	global_load_b64 v[37:38], v[89:90], off
	;; [unrolled: 1-line block ×8, first 2 shown]
	v_add_co_ci_u32_e32 v148, vcc_lo, s3, v52, vcc_lo
	s_clause 0x4
	global_load_b64 v[51:52], v[103:104], off
	global_load_b64 v[150:151], v[105:106], off
	;; [unrolled: 1-line block ×5, first 2 shown]
	v_ashrrev_i32_e32 v163, 31, v162
	v_ashrrev_i32_e32 v165, 31, v164
	s_waitcnt vmcnt(28)
	scratch_store_b128 off, v[1:4], off
	v_add_co_u32 v1, vcc_lo, s2, v158
	v_add_co_ci_u32_e32 v2, vcc_lo, s3, v159, vcc_lo
	v_add_co_u32 v3, vcc_lo, s2, v160
	s_waitcnt vmcnt(26)
	scratch_store_b128 off, v[5:8], off offset:16
	s_waitcnt vmcnt(24)
	scratch_store_b128 off, v[9:12], off offset:32
	;; [unrolled: 2-line block ×4, first 2 shown]
	v_lshlrev_b64 v[5:6], 3, v[162:163]
	v_add_nc_u32_e32 v7, s5, v164
	v_add_co_ci_u32_e32 v4, vcc_lo, s3, v161, vcc_lo
	v_lshlrev_b64 v[9:10], 3, v[164:165]
	s_clause 0x3
	global_load_b64 v[158:159], v[113:114], off
	global_load_b64 v[160:161], v[115:116], off
	;; [unrolled: 1-line block ×4, first 2 shown]
	v_add_nc_u32_e32 v11, s5, v7
	v_ashrrev_i32_e32 v8, 31, v7
	v_add_co_u32 v5, vcc_lo, s2, v5
	v_add_co_ci_u32_e32 v6, vcc_lo, s3, v6, vcc_lo
	s_delay_alu instid0(VALU_DEP_4) | instskip(NEXT) | instid1(VALU_DEP_4)
	v_add_nc_u32_e32 v15, s5, v11
	v_lshlrev_b64 v[13:14], 3, v[7:8]
	v_add_co_u32 v7, vcc_lo, s2, v9
	v_ashrrev_i32_e32 v12, 31, v11
	s_delay_alu instid0(VALU_DEP_4)
	v_ashrrev_i32_e32 v16, 31, v15
	v_add_nc_u32_e32 v17, s5, v15
	v_add_co_ci_u32_e32 v8, vcc_lo, s3, v10, vcc_lo
	v_add_co_u32 v9, vcc_lo, s2, v13
	v_add_co_ci_u32_e32 v10, vcc_lo, s3, v14, vcc_lo
	v_lshlrev_b64 v[13:14], 3, v[15:16]
	v_add_nc_u32_e32 v15, s5, v17
	v_lshlrev_b64 v[11:12], 3, v[11:12]
	v_ashrrev_i32_e32 v18, 31, v17
	s_waitcnt vmcnt(22)
	scratch_store_b128 off, v[21:24], off offset:80
	s_waitcnt vmcnt(20)
	scratch_store_b128 off, v[25:28], off offset:96
	v_ashrrev_i32_e32 v16, 31, v15
	v_add_co_u32 v11, vcc_lo, s2, v11
	v_lshlrev_b64 v[17:18], 3, v[17:18]
	v_add_co_ci_u32_e32 v12, vcc_lo, s3, v12, vcc_lo
	v_add_co_u32 v13, vcc_lo, s2, v13
	v_lshlrev_b64 v[19:20], 3, v[15:16]
	v_add_co_ci_u32_e32 v14, vcc_lo, s3, v14, vcc_lo
	v_add_co_u32 v15, vcc_lo, s2, v17
	v_add_co_ci_u32_e32 v16, vcc_lo, s3, v18, vcc_lo
	s_delay_alu instid0(VALU_DEP_4)
	v_add_co_u32 v17, vcc_lo, s2, v19
	v_add_co_ci_u32_e32 v18, vcc_lo, s3, v20, vcc_lo
	s_clause 0x2
	global_load_b64 v[19:20], v[121:122], off
	global_load_b64 v[21:22], v[123:124], off
	global_load_b64 v[23:24], v[125:126], off
	s_waitcnt vmcnt(21)
	scratch_store_b128 off, v[29:32], off offset:112
	s_waitcnt vmcnt(19)
	scratch_store_b128 off, v[33:36], off offset:128
	s_clause 0x3
	global_load_b64 v[25:26], v[127:128], off
	global_load_b64 v[27:28], v[129:130], off
	global_load_b64 v[29:30], v[131:132], off
	global_load_b64 v[31:32], v[133:134], off
	s_waitcnt vmcnt(21)
	scratch_store_b128 off, v[37:40], off offset:144
	s_waitcnt vmcnt(19)
	scratch_store_b128 off, v[41:44], off offset:160
	s_clause 0x3
	global_load_b64 v[33:34], v[135:136], off
	;; [unrolled: 9-line block ×5, first 2 shown]
	global_load_b64 v[158:159], v[13:14], off
	global_load_b64 v[160:161], v[15:16], off
	;; [unrolled: 1-line block ×3, first 2 shown]
	s_cselect_b32 s3, -1, 0
	s_cmpk_eq_i32 s1, 0x84
	s_waitcnt vmcnt(21)
	scratch_store_b128 off, v[19:22], off offset:272
	s_waitcnt vmcnt(19)
	scratch_store_b128 off, v[23:26], off offset:288
	;; [unrolled: 2-line block ×9, first 2 shown]
	v_mov_b32_e32 v19, 0
	v_mov_b32_e32 v20, 0xbff00000
	s_waitcnt vmcnt(3)
	scratch_store_b128 off, v[154:157], off offset:416
	s_waitcnt vmcnt(1)
	scratch_store_b128 off, v[158:161], off offset:432
	s_waitcnt vmcnt(0)
	scratch_store_b64 off, v[51:52], off offset:448
	s_cbranch_scc1 .LBB56_3
; %bb.2:
	scratch_load_b64 v[19:20], v149, off
	s_waitcnt vmcnt(0)
	v_div_scale_f64 v[21:22], null, v[19:20], v[19:20], 1.0
	v_div_scale_f64 v[27:28], vcc_lo, 1.0, v[19:20], 1.0
	s_delay_alu instid0(VALU_DEP_2) | instskip(SKIP_2) | instid1(VALU_DEP_1)
	v_rcp_f64_e32 v[23:24], v[21:22]
	s_waitcnt_depctr 0xfff
	v_fma_f64 v[25:26], -v[21:22], v[23:24], 1.0
	v_fma_f64 v[23:24], v[23:24], v[25:26], v[23:24]
	s_delay_alu instid0(VALU_DEP_1) | instskip(NEXT) | instid1(VALU_DEP_1)
	v_fma_f64 v[25:26], -v[21:22], v[23:24], 1.0
	v_fma_f64 v[23:24], v[23:24], v[25:26], v[23:24]
	s_delay_alu instid0(VALU_DEP_1) | instskip(NEXT) | instid1(VALU_DEP_1)
	v_mul_f64 v[25:26], v[27:28], v[23:24]
	v_fma_f64 v[21:22], -v[21:22], v[25:26], v[27:28]
	s_delay_alu instid0(VALU_DEP_1) | instskip(NEXT) | instid1(VALU_DEP_1)
	v_div_fmas_f64 v[21:22], v[21:22], v[23:24], v[25:26]
	v_div_fixup_f64 v[19:20], v[21:22], v[19:20], 1.0
	scratch_store_b64 v149, v[19:20], off
	v_xor_b32_e32 v20, 0x80000000, v20
.LBB56_3:
	v_add_nc_u32_e32 v21, 0x1d0, v149
	v_add_nc_u32_e32 v22, 0, v149
	s_cmpk_eq_i32 s0, 0x79
	s_mov_b32 s0, -1
	ds_store_b64 v149, v[19:20]
	s_cbranch_scc1 .LBB56_559
; %bb.4:
	scratch_load_b64 v[19:20], off, off offset:440
	v_cmp_eq_u32_e64 s0, 56, v0
	s_movk_i32 s1, 0x50
	s_movk_i32 s2, 0x60
	;; [unrolled: 1-line block ×23, first 2 shown]
	s_waitcnt vmcnt(0)
	ds_store_b64 v21, v[19:20]
	s_waitcnt lgkmcnt(0)
	s_waitcnt_vscnt null, 0x0
	s_barrier
	buffer_gl0_inv
	s_and_saveexec_b32 s25, s0
	s_cbranch_execz .LBB56_10
; %bb.5:
	s_and_b32 vcc_lo, exec_lo, s3
	s_cbranch_vccz .LBB56_7
; %bb.6:
	scratch_load_b64 v[19:20], v22, off
	ds_load_b64 v[23:24], v21
	s_waitcnt vmcnt(0) lgkmcnt(0)
	v_mul_f64 v[19:20], v[19:20], v[23:24]
	s_cbranch_execz .LBB56_8
	s_branch .LBB56_9
.LBB56_7:
                                        ; implicit-def: $vgpr19_vgpr20
.LBB56_8:
	ds_load_b64 v[19:20], v21
.LBB56_9:
	v_mov_b32_e32 v23, 0
	ds_load_b64 v[23:24], v23 offset:440
	s_waitcnt lgkmcnt(0)
	v_mul_f64 v[19:20], v[19:20], v[23:24]
	scratch_store_b64 off, v[19:20], off offset:440
.LBB56_10:
	s_or_b32 exec_lo, exec_lo, s25
	scratch_load_b64 v[19:20], off, off offset:432
	v_add_nc_u32_e64 v23, 0, 16
	v_add_nc_u32_e64 v24, 0, 32
	;; [unrolled: 1-line block ×27, first 2 shown]
	v_cmp_lt_u32_e64 s2, 54, v0
	s_waitcnt vmcnt(0)
	ds_store_b64 v21, v[19:20]
	s_waitcnt lgkmcnt(0)
	s_waitcnt_vscnt null, 0x0
	s_barrier
	buffer_gl0_inv
	s_and_saveexec_b32 s1, s2
	s_cbranch_execz .LBB56_18
; %bb.11:
	s_and_not1_b32 vcc_lo, exec_lo, s3
	s_cbranch_vccnz .LBB56_13
; %bb.12:
	scratch_load_b64 v[19:20], v22, off
	ds_load_b64 v[50:51], v21
	s_waitcnt vmcnt(0) lgkmcnt(0)
	v_mul_f64 v[19:20], v[19:20], v[50:51]
	s_cbranch_execz .LBB56_14
	s_branch .LBB56_15
.LBB56_13:
                                        ; implicit-def: $vgpr19_vgpr20
.LBB56_14:
	ds_load_b64 v[19:20], v21
.LBB56_15:
	s_and_saveexec_b32 s4, s0
	s_cbranch_execz .LBB56_17
; %bb.16:
	scratch_load_b64 v[50:51], off, off offset:440
	v_mov_b32_e32 v52, 0
	ds_load_b64 v[150:151], v52 offset:904
	s_waitcnt vmcnt(0) lgkmcnt(0)
	v_fma_f64 v[19:20], v[50:51], v[150:151], v[19:20]
.LBB56_17:
	s_or_b32 exec_lo, exec_lo, s4
	v_mov_b32_e32 v50, 0
	ds_load_b64 v[50:51], v50 offset:432
	s_waitcnt lgkmcnt(0)
	v_mul_f64 v[19:20], v[19:20], v[50:51]
	scratch_store_b64 off, v[19:20], off offset:432
.LBB56_18:
	s_or_b32 exec_lo, exec_lo, s1
	scratch_load_b64 v[19:20], off, off offset:424
	v_cmp_lt_u32_e64 s1, 53, v0
	s_waitcnt vmcnt(0)
	ds_store_b64 v21, v[19:20]
	s_waitcnt lgkmcnt(0)
	s_waitcnt_vscnt null, 0x0
	s_barrier
	buffer_gl0_inv
	s_and_saveexec_b32 s0, s1
	s_cbranch_execz .LBB56_28
; %bb.19:
	s_and_not1_b32 vcc_lo, exec_lo, s3
	s_cbranch_vccnz .LBB56_21
; %bb.20:
	scratch_load_b64 v[19:20], v22, off
	ds_load_b64 v[50:51], v21
	s_waitcnt vmcnt(0) lgkmcnt(0)
	v_mul_f64 v[19:20], v[19:20], v[50:51]
	s_cbranch_execz .LBB56_22
	s_branch .LBB56_23
.LBB56_21:
                                        ; implicit-def: $vgpr19_vgpr20
.LBB56_22:
	ds_load_b64 v[19:20], v21
.LBB56_23:
	s_and_saveexec_b32 s4, s2
	s_cbranch_execz .LBB56_27
; %bb.24:
	v_subrev_nc_u32_e32 v50, 54, v0
	s_movk_i32 s5, 0x380
	s_mov_b32 s2, 0
.LBB56_25:                              ; =>This Inner Loop Header: Depth=1
	scratch_load_b64 v[51:52], v49, off
	v_dual_mov_b32 v150, s5 :: v_dual_add_nc_u32 v49, 8, v49
	v_add_nc_u32_e32 v50, -1, v50
	s_add_i32 s5, s5, 8
	ds_load_b64 v[150:151], v150
	v_cmp_eq_u32_e32 vcc_lo, 0, v50
	s_or_b32 s2, vcc_lo, s2
	s_waitcnt vmcnt(0) lgkmcnt(0)
	v_fma_f64 v[19:20], v[51:52], v[150:151], v[19:20]
	s_and_not1_b32 exec_lo, exec_lo, s2
	s_cbranch_execnz .LBB56_25
; %bb.26:
	s_or_b32 exec_lo, exec_lo, s2
.LBB56_27:
	s_delay_alu instid0(SALU_CYCLE_1)
	s_or_b32 exec_lo, exec_lo, s4
	v_mov_b32_e32 v49, 0
	ds_load_b64 v[49:50], v49 offset:424
	s_waitcnt lgkmcnt(0)
	v_mul_f64 v[19:20], v[19:20], v[49:50]
	scratch_store_b64 off, v[19:20], off offset:424
.LBB56_28:
	s_or_b32 exec_lo, exec_lo, s0
	scratch_load_b64 v[19:20], off, off offset:416
	v_cmp_lt_u32_e64 s0, 52, v0
	s_waitcnt vmcnt(0)
	ds_store_b64 v21, v[19:20]
	s_waitcnt lgkmcnt(0)
	s_waitcnt_vscnt null, 0x0
	s_barrier
	buffer_gl0_inv
	s_and_saveexec_b32 s2, s0
	s_cbranch_execz .LBB56_38
; %bb.29:
	s_and_not1_b32 vcc_lo, exec_lo, s3
	s_cbranch_vccnz .LBB56_31
; %bb.30:
	scratch_load_b64 v[19:20], v22, off
	ds_load_b64 v[49:50], v21
	s_waitcnt vmcnt(0) lgkmcnt(0)
	v_mul_f64 v[19:20], v[19:20], v[49:50]
	s_cbranch_execz .LBB56_32
	s_branch .LBB56_33
.LBB56_31:
                                        ; implicit-def: $vgpr19_vgpr20
.LBB56_32:
	ds_load_b64 v[19:20], v21
.LBB56_33:
	s_and_saveexec_b32 s4, s1
	s_cbranch_execz .LBB56_37
; %bb.34:
	v_mov_b32_e32 v49, 0
	v_subrev_nc_u32_e32 v50, 53, v0
	s_movk_i32 s5, 0x378
	s_mov_b32 s1, 0
	s_delay_alu instid0(VALU_DEP_2)
	v_add_nc_u32_e32 v49, 0x1a8, v49
.LBB56_35:                              ; =>This Inner Loop Header: Depth=1
	scratch_load_b64 v[51:52], v49, off
	v_dual_mov_b32 v150, s5 :: v_dual_add_nc_u32 v49, 8, v49
	v_add_nc_u32_e32 v50, -1, v50
	s_add_i32 s5, s5, 8
	ds_load_b64 v[150:151], v150
	v_cmp_eq_u32_e32 vcc_lo, 0, v50
	s_or_b32 s1, vcc_lo, s1
	s_waitcnt vmcnt(0) lgkmcnt(0)
	v_fma_f64 v[19:20], v[51:52], v[150:151], v[19:20]
	s_and_not1_b32 exec_lo, exec_lo, s1
	s_cbranch_execnz .LBB56_35
; %bb.36:
	s_or_b32 exec_lo, exec_lo, s1
.LBB56_37:
	s_delay_alu instid0(SALU_CYCLE_1)
	s_or_b32 exec_lo, exec_lo, s4
	v_mov_b32_e32 v49, 0
	ds_load_b64 v[49:50], v49 offset:416
	s_waitcnt lgkmcnt(0)
	v_mul_f64 v[19:20], v[19:20], v[49:50]
	scratch_store_b64 off, v[19:20], off offset:416
.LBB56_38:
	s_or_b32 exec_lo, exec_lo, s2
	scratch_load_b64 v[19:20], off, off offset:408
	v_cmp_lt_u32_e64 s1, 51, v0
	s_waitcnt vmcnt(0)
	ds_store_b64 v21, v[19:20]
	s_waitcnt lgkmcnt(0)
	s_waitcnt_vscnt null, 0x0
	s_barrier
	buffer_gl0_inv
	s_and_saveexec_b32 s2, s1
	s_cbranch_execz .LBB56_48
; %bb.39:
	s_and_not1_b32 vcc_lo, exec_lo, s3
	s_cbranch_vccnz .LBB56_41
; %bb.40:
	scratch_load_b64 v[19:20], v22, off
	ds_load_b64 v[49:50], v21
	s_waitcnt vmcnt(0) lgkmcnt(0)
	v_mul_f64 v[19:20], v[19:20], v[49:50]
	s_cbranch_execz .LBB56_42
	s_branch .LBB56_43
.LBB56_41:
                                        ; implicit-def: $vgpr19_vgpr20
.LBB56_42:
	ds_load_b64 v[19:20], v21
.LBB56_43:
	s_and_saveexec_b32 s4, s0
	s_cbranch_execz .LBB56_47
; %bb.44:
	v_subrev_nc_u32_e32 v49, 52, v0
	s_movk_i32 s5, 0x370
	s_mov_b32 s0, 0
.LBB56_45:                              ; =>This Inner Loop Header: Depth=1
	scratch_load_b64 v[50:51], v48, off
	v_dual_mov_b32 v52, s5 :: v_dual_add_nc_u32 v49, -1, v49
	v_add_nc_u32_e32 v48, 8, v48
	s_add_i32 s5, s5, 8
	ds_load_b64 v[150:151], v52
	v_cmp_eq_u32_e32 vcc_lo, 0, v49
	s_or_b32 s0, vcc_lo, s0
	s_waitcnt vmcnt(0) lgkmcnt(0)
	v_fma_f64 v[19:20], v[50:51], v[150:151], v[19:20]
	s_and_not1_b32 exec_lo, exec_lo, s0
	s_cbranch_execnz .LBB56_45
; %bb.46:
	s_or_b32 exec_lo, exec_lo, s0
.LBB56_47:
	s_delay_alu instid0(SALU_CYCLE_1)
	s_or_b32 exec_lo, exec_lo, s4
	v_mov_b32_e32 v48, 0
	ds_load_b64 v[48:49], v48 offset:408
	s_waitcnt lgkmcnt(0)
	v_mul_f64 v[19:20], v[19:20], v[48:49]
	scratch_store_b64 off, v[19:20], off offset:408
.LBB56_48:
	s_or_b32 exec_lo, exec_lo, s2
	scratch_load_b64 v[19:20], off, off offset:400
	v_cmp_lt_u32_e64 s0, 50, v0
	s_waitcnt vmcnt(0)
	ds_store_b64 v21, v[19:20]
	s_waitcnt lgkmcnt(0)
	s_waitcnt_vscnt null, 0x0
	s_barrier
	buffer_gl0_inv
	s_and_saveexec_b32 s2, s0
	s_cbranch_execz .LBB56_58
; %bb.49:
	s_and_not1_b32 vcc_lo, exec_lo, s3
	s_cbranch_vccnz .LBB56_51
; %bb.50:
	scratch_load_b64 v[19:20], v22, off
	ds_load_b64 v[48:49], v21
	s_waitcnt vmcnt(0) lgkmcnt(0)
	v_mul_f64 v[19:20], v[19:20], v[48:49]
	s_cbranch_execz .LBB56_52
	s_branch .LBB56_53
.LBB56_51:
                                        ; implicit-def: $vgpr19_vgpr20
.LBB56_52:
	ds_load_b64 v[19:20], v21
.LBB56_53:
	s_and_saveexec_b32 s4, s1
	s_cbranch_execz .LBB56_57
; %bb.54:
	v_mov_b32_e32 v48, 0
	v_subrev_nc_u32_e32 v49, 51, v0
	s_movk_i32 s5, 0x368
	s_mov_b32 s1, 0
	s_delay_alu instid0(VALU_DEP_2)
	v_add_nc_u32_e32 v48, 0x198, v48
.LBB56_55:                              ; =>This Inner Loop Header: Depth=1
	scratch_load_b64 v[50:51], v48, off
	v_dual_mov_b32 v52, s5 :: v_dual_add_nc_u32 v49, -1, v49
	v_add_nc_u32_e32 v48, 8, v48
	s_add_i32 s5, s5, 8
	ds_load_b64 v[150:151], v52
	v_cmp_eq_u32_e32 vcc_lo, 0, v49
	s_or_b32 s1, vcc_lo, s1
	s_waitcnt vmcnt(0) lgkmcnt(0)
	v_fma_f64 v[19:20], v[50:51], v[150:151], v[19:20]
	s_and_not1_b32 exec_lo, exec_lo, s1
	s_cbranch_execnz .LBB56_55
; %bb.56:
	s_or_b32 exec_lo, exec_lo, s1
.LBB56_57:
	s_delay_alu instid0(SALU_CYCLE_1)
	s_or_b32 exec_lo, exec_lo, s4
	v_mov_b32_e32 v48, 0
	ds_load_b64 v[48:49], v48 offset:400
	s_waitcnt lgkmcnt(0)
	v_mul_f64 v[19:20], v[19:20], v[48:49]
	scratch_store_b64 off, v[19:20], off offset:400
.LBB56_58:
	s_or_b32 exec_lo, exec_lo, s2
	scratch_load_b64 v[19:20], off, off offset:392
	v_cmp_lt_u32_e64 s1, 49, v0
	s_waitcnt vmcnt(0)
	ds_store_b64 v21, v[19:20]
	s_waitcnt lgkmcnt(0)
	s_waitcnt_vscnt null, 0x0
	s_barrier
	buffer_gl0_inv
	s_and_saveexec_b32 s2, s1
	s_cbranch_execz .LBB56_68
; %bb.59:
	s_and_not1_b32 vcc_lo, exec_lo, s3
	s_cbranch_vccnz .LBB56_61
; %bb.60:
	scratch_load_b64 v[19:20], v22, off
	ds_load_b64 v[48:49], v21
	s_waitcnt vmcnt(0) lgkmcnt(0)
	v_mul_f64 v[19:20], v[19:20], v[48:49]
	s_cbranch_execz .LBB56_62
	s_branch .LBB56_63
.LBB56_61:
                                        ; implicit-def: $vgpr19_vgpr20
.LBB56_62:
	ds_load_b64 v[19:20], v21
.LBB56_63:
	s_and_saveexec_b32 s4, s0
	s_cbranch_execz .LBB56_67
; %bb.64:
	v_subrev_nc_u32_e32 v48, 50, v0
	s_movk_i32 s5, 0x360
	s_mov_b32 s0, 0
.LBB56_65:                              ; =>This Inner Loop Header: Depth=1
	scratch_load_b64 v[49:50], v47, off
	v_dual_mov_b32 v51, s5 :: v_dual_add_nc_u32 v48, -1, v48
	v_add_nc_u32_e32 v47, 8, v47
	s_add_i32 s5, s5, 8
	ds_load_b64 v[51:52], v51
	v_cmp_eq_u32_e32 vcc_lo, 0, v48
	s_or_b32 s0, vcc_lo, s0
	s_waitcnt vmcnt(0) lgkmcnt(0)
	v_fma_f64 v[19:20], v[49:50], v[51:52], v[19:20]
	s_and_not1_b32 exec_lo, exec_lo, s0
	s_cbranch_execnz .LBB56_65
; %bb.66:
	s_or_b32 exec_lo, exec_lo, s0
.LBB56_67:
	s_delay_alu instid0(SALU_CYCLE_1)
	s_or_b32 exec_lo, exec_lo, s4
	v_mov_b32_e32 v47, 0
	ds_load_b64 v[47:48], v47 offset:392
	s_waitcnt lgkmcnt(0)
	v_mul_f64 v[19:20], v[19:20], v[47:48]
	scratch_store_b64 off, v[19:20], off offset:392
.LBB56_68:
	s_or_b32 exec_lo, exec_lo, s2
	scratch_load_b64 v[19:20], off, off offset:384
	v_cmp_lt_u32_e64 s0, 48, v0
	s_waitcnt vmcnt(0)
	ds_store_b64 v21, v[19:20]
	s_waitcnt lgkmcnt(0)
	s_waitcnt_vscnt null, 0x0
	s_barrier
	buffer_gl0_inv
	s_and_saveexec_b32 s2, s0
	s_cbranch_execz .LBB56_78
; %bb.69:
	s_and_not1_b32 vcc_lo, exec_lo, s3
	s_cbranch_vccnz .LBB56_71
; %bb.70:
	scratch_load_b64 v[19:20], v22, off
	ds_load_b64 v[47:48], v21
	s_waitcnt vmcnt(0) lgkmcnt(0)
	v_mul_f64 v[19:20], v[19:20], v[47:48]
	s_cbranch_execz .LBB56_72
	s_branch .LBB56_73
.LBB56_71:
                                        ; implicit-def: $vgpr19_vgpr20
.LBB56_72:
	ds_load_b64 v[19:20], v21
.LBB56_73:
	s_and_saveexec_b32 s4, s1
	s_cbranch_execz .LBB56_77
; %bb.74:
	v_mov_b32_e32 v47, 0
	v_subrev_nc_u32_e32 v48, 49, v0
	s_movk_i32 s5, 0x358
	s_mov_b32 s1, 0
	s_delay_alu instid0(VALU_DEP_2)
	v_add_nc_u32_e32 v47, 0x188, v47
.LBB56_75:                              ; =>This Inner Loop Header: Depth=1
	scratch_load_b64 v[49:50], v47, off
	v_dual_mov_b32 v51, s5 :: v_dual_add_nc_u32 v48, -1, v48
	v_add_nc_u32_e32 v47, 8, v47
	s_add_i32 s5, s5, 8
	ds_load_b64 v[51:52], v51
	v_cmp_eq_u32_e32 vcc_lo, 0, v48
	s_or_b32 s1, vcc_lo, s1
	s_waitcnt vmcnt(0) lgkmcnt(0)
	v_fma_f64 v[19:20], v[49:50], v[51:52], v[19:20]
	s_and_not1_b32 exec_lo, exec_lo, s1
	s_cbranch_execnz .LBB56_75
; %bb.76:
	s_or_b32 exec_lo, exec_lo, s1
.LBB56_77:
	s_delay_alu instid0(SALU_CYCLE_1)
	s_or_b32 exec_lo, exec_lo, s4
	v_mov_b32_e32 v47, 0
	ds_load_b64 v[47:48], v47 offset:384
	s_waitcnt lgkmcnt(0)
	v_mul_f64 v[19:20], v[19:20], v[47:48]
	scratch_store_b64 off, v[19:20], off offset:384
.LBB56_78:
	s_or_b32 exec_lo, exec_lo, s2
	scratch_load_b64 v[19:20], off, off offset:376
	v_cmp_lt_u32_e64 s1, 47, v0
	s_waitcnt vmcnt(0)
	ds_store_b64 v21, v[19:20]
	s_waitcnt lgkmcnt(0)
	s_waitcnt_vscnt null, 0x0
	s_barrier
	buffer_gl0_inv
	s_and_saveexec_b32 s2, s1
	s_cbranch_execz .LBB56_88
; %bb.79:
	s_and_not1_b32 vcc_lo, exec_lo, s3
	s_cbranch_vccnz .LBB56_81
; %bb.80:
	scratch_load_b64 v[19:20], v22, off
	ds_load_b64 v[47:48], v21
	s_waitcnt vmcnt(0) lgkmcnt(0)
	v_mul_f64 v[19:20], v[19:20], v[47:48]
	s_cbranch_execz .LBB56_82
	s_branch .LBB56_83
.LBB56_81:
                                        ; implicit-def: $vgpr19_vgpr20
.LBB56_82:
	ds_load_b64 v[19:20], v21
.LBB56_83:
	s_and_saveexec_b32 s4, s0
	s_cbranch_execz .LBB56_87
; %bb.84:
	v_subrev_nc_u32_e32 v47, 48, v0
	s_movk_i32 s5, 0x350
	s_mov_b32 s0, 0
.LBB56_85:                              ; =>This Inner Loop Header: Depth=1
	scratch_load_b64 v[48:49], v46, off
	v_dual_mov_b32 v50, s5 :: v_dual_add_nc_u32 v47, -1, v47
	v_add_nc_u32_e32 v46, 8, v46
	s_add_i32 s5, s5, 8
	ds_load_b64 v[50:51], v50
	v_cmp_eq_u32_e32 vcc_lo, 0, v47
	s_or_b32 s0, vcc_lo, s0
	s_waitcnt vmcnt(0) lgkmcnt(0)
	v_fma_f64 v[19:20], v[48:49], v[50:51], v[19:20]
	s_and_not1_b32 exec_lo, exec_lo, s0
	s_cbranch_execnz .LBB56_85
; %bb.86:
	s_or_b32 exec_lo, exec_lo, s0
.LBB56_87:
	s_delay_alu instid0(SALU_CYCLE_1)
	s_or_b32 exec_lo, exec_lo, s4
	v_mov_b32_e32 v46, 0
	ds_load_b64 v[46:47], v46 offset:376
	s_waitcnt lgkmcnt(0)
	v_mul_f64 v[19:20], v[19:20], v[46:47]
	scratch_store_b64 off, v[19:20], off offset:376
.LBB56_88:
	s_or_b32 exec_lo, exec_lo, s2
	scratch_load_b64 v[19:20], off, off offset:368
	v_cmp_lt_u32_e64 s0, 46, v0
	s_waitcnt vmcnt(0)
	ds_store_b64 v21, v[19:20]
	s_waitcnt lgkmcnt(0)
	s_waitcnt_vscnt null, 0x0
	s_barrier
	buffer_gl0_inv
	s_and_saveexec_b32 s2, s0
	s_cbranch_execz .LBB56_98
; %bb.89:
	s_and_not1_b32 vcc_lo, exec_lo, s3
	s_cbranch_vccnz .LBB56_91
; %bb.90:
	scratch_load_b64 v[19:20], v22, off
	ds_load_b64 v[46:47], v21
	s_waitcnt vmcnt(0) lgkmcnt(0)
	v_mul_f64 v[19:20], v[19:20], v[46:47]
	s_cbranch_execz .LBB56_92
	s_branch .LBB56_93
.LBB56_91:
                                        ; implicit-def: $vgpr19_vgpr20
.LBB56_92:
	ds_load_b64 v[19:20], v21
.LBB56_93:
	s_and_saveexec_b32 s4, s1
	s_cbranch_execz .LBB56_97
; %bb.94:
	v_mov_b32_e32 v46, 0
	v_subrev_nc_u32_e32 v47, 47, v0
	s_movk_i32 s5, 0x348
	s_mov_b32 s1, 0
	s_delay_alu instid0(VALU_DEP_2)
	v_add_nc_u32_e32 v46, 0x178, v46
.LBB56_95:                              ; =>This Inner Loop Header: Depth=1
	scratch_load_b64 v[48:49], v46, off
	v_dual_mov_b32 v50, s5 :: v_dual_add_nc_u32 v47, -1, v47
	v_add_nc_u32_e32 v46, 8, v46
	s_add_i32 s5, s5, 8
	ds_load_b64 v[50:51], v50
	v_cmp_eq_u32_e32 vcc_lo, 0, v47
	s_or_b32 s1, vcc_lo, s1
	s_waitcnt vmcnt(0) lgkmcnt(0)
	v_fma_f64 v[19:20], v[48:49], v[50:51], v[19:20]
	s_and_not1_b32 exec_lo, exec_lo, s1
	s_cbranch_execnz .LBB56_95
; %bb.96:
	s_or_b32 exec_lo, exec_lo, s1
.LBB56_97:
	s_delay_alu instid0(SALU_CYCLE_1)
	s_or_b32 exec_lo, exec_lo, s4
	v_mov_b32_e32 v46, 0
	ds_load_b64 v[46:47], v46 offset:368
	s_waitcnt lgkmcnt(0)
	v_mul_f64 v[19:20], v[19:20], v[46:47]
	scratch_store_b64 off, v[19:20], off offset:368
.LBB56_98:
	s_or_b32 exec_lo, exec_lo, s2
	scratch_load_b64 v[19:20], off, off offset:360
	v_cmp_lt_u32_e64 s1, 45, v0
	s_waitcnt vmcnt(0)
	ds_store_b64 v21, v[19:20]
	s_waitcnt lgkmcnt(0)
	s_waitcnt_vscnt null, 0x0
	s_barrier
	buffer_gl0_inv
	s_and_saveexec_b32 s2, s1
	s_cbranch_execz .LBB56_108
; %bb.99:
	s_and_not1_b32 vcc_lo, exec_lo, s3
	s_cbranch_vccnz .LBB56_101
; %bb.100:
	scratch_load_b64 v[19:20], v22, off
	ds_load_b64 v[46:47], v21
	s_waitcnt vmcnt(0) lgkmcnt(0)
	v_mul_f64 v[19:20], v[19:20], v[46:47]
	s_cbranch_execz .LBB56_102
	s_branch .LBB56_103
.LBB56_101:
                                        ; implicit-def: $vgpr19_vgpr20
.LBB56_102:
	ds_load_b64 v[19:20], v21
.LBB56_103:
	s_and_saveexec_b32 s4, s0
	s_cbranch_execz .LBB56_107
; %bb.104:
	v_subrev_nc_u32_e32 v46, 46, v0
	s_movk_i32 s5, 0x340
	s_mov_b32 s0, 0
.LBB56_105:                             ; =>This Inner Loop Header: Depth=1
	scratch_load_b64 v[47:48], v45, off
	v_dual_mov_b32 v49, s5 :: v_dual_add_nc_u32 v46, -1, v46
	v_add_nc_u32_e32 v45, 8, v45
	s_add_i32 s5, s5, 8
	ds_load_b64 v[49:50], v49
	v_cmp_eq_u32_e32 vcc_lo, 0, v46
	s_or_b32 s0, vcc_lo, s0
	s_waitcnt vmcnt(0) lgkmcnt(0)
	v_fma_f64 v[19:20], v[47:48], v[49:50], v[19:20]
	s_and_not1_b32 exec_lo, exec_lo, s0
	s_cbranch_execnz .LBB56_105
; %bb.106:
	s_or_b32 exec_lo, exec_lo, s0
.LBB56_107:
	s_delay_alu instid0(SALU_CYCLE_1)
	s_or_b32 exec_lo, exec_lo, s4
	v_mov_b32_e32 v45, 0
	ds_load_b64 v[45:46], v45 offset:360
	s_waitcnt lgkmcnt(0)
	v_mul_f64 v[19:20], v[19:20], v[45:46]
	scratch_store_b64 off, v[19:20], off offset:360
.LBB56_108:
	s_or_b32 exec_lo, exec_lo, s2
	scratch_load_b64 v[19:20], off, off offset:352
	v_cmp_lt_u32_e64 s0, 44, v0
	s_waitcnt vmcnt(0)
	ds_store_b64 v21, v[19:20]
	s_waitcnt lgkmcnt(0)
	s_waitcnt_vscnt null, 0x0
	s_barrier
	buffer_gl0_inv
	s_and_saveexec_b32 s2, s0
	s_cbranch_execz .LBB56_118
; %bb.109:
	s_and_not1_b32 vcc_lo, exec_lo, s3
	s_cbranch_vccnz .LBB56_111
; %bb.110:
	scratch_load_b64 v[19:20], v22, off
	ds_load_b64 v[45:46], v21
	s_waitcnt vmcnt(0) lgkmcnt(0)
	v_mul_f64 v[19:20], v[19:20], v[45:46]
	s_cbranch_execz .LBB56_112
	s_branch .LBB56_113
.LBB56_111:
                                        ; implicit-def: $vgpr19_vgpr20
.LBB56_112:
	ds_load_b64 v[19:20], v21
.LBB56_113:
	s_and_saveexec_b32 s4, s1
	s_cbranch_execz .LBB56_117
; %bb.114:
	v_mov_b32_e32 v45, 0
	v_subrev_nc_u32_e32 v46, 45, v0
	s_movk_i32 s5, 0x338
	s_mov_b32 s1, 0
	s_delay_alu instid0(VALU_DEP_2)
	v_add_nc_u32_e32 v45, 0x168, v45
.LBB56_115:                             ; =>This Inner Loop Header: Depth=1
	scratch_load_b64 v[47:48], v45, off
	v_dual_mov_b32 v49, s5 :: v_dual_add_nc_u32 v46, -1, v46
	v_add_nc_u32_e32 v45, 8, v45
	s_add_i32 s5, s5, 8
	ds_load_b64 v[49:50], v49
	v_cmp_eq_u32_e32 vcc_lo, 0, v46
	s_or_b32 s1, vcc_lo, s1
	s_waitcnt vmcnt(0) lgkmcnt(0)
	v_fma_f64 v[19:20], v[47:48], v[49:50], v[19:20]
	s_and_not1_b32 exec_lo, exec_lo, s1
	s_cbranch_execnz .LBB56_115
; %bb.116:
	s_or_b32 exec_lo, exec_lo, s1
.LBB56_117:
	s_delay_alu instid0(SALU_CYCLE_1)
	s_or_b32 exec_lo, exec_lo, s4
	v_mov_b32_e32 v45, 0
	ds_load_b64 v[45:46], v45 offset:352
	s_waitcnt lgkmcnt(0)
	v_mul_f64 v[19:20], v[19:20], v[45:46]
	scratch_store_b64 off, v[19:20], off offset:352
.LBB56_118:
	s_or_b32 exec_lo, exec_lo, s2
	scratch_load_b64 v[19:20], off, off offset:344
	v_cmp_lt_u32_e64 s1, 43, v0
	s_waitcnt vmcnt(0)
	ds_store_b64 v21, v[19:20]
	s_waitcnt lgkmcnt(0)
	s_waitcnt_vscnt null, 0x0
	s_barrier
	buffer_gl0_inv
	s_and_saveexec_b32 s2, s1
	s_cbranch_execz .LBB56_128
; %bb.119:
	s_and_not1_b32 vcc_lo, exec_lo, s3
	s_cbranch_vccnz .LBB56_121
; %bb.120:
	scratch_load_b64 v[19:20], v22, off
	ds_load_b64 v[45:46], v21
	s_waitcnt vmcnt(0) lgkmcnt(0)
	v_mul_f64 v[19:20], v[19:20], v[45:46]
	s_cbranch_execz .LBB56_122
	s_branch .LBB56_123
.LBB56_121:
                                        ; implicit-def: $vgpr19_vgpr20
.LBB56_122:
	ds_load_b64 v[19:20], v21
.LBB56_123:
	s_and_saveexec_b32 s4, s0
	s_cbranch_execz .LBB56_127
; %bb.124:
	v_subrev_nc_u32_e32 v45, 44, v0
	s_movk_i32 s5, 0x330
	s_mov_b32 s0, 0
.LBB56_125:                             ; =>This Inner Loop Header: Depth=1
	scratch_load_b64 v[46:47], v44, off
	v_dual_mov_b32 v48, s5 :: v_dual_add_nc_u32 v45, -1, v45
	v_add_nc_u32_e32 v44, 8, v44
	s_add_i32 s5, s5, 8
	ds_load_b64 v[48:49], v48
	v_cmp_eq_u32_e32 vcc_lo, 0, v45
	s_or_b32 s0, vcc_lo, s0
	s_waitcnt vmcnt(0) lgkmcnt(0)
	v_fma_f64 v[19:20], v[46:47], v[48:49], v[19:20]
	s_and_not1_b32 exec_lo, exec_lo, s0
	s_cbranch_execnz .LBB56_125
; %bb.126:
	s_or_b32 exec_lo, exec_lo, s0
.LBB56_127:
	s_delay_alu instid0(SALU_CYCLE_1)
	s_or_b32 exec_lo, exec_lo, s4
	v_mov_b32_e32 v44, 0
	ds_load_b64 v[44:45], v44 offset:344
	s_waitcnt lgkmcnt(0)
	v_mul_f64 v[19:20], v[19:20], v[44:45]
	scratch_store_b64 off, v[19:20], off offset:344
.LBB56_128:
	s_or_b32 exec_lo, exec_lo, s2
	scratch_load_b64 v[19:20], off, off offset:336
	v_cmp_lt_u32_e64 s0, 42, v0
	s_waitcnt vmcnt(0)
	ds_store_b64 v21, v[19:20]
	s_waitcnt lgkmcnt(0)
	s_waitcnt_vscnt null, 0x0
	s_barrier
	buffer_gl0_inv
	s_and_saveexec_b32 s2, s0
	s_cbranch_execz .LBB56_138
; %bb.129:
	s_and_not1_b32 vcc_lo, exec_lo, s3
	s_cbranch_vccnz .LBB56_131
; %bb.130:
	scratch_load_b64 v[19:20], v22, off
	ds_load_b64 v[44:45], v21
	s_waitcnt vmcnt(0) lgkmcnt(0)
	v_mul_f64 v[19:20], v[19:20], v[44:45]
	s_cbranch_execz .LBB56_132
	s_branch .LBB56_133
.LBB56_131:
                                        ; implicit-def: $vgpr19_vgpr20
.LBB56_132:
	ds_load_b64 v[19:20], v21
.LBB56_133:
	s_and_saveexec_b32 s4, s1
	s_cbranch_execz .LBB56_137
; %bb.134:
	v_mov_b32_e32 v44, 0
	v_subrev_nc_u32_e32 v45, 43, v0
	s_movk_i32 s5, 0x328
	s_mov_b32 s1, 0
	s_delay_alu instid0(VALU_DEP_2)
	v_add_nc_u32_e32 v44, 0x158, v44
.LBB56_135:                             ; =>This Inner Loop Header: Depth=1
	scratch_load_b64 v[46:47], v44, off
	v_dual_mov_b32 v48, s5 :: v_dual_add_nc_u32 v45, -1, v45
	v_add_nc_u32_e32 v44, 8, v44
	s_add_i32 s5, s5, 8
	ds_load_b64 v[48:49], v48
	v_cmp_eq_u32_e32 vcc_lo, 0, v45
	s_or_b32 s1, vcc_lo, s1
	s_waitcnt vmcnt(0) lgkmcnt(0)
	v_fma_f64 v[19:20], v[46:47], v[48:49], v[19:20]
	s_and_not1_b32 exec_lo, exec_lo, s1
	s_cbranch_execnz .LBB56_135
; %bb.136:
	s_or_b32 exec_lo, exec_lo, s1
.LBB56_137:
	s_delay_alu instid0(SALU_CYCLE_1)
	s_or_b32 exec_lo, exec_lo, s4
	v_mov_b32_e32 v44, 0
	ds_load_b64 v[44:45], v44 offset:336
	s_waitcnt lgkmcnt(0)
	v_mul_f64 v[19:20], v[19:20], v[44:45]
	scratch_store_b64 off, v[19:20], off offset:336
.LBB56_138:
	s_or_b32 exec_lo, exec_lo, s2
	scratch_load_b64 v[19:20], off, off offset:328
	v_cmp_lt_u32_e64 s1, 41, v0
	s_waitcnt vmcnt(0)
	ds_store_b64 v21, v[19:20]
	s_waitcnt lgkmcnt(0)
	s_waitcnt_vscnt null, 0x0
	s_barrier
	buffer_gl0_inv
	s_and_saveexec_b32 s2, s1
	s_cbranch_execz .LBB56_148
; %bb.139:
	s_and_not1_b32 vcc_lo, exec_lo, s3
	s_cbranch_vccnz .LBB56_141
; %bb.140:
	scratch_load_b64 v[19:20], v22, off
	ds_load_b64 v[44:45], v21
	s_waitcnt vmcnt(0) lgkmcnt(0)
	v_mul_f64 v[19:20], v[19:20], v[44:45]
	s_cbranch_execz .LBB56_142
	s_branch .LBB56_143
.LBB56_141:
                                        ; implicit-def: $vgpr19_vgpr20
.LBB56_142:
	ds_load_b64 v[19:20], v21
.LBB56_143:
	s_and_saveexec_b32 s4, s0
	s_cbranch_execz .LBB56_147
; %bb.144:
	v_subrev_nc_u32_e32 v44, 42, v0
	s_movk_i32 s5, 0x320
	s_mov_b32 s0, 0
.LBB56_145:                             ; =>This Inner Loop Header: Depth=1
	scratch_load_b64 v[45:46], v43, off
	v_dual_mov_b32 v47, s5 :: v_dual_add_nc_u32 v44, -1, v44
	v_add_nc_u32_e32 v43, 8, v43
	s_add_i32 s5, s5, 8
	ds_load_b64 v[47:48], v47
	v_cmp_eq_u32_e32 vcc_lo, 0, v44
	s_or_b32 s0, vcc_lo, s0
	s_waitcnt vmcnt(0) lgkmcnt(0)
	v_fma_f64 v[19:20], v[45:46], v[47:48], v[19:20]
	s_and_not1_b32 exec_lo, exec_lo, s0
	s_cbranch_execnz .LBB56_145
; %bb.146:
	s_or_b32 exec_lo, exec_lo, s0
.LBB56_147:
	s_delay_alu instid0(SALU_CYCLE_1)
	s_or_b32 exec_lo, exec_lo, s4
	v_mov_b32_e32 v43, 0
	ds_load_b64 v[43:44], v43 offset:328
	s_waitcnt lgkmcnt(0)
	v_mul_f64 v[19:20], v[19:20], v[43:44]
	scratch_store_b64 off, v[19:20], off offset:328
.LBB56_148:
	s_or_b32 exec_lo, exec_lo, s2
	scratch_load_b64 v[19:20], off, off offset:320
	v_cmp_lt_u32_e64 s0, 40, v0
	s_waitcnt vmcnt(0)
	ds_store_b64 v21, v[19:20]
	s_waitcnt lgkmcnt(0)
	s_waitcnt_vscnt null, 0x0
	s_barrier
	buffer_gl0_inv
	s_and_saveexec_b32 s2, s0
	s_cbranch_execz .LBB56_158
; %bb.149:
	s_and_not1_b32 vcc_lo, exec_lo, s3
	s_cbranch_vccnz .LBB56_151
; %bb.150:
	scratch_load_b64 v[19:20], v22, off
	ds_load_b64 v[43:44], v21
	s_waitcnt vmcnt(0) lgkmcnt(0)
	v_mul_f64 v[19:20], v[19:20], v[43:44]
	s_cbranch_execz .LBB56_152
	s_branch .LBB56_153
.LBB56_151:
                                        ; implicit-def: $vgpr19_vgpr20
.LBB56_152:
	ds_load_b64 v[19:20], v21
.LBB56_153:
	s_and_saveexec_b32 s4, s1
	s_cbranch_execz .LBB56_157
; %bb.154:
	v_mov_b32_e32 v43, 0
	v_subrev_nc_u32_e32 v44, 41, v0
	s_movk_i32 s5, 0x318
	s_mov_b32 s1, 0
	s_delay_alu instid0(VALU_DEP_2)
	v_add_nc_u32_e32 v43, 0x148, v43
.LBB56_155:                             ; =>This Inner Loop Header: Depth=1
	scratch_load_b64 v[45:46], v43, off
	v_dual_mov_b32 v47, s5 :: v_dual_add_nc_u32 v44, -1, v44
	v_add_nc_u32_e32 v43, 8, v43
	s_add_i32 s5, s5, 8
	ds_load_b64 v[47:48], v47
	v_cmp_eq_u32_e32 vcc_lo, 0, v44
	s_or_b32 s1, vcc_lo, s1
	s_waitcnt vmcnt(0) lgkmcnt(0)
	v_fma_f64 v[19:20], v[45:46], v[47:48], v[19:20]
	s_and_not1_b32 exec_lo, exec_lo, s1
	s_cbranch_execnz .LBB56_155
; %bb.156:
	s_or_b32 exec_lo, exec_lo, s1
.LBB56_157:
	s_delay_alu instid0(SALU_CYCLE_1)
	s_or_b32 exec_lo, exec_lo, s4
	v_mov_b32_e32 v43, 0
	ds_load_b64 v[43:44], v43 offset:320
	s_waitcnt lgkmcnt(0)
	v_mul_f64 v[19:20], v[19:20], v[43:44]
	scratch_store_b64 off, v[19:20], off offset:320
.LBB56_158:
	s_or_b32 exec_lo, exec_lo, s2
	scratch_load_b64 v[19:20], off, off offset:312
	v_cmp_lt_u32_e64 s1, 39, v0
	s_waitcnt vmcnt(0)
	ds_store_b64 v21, v[19:20]
	s_waitcnt lgkmcnt(0)
	s_waitcnt_vscnt null, 0x0
	s_barrier
	buffer_gl0_inv
	s_and_saveexec_b32 s2, s1
	s_cbranch_execz .LBB56_168
; %bb.159:
	s_and_not1_b32 vcc_lo, exec_lo, s3
	s_cbranch_vccnz .LBB56_161
; %bb.160:
	scratch_load_b64 v[19:20], v22, off
	ds_load_b64 v[43:44], v21
	s_waitcnt vmcnt(0) lgkmcnt(0)
	v_mul_f64 v[19:20], v[19:20], v[43:44]
	s_cbranch_execz .LBB56_162
	s_branch .LBB56_163
.LBB56_161:
                                        ; implicit-def: $vgpr19_vgpr20
.LBB56_162:
	ds_load_b64 v[19:20], v21
.LBB56_163:
	s_and_saveexec_b32 s4, s0
	s_cbranch_execz .LBB56_167
; %bb.164:
	v_subrev_nc_u32_e32 v43, 40, v0
	s_movk_i32 s5, 0x310
	s_mov_b32 s0, 0
.LBB56_165:                             ; =>This Inner Loop Header: Depth=1
	scratch_load_b64 v[44:45], v42, off
	v_dual_mov_b32 v46, s5 :: v_dual_add_nc_u32 v43, -1, v43
	v_add_nc_u32_e32 v42, 8, v42
	s_add_i32 s5, s5, 8
	ds_load_b64 v[46:47], v46
	v_cmp_eq_u32_e32 vcc_lo, 0, v43
	s_or_b32 s0, vcc_lo, s0
	s_waitcnt vmcnt(0) lgkmcnt(0)
	v_fma_f64 v[19:20], v[44:45], v[46:47], v[19:20]
	s_and_not1_b32 exec_lo, exec_lo, s0
	s_cbranch_execnz .LBB56_165
; %bb.166:
	s_or_b32 exec_lo, exec_lo, s0
.LBB56_167:
	s_delay_alu instid0(SALU_CYCLE_1)
	s_or_b32 exec_lo, exec_lo, s4
	v_mov_b32_e32 v42, 0
	ds_load_b64 v[42:43], v42 offset:312
	s_waitcnt lgkmcnt(0)
	v_mul_f64 v[19:20], v[19:20], v[42:43]
	scratch_store_b64 off, v[19:20], off offset:312
.LBB56_168:
	s_or_b32 exec_lo, exec_lo, s2
	scratch_load_b64 v[19:20], off, off offset:304
	v_cmp_lt_u32_e64 s0, 38, v0
	s_waitcnt vmcnt(0)
	ds_store_b64 v21, v[19:20]
	s_waitcnt lgkmcnt(0)
	s_waitcnt_vscnt null, 0x0
	s_barrier
	buffer_gl0_inv
	s_and_saveexec_b32 s2, s0
	s_cbranch_execz .LBB56_178
; %bb.169:
	s_and_not1_b32 vcc_lo, exec_lo, s3
	s_cbranch_vccnz .LBB56_171
; %bb.170:
	scratch_load_b64 v[19:20], v22, off
	ds_load_b64 v[42:43], v21
	s_waitcnt vmcnt(0) lgkmcnt(0)
	v_mul_f64 v[19:20], v[19:20], v[42:43]
	s_cbranch_execz .LBB56_172
	s_branch .LBB56_173
.LBB56_171:
                                        ; implicit-def: $vgpr19_vgpr20
.LBB56_172:
	ds_load_b64 v[19:20], v21
.LBB56_173:
	s_and_saveexec_b32 s4, s1
	s_cbranch_execz .LBB56_177
; %bb.174:
	v_mov_b32_e32 v42, 0
	v_subrev_nc_u32_e32 v43, 39, v0
	s_movk_i32 s5, 0x308
	s_mov_b32 s1, 0
	s_delay_alu instid0(VALU_DEP_2)
	v_add_nc_u32_e32 v42, 0x138, v42
.LBB56_175:                             ; =>This Inner Loop Header: Depth=1
	scratch_load_b64 v[44:45], v42, off
	v_dual_mov_b32 v46, s5 :: v_dual_add_nc_u32 v43, -1, v43
	v_add_nc_u32_e32 v42, 8, v42
	s_add_i32 s5, s5, 8
	ds_load_b64 v[46:47], v46
	v_cmp_eq_u32_e32 vcc_lo, 0, v43
	s_or_b32 s1, vcc_lo, s1
	s_waitcnt vmcnt(0) lgkmcnt(0)
	v_fma_f64 v[19:20], v[44:45], v[46:47], v[19:20]
	s_and_not1_b32 exec_lo, exec_lo, s1
	s_cbranch_execnz .LBB56_175
; %bb.176:
	s_or_b32 exec_lo, exec_lo, s1
.LBB56_177:
	s_delay_alu instid0(SALU_CYCLE_1)
	s_or_b32 exec_lo, exec_lo, s4
	v_mov_b32_e32 v42, 0
	ds_load_b64 v[42:43], v42 offset:304
	s_waitcnt lgkmcnt(0)
	v_mul_f64 v[19:20], v[19:20], v[42:43]
	scratch_store_b64 off, v[19:20], off offset:304
.LBB56_178:
	s_or_b32 exec_lo, exec_lo, s2
	scratch_load_b64 v[19:20], off, off offset:296
	v_cmp_lt_u32_e64 s1, 37, v0
	s_waitcnt vmcnt(0)
	ds_store_b64 v21, v[19:20]
	s_waitcnt lgkmcnt(0)
	s_waitcnt_vscnt null, 0x0
	s_barrier
	buffer_gl0_inv
	s_and_saveexec_b32 s2, s1
	s_cbranch_execz .LBB56_188
; %bb.179:
	s_and_not1_b32 vcc_lo, exec_lo, s3
	s_cbranch_vccnz .LBB56_181
; %bb.180:
	scratch_load_b64 v[19:20], v22, off
	ds_load_b64 v[42:43], v21
	s_waitcnt vmcnt(0) lgkmcnt(0)
	v_mul_f64 v[19:20], v[19:20], v[42:43]
	s_cbranch_execz .LBB56_182
	s_branch .LBB56_183
.LBB56_181:
                                        ; implicit-def: $vgpr19_vgpr20
.LBB56_182:
	ds_load_b64 v[19:20], v21
.LBB56_183:
	s_and_saveexec_b32 s4, s0
	s_cbranch_execz .LBB56_187
; %bb.184:
	v_subrev_nc_u32_e32 v42, 38, v0
	s_movk_i32 s5, 0x300
	s_mov_b32 s0, 0
.LBB56_185:                             ; =>This Inner Loop Header: Depth=1
	scratch_load_b64 v[43:44], v41, off
	v_dual_mov_b32 v45, s5 :: v_dual_add_nc_u32 v42, -1, v42
	v_add_nc_u32_e32 v41, 8, v41
	s_add_i32 s5, s5, 8
	ds_load_b64 v[45:46], v45
	v_cmp_eq_u32_e32 vcc_lo, 0, v42
	s_or_b32 s0, vcc_lo, s0
	s_waitcnt vmcnt(0) lgkmcnt(0)
	v_fma_f64 v[19:20], v[43:44], v[45:46], v[19:20]
	s_and_not1_b32 exec_lo, exec_lo, s0
	s_cbranch_execnz .LBB56_185
; %bb.186:
	s_or_b32 exec_lo, exec_lo, s0
.LBB56_187:
	s_delay_alu instid0(SALU_CYCLE_1)
	s_or_b32 exec_lo, exec_lo, s4
	v_mov_b32_e32 v41, 0
	ds_load_b64 v[41:42], v41 offset:296
	s_waitcnt lgkmcnt(0)
	v_mul_f64 v[19:20], v[19:20], v[41:42]
	scratch_store_b64 off, v[19:20], off offset:296
.LBB56_188:
	s_or_b32 exec_lo, exec_lo, s2
	scratch_load_b64 v[19:20], off, off offset:288
	v_cmp_lt_u32_e64 s0, 36, v0
	s_waitcnt vmcnt(0)
	ds_store_b64 v21, v[19:20]
	s_waitcnt lgkmcnt(0)
	s_waitcnt_vscnt null, 0x0
	s_barrier
	buffer_gl0_inv
	s_and_saveexec_b32 s2, s0
	s_cbranch_execz .LBB56_198
; %bb.189:
	s_and_not1_b32 vcc_lo, exec_lo, s3
	s_cbranch_vccnz .LBB56_191
; %bb.190:
	scratch_load_b64 v[19:20], v22, off
	ds_load_b64 v[41:42], v21
	s_waitcnt vmcnt(0) lgkmcnt(0)
	v_mul_f64 v[19:20], v[19:20], v[41:42]
	s_cbranch_execz .LBB56_192
	s_branch .LBB56_193
.LBB56_191:
                                        ; implicit-def: $vgpr19_vgpr20
.LBB56_192:
	ds_load_b64 v[19:20], v21
.LBB56_193:
	s_and_saveexec_b32 s4, s1
	s_cbranch_execz .LBB56_197
; %bb.194:
	v_mov_b32_e32 v41, 0
	v_subrev_nc_u32_e32 v42, 37, v0
	s_movk_i32 s5, 0x2f8
	s_mov_b32 s1, 0
	s_delay_alu instid0(VALU_DEP_2)
	v_add_nc_u32_e32 v41, 0x128, v41
.LBB56_195:                             ; =>This Inner Loop Header: Depth=1
	scratch_load_b64 v[43:44], v41, off
	v_dual_mov_b32 v45, s5 :: v_dual_add_nc_u32 v42, -1, v42
	v_add_nc_u32_e32 v41, 8, v41
	s_add_i32 s5, s5, 8
	ds_load_b64 v[45:46], v45
	v_cmp_eq_u32_e32 vcc_lo, 0, v42
	s_or_b32 s1, vcc_lo, s1
	s_waitcnt vmcnt(0) lgkmcnt(0)
	v_fma_f64 v[19:20], v[43:44], v[45:46], v[19:20]
	s_and_not1_b32 exec_lo, exec_lo, s1
	s_cbranch_execnz .LBB56_195
; %bb.196:
	s_or_b32 exec_lo, exec_lo, s1
.LBB56_197:
	s_delay_alu instid0(SALU_CYCLE_1)
	s_or_b32 exec_lo, exec_lo, s4
	v_mov_b32_e32 v41, 0
	ds_load_b64 v[41:42], v41 offset:288
	s_waitcnt lgkmcnt(0)
	v_mul_f64 v[19:20], v[19:20], v[41:42]
	scratch_store_b64 off, v[19:20], off offset:288
.LBB56_198:
	s_or_b32 exec_lo, exec_lo, s2
	scratch_load_b64 v[19:20], off, off offset:280
	v_cmp_lt_u32_e64 s1, 35, v0
	s_waitcnt vmcnt(0)
	ds_store_b64 v21, v[19:20]
	s_waitcnt lgkmcnt(0)
	s_waitcnt_vscnt null, 0x0
	s_barrier
	buffer_gl0_inv
	s_and_saveexec_b32 s2, s1
	s_cbranch_execz .LBB56_208
; %bb.199:
	s_and_not1_b32 vcc_lo, exec_lo, s3
	s_cbranch_vccnz .LBB56_201
; %bb.200:
	scratch_load_b64 v[19:20], v22, off
	ds_load_b64 v[41:42], v21
	s_waitcnt vmcnt(0) lgkmcnt(0)
	v_mul_f64 v[19:20], v[19:20], v[41:42]
	s_cbranch_execz .LBB56_202
	s_branch .LBB56_203
.LBB56_201:
                                        ; implicit-def: $vgpr19_vgpr20
.LBB56_202:
	ds_load_b64 v[19:20], v21
.LBB56_203:
	s_and_saveexec_b32 s4, s0
	s_cbranch_execz .LBB56_207
; %bb.204:
	v_subrev_nc_u32_e32 v41, 36, v0
	s_movk_i32 s5, 0x2f0
	s_mov_b32 s0, 0
.LBB56_205:                             ; =>This Inner Loop Header: Depth=1
	scratch_load_b64 v[42:43], v40, off
	v_dual_mov_b32 v44, s5 :: v_dual_add_nc_u32 v41, -1, v41
	v_add_nc_u32_e32 v40, 8, v40
	s_add_i32 s5, s5, 8
	ds_load_b64 v[44:45], v44
	v_cmp_eq_u32_e32 vcc_lo, 0, v41
	s_or_b32 s0, vcc_lo, s0
	s_waitcnt vmcnt(0) lgkmcnt(0)
	v_fma_f64 v[19:20], v[42:43], v[44:45], v[19:20]
	s_and_not1_b32 exec_lo, exec_lo, s0
	s_cbranch_execnz .LBB56_205
; %bb.206:
	s_or_b32 exec_lo, exec_lo, s0
.LBB56_207:
	s_delay_alu instid0(SALU_CYCLE_1)
	s_or_b32 exec_lo, exec_lo, s4
	v_mov_b32_e32 v40, 0
	ds_load_b64 v[40:41], v40 offset:280
	s_waitcnt lgkmcnt(0)
	v_mul_f64 v[19:20], v[19:20], v[40:41]
	scratch_store_b64 off, v[19:20], off offset:280
.LBB56_208:
	s_or_b32 exec_lo, exec_lo, s2
	scratch_load_b64 v[19:20], off, off offset:272
	v_cmp_lt_u32_e64 s0, 34, v0
	s_waitcnt vmcnt(0)
	ds_store_b64 v21, v[19:20]
	s_waitcnt lgkmcnt(0)
	s_waitcnt_vscnt null, 0x0
	s_barrier
	buffer_gl0_inv
	s_and_saveexec_b32 s2, s0
	s_cbranch_execz .LBB56_218
; %bb.209:
	s_and_not1_b32 vcc_lo, exec_lo, s3
	s_cbranch_vccnz .LBB56_211
; %bb.210:
	scratch_load_b64 v[19:20], v22, off
	ds_load_b64 v[40:41], v21
	s_waitcnt vmcnt(0) lgkmcnt(0)
	v_mul_f64 v[19:20], v[19:20], v[40:41]
	s_cbranch_execz .LBB56_212
	s_branch .LBB56_213
.LBB56_211:
                                        ; implicit-def: $vgpr19_vgpr20
.LBB56_212:
	ds_load_b64 v[19:20], v21
.LBB56_213:
	s_and_saveexec_b32 s4, s1
	s_cbranch_execz .LBB56_217
; %bb.214:
	v_mov_b32_e32 v40, 0
	v_subrev_nc_u32_e32 v41, 35, v0
	s_movk_i32 s5, 0x2e8
	s_mov_b32 s1, 0
	s_delay_alu instid0(VALU_DEP_2)
	v_add_nc_u32_e32 v40, 0x118, v40
.LBB56_215:                             ; =>This Inner Loop Header: Depth=1
	scratch_load_b64 v[42:43], v40, off
	v_dual_mov_b32 v44, s5 :: v_dual_add_nc_u32 v41, -1, v41
	v_add_nc_u32_e32 v40, 8, v40
	s_add_i32 s5, s5, 8
	ds_load_b64 v[44:45], v44
	v_cmp_eq_u32_e32 vcc_lo, 0, v41
	s_or_b32 s1, vcc_lo, s1
	s_waitcnt vmcnt(0) lgkmcnt(0)
	v_fma_f64 v[19:20], v[42:43], v[44:45], v[19:20]
	s_and_not1_b32 exec_lo, exec_lo, s1
	s_cbranch_execnz .LBB56_215
; %bb.216:
	s_or_b32 exec_lo, exec_lo, s1
.LBB56_217:
	s_delay_alu instid0(SALU_CYCLE_1)
	s_or_b32 exec_lo, exec_lo, s4
	v_mov_b32_e32 v40, 0
	ds_load_b64 v[40:41], v40 offset:272
	s_waitcnt lgkmcnt(0)
	v_mul_f64 v[19:20], v[19:20], v[40:41]
	scratch_store_b64 off, v[19:20], off offset:272
.LBB56_218:
	s_or_b32 exec_lo, exec_lo, s2
	scratch_load_b64 v[19:20], off, off offset:264
	v_cmp_lt_u32_e64 s1, 33, v0
	s_waitcnt vmcnt(0)
	ds_store_b64 v21, v[19:20]
	s_waitcnt lgkmcnt(0)
	s_waitcnt_vscnt null, 0x0
	s_barrier
	buffer_gl0_inv
	s_and_saveexec_b32 s2, s1
	s_cbranch_execz .LBB56_228
; %bb.219:
	s_and_not1_b32 vcc_lo, exec_lo, s3
	s_cbranch_vccnz .LBB56_221
; %bb.220:
	scratch_load_b64 v[19:20], v22, off
	ds_load_b64 v[40:41], v21
	s_waitcnt vmcnt(0) lgkmcnt(0)
	v_mul_f64 v[19:20], v[19:20], v[40:41]
	s_cbranch_execz .LBB56_222
	s_branch .LBB56_223
.LBB56_221:
                                        ; implicit-def: $vgpr19_vgpr20
.LBB56_222:
	ds_load_b64 v[19:20], v21
.LBB56_223:
	s_and_saveexec_b32 s4, s0
	s_cbranch_execz .LBB56_227
; %bb.224:
	v_subrev_nc_u32_e32 v40, 34, v0
	s_movk_i32 s5, 0x2e0
	s_mov_b32 s0, 0
.LBB56_225:                             ; =>This Inner Loop Header: Depth=1
	scratch_load_b64 v[41:42], v39, off
	v_dual_mov_b32 v43, s5 :: v_dual_add_nc_u32 v40, -1, v40
	v_add_nc_u32_e32 v39, 8, v39
	s_add_i32 s5, s5, 8
	ds_load_b64 v[43:44], v43
	v_cmp_eq_u32_e32 vcc_lo, 0, v40
	s_or_b32 s0, vcc_lo, s0
	s_waitcnt vmcnt(0) lgkmcnt(0)
	v_fma_f64 v[19:20], v[41:42], v[43:44], v[19:20]
	s_and_not1_b32 exec_lo, exec_lo, s0
	s_cbranch_execnz .LBB56_225
; %bb.226:
	s_or_b32 exec_lo, exec_lo, s0
.LBB56_227:
	s_delay_alu instid0(SALU_CYCLE_1)
	s_or_b32 exec_lo, exec_lo, s4
	v_mov_b32_e32 v39, 0
	ds_load_b64 v[39:40], v39 offset:264
	s_waitcnt lgkmcnt(0)
	v_mul_f64 v[19:20], v[19:20], v[39:40]
	scratch_store_b64 off, v[19:20], off offset:264
.LBB56_228:
	s_or_b32 exec_lo, exec_lo, s2
	scratch_load_b64 v[19:20], off, off offset:256
	v_cmp_lt_u32_e64 s0, 32, v0
	s_waitcnt vmcnt(0)
	ds_store_b64 v21, v[19:20]
	s_waitcnt lgkmcnt(0)
	s_waitcnt_vscnt null, 0x0
	s_barrier
	buffer_gl0_inv
	s_and_saveexec_b32 s2, s0
	s_cbranch_execz .LBB56_238
; %bb.229:
	s_and_not1_b32 vcc_lo, exec_lo, s3
	s_cbranch_vccnz .LBB56_231
; %bb.230:
	scratch_load_b64 v[19:20], v22, off
	ds_load_b64 v[39:40], v21
	s_waitcnt vmcnt(0) lgkmcnt(0)
	v_mul_f64 v[19:20], v[19:20], v[39:40]
	s_cbranch_execz .LBB56_232
	s_branch .LBB56_233
.LBB56_231:
                                        ; implicit-def: $vgpr19_vgpr20
.LBB56_232:
	ds_load_b64 v[19:20], v21
.LBB56_233:
	s_and_saveexec_b32 s4, s1
	s_cbranch_execz .LBB56_237
; %bb.234:
	v_mov_b32_e32 v39, 0
	v_subrev_nc_u32_e32 v40, 33, v0
	s_movk_i32 s5, 0x2d8
	s_mov_b32 s1, 0
	s_delay_alu instid0(VALU_DEP_2)
	v_add_nc_u32_e32 v39, 0x108, v39
.LBB56_235:                             ; =>This Inner Loop Header: Depth=1
	scratch_load_b64 v[41:42], v39, off
	v_dual_mov_b32 v43, s5 :: v_dual_add_nc_u32 v40, -1, v40
	v_add_nc_u32_e32 v39, 8, v39
	s_add_i32 s5, s5, 8
	ds_load_b64 v[43:44], v43
	v_cmp_eq_u32_e32 vcc_lo, 0, v40
	s_or_b32 s1, vcc_lo, s1
	s_waitcnt vmcnt(0) lgkmcnt(0)
	v_fma_f64 v[19:20], v[41:42], v[43:44], v[19:20]
	s_and_not1_b32 exec_lo, exec_lo, s1
	s_cbranch_execnz .LBB56_235
; %bb.236:
	s_or_b32 exec_lo, exec_lo, s1
.LBB56_237:
	s_delay_alu instid0(SALU_CYCLE_1)
	s_or_b32 exec_lo, exec_lo, s4
	v_mov_b32_e32 v39, 0
	ds_load_b64 v[39:40], v39 offset:256
	s_waitcnt lgkmcnt(0)
	v_mul_f64 v[19:20], v[19:20], v[39:40]
	scratch_store_b64 off, v[19:20], off offset:256
.LBB56_238:
	s_or_b32 exec_lo, exec_lo, s2
	scratch_load_b64 v[19:20], off, off offset:248
	v_cmp_lt_u32_e64 s1, 31, v0
	s_waitcnt vmcnt(0)
	ds_store_b64 v21, v[19:20]
	s_waitcnt lgkmcnt(0)
	s_waitcnt_vscnt null, 0x0
	s_barrier
	buffer_gl0_inv
	s_and_saveexec_b32 s2, s1
	s_cbranch_execz .LBB56_248
; %bb.239:
	s_and_not1_b32 vcc_lo, exec_lo, s3
	s_cbranch_vccnz .LBB56_241
; %bb.240:
	scratch_load_b64 v[19:20], v22, off
	ds_load_b64 v[39:40], v21
	s_waitcnt vmcnt(0) lgkmcnt(0)
	v_mul_f64 v[19:20], v[19:20], v[39:40]
	s_cbranch_execz .LBB56_242
	s_branch .LBB56_243
.LBB56_241:
                                        ; implicit-def: $vgpr19_vgpr20
.LBB56_242:
	ds_load_b64 v[19:20], v21
.LBB56_243:
	s_and_saveexec_b32 s4, s0
	s_cbranch_execz .LBB56_247
; %bb.244:
	v_subrev_nc_u32_e32 v39, 32, v0
	s_movk_i32 s5, 0x2d0
	s_mov_b32 s0, 0
.LBB56_245:                             ; =>This Inner Loop Header: Depth=1
	scratch_load_b64 v[40:41], v38, off
	v_dual_mov_b32 v42, s5 :: v_dual_add_nc_u32 v39, -1, v39
	v_add_nc_u32_e32 v38, 8, v38
	s_add_i32 s5, s5, 8
	ds_load_b64 v[42:43], v42
	v_cmp_eq_u32_e32 vcc_lo, 0, v39
	s_or_b32 s0, vcc_lo, s0
	s_waitcnt vmcnt(0) lgkmcnt(0)
	v_fma_f64 v[19:20], v[40:41], v[42:43], v[19:20]
	s_and_not1_b32 exec_lo, exec_lo, s0
	s_cbranch_execnz .LBB56_245
; %bb.246:
	s_or_b32 exec_lo, exec_lo, s0
.LBB56_247:
	s_delay_alu instid0(SALU_CYCLE_1)
	s_or_b32 exec_lo, exec_lo, s4
	v_mov_b32_e32 v38, 0
	ds_load_b64 v[38:39], v38 offset:248
	s_waitcnt lgkmcnt(0)
	v_mul_f64 v[19:20], v[19:20], v[38:39]
	scratch_store_b64 off, v[19:20], off offset:248
.LBB56_248:
	s_or_b32 exec_lo, exec_lo, s2
	scratch_load_b64 v[19:20], off, off offset:240
	v_cmp_lt_u32_e64 s0, 30, v0
	s_waitcnt vmcnt(0)
	ds_store_b64 v21, v[19:20]
	s_waitcnt lgkmcnt(0)
	s_waitcnt_vscnt null, 0x0
	s_barrier
	buffer_gl0_inv
	s_and_saveexec_b32 s2, s0
	s_cbranch_execz .LBB56_258
; %bb.249:
	s_and_not1_b32 vcc_lo, exec_lo, s3
	s_cbranch_vccnz .LBB56_251
; %bb.250:
	scratch_load_b64 v[19:20], v22, off
	ds_load_b64 v[38:39], v21
	s_waitcnt vmcnt(0) lgkmcnt(0)
	v_mul_f64 v[19:20], v[19:20], v[38:39]
	s_cbranch_execz .LBB56_252
	s_branch .LBB56_253
.LBB56_251:
                                        ; implicit-def: $vgpr19_vgpr20
.LBB56_252:
	ds_load_b64 v[19:20], v21
.LBB56_253:
	s_and_saveexec_b32 s4, s1
	s_cbranch_execz .LBB56_257
; %bb.254:
	v_mov_b32_e32 v38, 0
	v_subrev_nc_u32_e32 v39, 31, v0
	s_movk_i32 s5, 0x2c8
	s_mov_b32 s1, 0
	s_delay_alu instid0(VALU_DEP_2)
	v_add_nc_u32_e32 v38, 0xf8, v38
.LBB56_255:                             ; =>This Inner Loop Header: Depth=1
	scratch_load_b64 v[40:41], v38, off
	v_dual_mov_b32 v42, s5 :: v_dual_add_nc_u32 v39, -1, v39
	v_add_nc_u32_e32 v38, 8, v38
	s_add_i32 s5, s5, 8
	ds_load_b64 v[42:43], v42
	v_cmp_eq_u32_e32 vcc_lo, 0, v39
	s_or_b32 s1, vcc_lo, s1
	s_waitcnt vmcnt(0) lgkmcnt(0)
	v_fma_f64 v[19:20], v[40:41], v[42:43], v[19:20]
	s_and_not1_b32 exec_lo, exec_lo, s1
	s_cbranch_execnz .LBB56_255
; %bb.256:
	s_or_b32 exec_lo, exec_lo, s1
.LBB56_257:
	s_delay_alu instid0(SALU_CYCLE_1)
	s_or_b32 exec_lo, exec_lo, s4
	v_mov_b32_e32 v38, 0
	ds_load_b64 v[38:39], v38 offset:240
	s_waitcnt lgkmcnt(0)
	v_mul_f64 v[19:20], v[19:20], v[38:39]
	scratch_store_b64 off, v[19:20], off offset:240
.LBB56_258:
	s_or_b32 exec_lo, exec_lo, s2
	scratch_load_b64 v[19:20], off, off offset:232
	v_cmp_lt_u32_e64 s1, 29, v0
	s_waitcnt vmcnt(0)
	ds_store_b64 v21, v[19:20]
	s_waitcnt lgkmcnt(0)
	s_waitcnt_vscnt null, 0x0
	s_barrier
	buffer_gl0_inv
	s_and_saveexec_b32 s2, s1
	s_cbranch_execz .LBB56_268
; %bb.259:
	s_and_not1_b32 vcc_lo, exec_lo, s3
	s_cbranch_vccnz .LBB56_261
; %bb.260:
	scratch_load_b64 v[19:20], v22, off
	ds_load_b64 v[38:39], v21
	s_waitcnt vmcnt(0) lgkmcnt(0)
	v_mul_f64 v[19:20], v[19:20], v[38:39]
	s_cbranch_execz .LBB56_262
	s_branch .LBB56_263
.LBB56_261:
                                        ; implicit-def: $vgpr19_vgpr20
.LBB56_262:
	ds_load_b64 v[19:20], v21
.LBB56_263:
	s_and_saveexec_b32 s4, s0
	s_cbranch_execz .LBB56_267
; %bb.264:
	v_subrev_nc_u32_e32 v38, 30, v0
	s_movk_i32 s5, 0x2c0
	s_mov_b32 s0, 0
.LBB56_265:                             ; =>This Inner Loop Header: Depth=1
	scratch_load_b64 v[39:40], v37, off
	v_dual_mov_b32 v41, s5 :: v_dual_add_nc_u32 v38, -1, v38
	v_add_nc_u32_e32 v37, 8, v37
	s_add_i32 s5, s5, 8
	ds_load_b64 v[41:42], v41
	v_cmp_eq_u32_e32 vcc_lo, 0, v38
	s_or_b32 s0, vcc_lo, s0
	s_waitcnt vmcnt(0) lgkmcnt(0)
	v_fma_f64 v[19:20], v[39:40], v[41:42], v[19:20]
	s_and_not1_b32 exec_lo, exec_lo, s0
	s_cbranch_execnz .LBB56_265
; %bb.266:
	s_or_b32 exec_lo, exec_lo, s0
.LBB56_267:
	s_delay_alu instid0(SALU_CYCLE_1)
	s_or_b32 exec_lo, exec_lo, s4
	v_mov_b32_e32 v37, 0
	ds_load_b64 v[37:38], v37 offset:232
	s_waitcnt lgkmcnt(0)
	v_mul_f64 v[19:20], v[19:20], v[37:38]
	scratch_store_b64 off, v[19:20], off offset:232
.LBB56_268:
	s_or_b32 exec_lo, exec_lo, s2
	scratch_load_b64 v[19:20], off, off offset:224
	v_cmp_lt_u32_e64 s0, 28, v0
	s_waitcnt vmcnt(0)
	ds_store_b64 v21, v[19:20]
	s_waitcnt lgkmcnt(0)
	s_waitcnt_vscnt null, 0x0
	s_barrier
	buffer_gl0_inv
	s_and_saveexec_b32 s2, s0
	s_cbranch_execz .LBB56_278
; %bb.269:
	s_and_not1_b32 vcc_lo, exec_lo, s3
	s_cbranch_vccnz .LBB56_271
; %bb.270:
	scratch_load_b64 v[19:20], v22, off
	ds_load_b64 v[37:38], v21
	s_waitcnt vmcnt(0) lgkmcnt(0)
	v_mul_f64 v[19:20], v[19:20], v[37:38]
	s_cbranch_execz .LBB56_272
	s_branch .LBB56_273
.LBB56_271:
                                        ; implicit-def: $vgpr19_vgpr20
.LBB56_272:
	ds_load_b64 v[19:20], v21
.LBB56_273:
	s_and_saveexec_b32 s4, s1
	s_cbranch_execz .LBB56_277
; %bb.274:
	v_mov_b32_e32 v37, 0
	v_subrev_nc_u32_e32 v38, 29, v0
	s_movk_i32 s5, 0x2b8
	s_mov_b32 s1, 0
	s_delay_alu instid0(VALU_DEP_2)
	v_add_nc_u32_e32 v37, 0xe8, v37
.LBB56_275:                             ; =>This Inner Loop Header: Depth=1
	scratch_load_b64 v[39:40], v37, off
	v_dual_mov_b32 v41, s5 :: v_dual_add_nc_u32 v38, -1, v38
	v_add_nc_u32_e32 v37, 8, v37
	s_add_i32 s5, s5, 8
	ds_load_b64 v[41:42], v41
	v_cmp_eq_u32_e32 vcc_lo, 0, v38
	s_or_b32 s1, vcc_lo, s1
	s_waitcnt vmcnt(0) lgkmcnt(0)
	v_fma_f64 v[19:20], v[39:40], v[41:42], v[19:20]
	s_and_not1_b32 exec_lo, exec_lo, s1
	s_cbranch_execnz .LBB56_275
; %bb.276:
	s_or_b32 exec_lo, exec_lo, s1
.LBB56_277:
	s_delay_alu instid0(SALU_CYCLE_1)
	s_or_b32 exec_lo, exec_lo, s4
	v_mov_b32_e32 v37, 0
	ds_load_b64 v[37:38], v37 offset:224
	s_waitcnt lgkmcnt(0)
	v_mul_f64 v[19:20], v[19:20], v[37:38]
	scratch_store_b64 off, v[19:20], off offset:224
.LBB56_278:
	s_or_b32 exec_lo, exec_lo, s2
	scratch_load_b64 v[19:20], off, off offset:216
	v_cmp_lt_u32_e64 s1, 27, v0
	s_waitcnt vmcnt(0)
	ds_store_b64 v21, v[19:20]
	s_waitcnt lgkmcnt(0)
	s_waitcnt_vscnt null, 0x0
	s_barrier
	buffer_gl0_inv
	s_and_saveexec_b32 s2, s1
	s_cbranch_execz .LBB56_288
; %bb.279:
	s_and_not1_b32 vcc_lo, exec_lo, s3
	s_cbranch_vccnz .LBB56_281
; %bb.280:
	scratch_load_b64 v[19:20], v22, off
	ds_load_b64 v[37:38], v21
	s_waitcnt vmcnt(0) lgkmcnt(0)
	v_mul_f64 v[19:20], v[19:20], v[37:38]
	s_cbranch_execz .LBB56_282
	s_branch .LBB56_283
.LBB56_281:
                                        ; implicit-def: $vgpr19_vgpr20
.LBB56_282:
	ds_load_b64 v[19:20], v21
.LBB56_283:
	s_and_saveexec_b32 s4, s0
	s_cbranch_execz .LBB56_287
; %bb.284:
	v_subrev_nc_u32_e32 v37, 28, v0
	s_movk_i32 s5, 0x2b0
	s_mov_b32 s0, 0
.LBB56_285:                             ; =>This Inner Loop Header: Depth=1
	scratch_load_b64 v[38:39], v36, off
	v_dual_mov_b32 v40, s5 :: v_dual_add_nc_u32 v37, -1, v37
	v_add_nc_u32_e32 v36, 8, v36
	s_add_i32 s5, s5, 8
	ds_load_b64 v[40:41], v40
	v_cmp_eq_u32_e32 vcc_lo, 0, v37
	s_or_b32 s0, vcc_lo, s0
	s_waitcnt vmcnt(0) lgkmcnt(0)
	v_fma_f64 v[19:20], v[38:39], v[40:41], v[19:20]
	s_and_not1_b32 exec_lo, exec_lo, s0
	s_cbranch_execnz .LBB56_285
; %bb.286:
	s_or_b32 exec_lo, exec_lo, s0
.LBB56_287:
	s_delay_alu instid0(SALU_CYCLE_1)
	s_or_b32 exec_lo, exec_lo, s4
	v_mov_b32_e32 v36, 0
	ds_load_b64 v[36:37], v36 offset:216
	s_waitcnt lgkmcnt(0)
	v_mul_f64 v[19:20], v[19:20], v[36:37]
	scratch_store_b64 off, v[19:20], off offset:216
.LBB56_288:
	s_or_b32 exec_lo, exec_lo, s2
	scratch_load_b64 v[19:20], off, off offset:208
	v_cmp_lt_u32_e64 s0, 26, v0
	s_waitcnt vmcnt(0)
	ds_store_b64 v21, v[19:20]
	s_waitcnt lgkmcnt(0)
	s_waitcnt_vscnt null, 0x0
	s_barrier
	buffer_gl0_inv
	s_and_saveexec_b32 s2, s0
	s_cbranch_execz .LBB56_298
; %bb.289:
	s_and_not1_b32 vcc_lo, exec_lo, s3
	s_cbranch_vccnz .LBB56_291
; %bb.290:
	scratch_load_b64 v[19:20], v22, off
	ds_load_b64 v[36:37], v21
	s_waitcnt vmcnt(0) lgkmcnt(0)
	v_mul_f64 v[19:20], v[19:20], v[36:37]
	s_cbranch_execz .LBB56_292
	s_branch .LBB56_293
.LBB56_291:
                                        ; implicit-def: $vgpr19_vgpr20
.LBB56_292:
	ds_load_b64 v[19:20], v21
.LBB56_293:
	s_and_saveexec_b32 s4, s1
	s_cbranch_execz .LBB56_297
; %bb.294:
	v_mov_b32_e32 v36, 0
	v_subrev_nc_u32_e32 v37, 27, v0
	s_movk_i32 s5, 0x2a8
	s_mov_b32 s1, 0
	s_delay_alu instid0(VALU_DEP_2)
	v_add_nc_u32_e32 v36, 0xd8, v36
.LBB56_295:                             ; =>This Inner Loop Header: Depth=1
	scratch_load_b64 v[38:39], v36, off
	v_dual_mov_b32 v40, s5 :: v_dual_add_nc_u32 v37, -1, v37
	v_add_nc_u32_e32 v36, 8, v36
	s_add_i32 s5, s5, 8
	ds_load_b64 v[40:41], v40
	v_cmp_eq_u32_e32 vcc_lo, 0, v37
	s_or_b32 s1, vcc_lo, s1
	s_waitcnt vmcnt(0) lgkmcnt(0)
	v_fma_f64 v[19:20], v[38:39], v[40:41], v[19:20]
	s_and_not1_b32 exec_lo, exec_lo, s1
	s_cbranch_execnz .LBB56_295
; %bb.296:
	s_or_b32 exec_lo, exec_lo, s1
.LBB56_297:
	s_delay_alu instid0(SALU_CYCLE_1)
	s_or_b32 exec_lo, exec_lo, s4
	v_mov_b32_e32 v36, 0
	ds_load_b64 v[36:37], v36 offset:208
	s_waitcnt lgkmcnt(0)
	v_mul_f64 v[19:20], v[19:20], v[36:37]
	scratch_store_b64 off, v[19:20], off offset:208
.LBB56_298:
	s_or_b32 exec_lo, exec_lo, s2
	scratch_load_b64 v[19:20], off, off offset:200
	v_cmp_lt_u32_e64 s1, 25, v0
	s_waitcnt vmcnt(0)
	ds_store_b64 v21, v[19:20]
	s_waitcnt lgkmcnt(0)
	s_waitcnt_vscnt null, 0x0
	s_barrier
	buffer_gl0_inv
	s_and_saveexec_b32 s2, s1
	s_cbranch_execz .LBB56_308
; %bb.299:
	s_and_not1_b32 vcc_lo, exec_lo, s3
	s_cbranch_vccnz .LBB56_301
; %bb.300:
	scratch_load_b64 v[19:20], v22, off
	ds_load_b64 v[36:37], v21
	s_waitcnt vmcnt(0) lgkmcnt(0)
	v_mul_f64 v[19:20], v[19:20], v[36:37]
	s_cbranch_execz .LBB56_302
	s_branch .LBB56_303
.LBB56_301:
                                        ; implicit-def: $vgpr19_vgpr20
.LBB56_302:
	ds_load_b64 v[19:20], v21
.LBB56_303:
	s_and_saveexec_b32 s4, s0
	s_cbranch_execz .LBB56_307
; %bb.304:
	v_subrev_nc_u32_e32 v36, 26, v0
	s_movk_i32 s5, 0x2a0
	s_mov_b32 s0, 0
.LBB56_305:                             ; =>This Inner Loop Header: Depth=1
	scratch_load_b64 v[37:38], v35, off
	v_dual_mov_b32 v39, s5 :: v_dual_add_nc_u32 v36, -1, v36
	v_add_nc_u32_e32 v35, 8, v35
	s_add_i32 s5, s5, 8
	ds_load_b64 v[39:40], v39
	v_cmp_eq_u32_e32 vcc_lo, 0, v36
	s_or_b32 s0, vcc_lo, s0
	s_waitcnt vmcnt(0) lgkmcnt(0)
	v_fma_f64 v[19:20], v[37:38], v[39:40], v[19:20]
	s_and_not1_b32 exec_lo, exec_lo, s0
	s_cbranch_execnz .LBB56_305
; %bb.306:
	s_or_b32 exec_lo, exec_lo, s0
.LBB56_307:
	s_delay_alu instid0(SALU_CYCLE_1)
	s_or_b32 exec_lo, exec_lo, s4
	v_mov_b32_e32 v35, 0
	ds_load_b64 v[35:36], v35 offset:200
	s_waitcnt lgkmcnt(0)
	v_mul_f64 v[19:20], v[19:20], v[35:36]
	scratch_store_b64 off, v[19:20], off offset:200
.LBB56_308:
	s_or_b32 exec_lo, exec_lo, s2
	scratch_load_b64 v[19:20], off, off offset:192
	v_cmp_lt_u32_e64 s0, 24, v0
	s_waitcnt vmcnt(0)
	ds_store_b64 v21, v[19:20]
	s_waitcnt lgkmcnt(0)
	s_waitcnt_vscnt null, 0x0
	s_barrier
	buffer_gl0_inv
	s_and_saveexec_b32 s2, s0
	s_cbranch_execz .LBB56_318
; %bb.309:
	s_and_not1_b32 vcc_lo, exec_lo, s3
	s_cbranch_vccnz .LBB56_311
; %bb.310:
	scratch_load_b64 v[19:20], v22, off
	ds_load_b64 v[35:36], v21
	s_waitcnt vmcnt(0) lgkmcnt(0)
	v_mul_f64 v[19:20], v[19:20], v[35:36]
	s_cbranch_execz .LBB56_312
	s_branch .LBB56_313
.LBB56_311:
                                        ; implicit-def: $vgpr19_vgpr20
.LBB56_312:
	ds_load_b64 v[19:20], v21
.LBB56_313:
	s_and_saveexec_b32 s4, s1
	s_cbranch_execz .LBB56_317
; %bb.314:
	v_mov_b32_e32 v35, 0
	v_subrev_nc_u32_e32 v36, 25, v0
	s_movk_i32 s5, 0x298
	s_mov_b32 s1, 0
	s_delay_alu instid0(VALU_DEP_2)
	v_add_nc_u32_e32 v35, 0xc8, v35
.LBB56_315:                             ; =>This Inner Loop Header: Depth=1
	scratch_load_b64 v[37:38], v35, off
	v_dual_mov_b32 v39, s5 :: v_dual_add_nc_u32 v36, -1, v36
	v_add_nc_u32_e32 v35, 8, v35
	s_add_i32 s5, s5, 8
	ds_load_b64 v[39:40], v39
	v_cmp_eq_u32_e32 vcc_lo, 0, v36
	s_or_b32 s1, vcc_lo, s1
	s_waitcnt vmcnt(0) lgkmcnt(0)
	v_fma_f64 v[19:20], v[37:38], v[39:40], v[19:20]
	s_and_not1_b32 exec_lo, exec_lo, s1
	s_cbranch_execnz .LBB56_315
; %bb.316:
	s_or_b32 exec_lo, exec_lo, s1
.LBB56_317:
	s_delay_alu instid0(SALU_CYCLE_1)
	s_or_b32 exec_lo, exec_lo, s4
	v_mov_b32_e32 v35, 0
	ds_load_b64 v[35:36], v35 offset:192
	s_waitcnt lgkmcnt(0)
	v_mul_f64 v[19:20], v[19:20], v[35:36]
	scratch_store_b64 off, v[19:20], off offset:192
.LBB56_318:
	s_or_b32 exec_lo, exec_lo, s2
	scratch_load_b64 v[19:20], off, off offset:184
	v_cmp_lt_u32_e64 s1, 23, v0
	s_waitcnt vmcnt(0)
	ds_store_b64 v21, v[19:20]
	s_waitcnt lgkmcnt(0)
	s_waitcnt_vscnt null, 0x0
	s_barrier
	buffer_gl0_inv
	s_and_saveexec_b32 s2, s1
	s_cbranch_execz .LBB56_328
; %bb.319:
	s_and_not1_b32 vcc_lo, exec_lo, s3
	s_cbranch_vccnz .LBB56_321
; %bb.320:
	scratch_load_b64 v[19:20], v22, off
	ds_load_b64 v[35:36], v21
	s_waitcnt vmcnt(0) lgkmcnt(0)
	v_mul_f64 v[19:20], v[19:20], v[35:36]
	s_cbranch_execz .LBB56_322
	s_branch .LBB56_323
.LBB56_321:
                                        ; implicit-def: $vgpr19_vgpr20
.LBB56_322:
	ds_load_b64 v[19:20], v21
.LBB56_323:
	s_and_saveexec_b32 s4, s0
	s_cbranch_execz .LBB56_327
; %bb.324:
	v_subrev_nc_u32_e32 v35, 24, v0
	s_movk_i32 s5, 0x290
	s_mov_b32 s0, 0
.LBB56_325:                             ; =>This Inner Loop Header: Depth=1
	scratch_load_b64 v[36:37], v34, off
	v_dual_mov_b32 v38, s5 :: v_dual_add_nc_u32 v35, -1, v35
	v_add_nc_u32_e32 v34, 8, v34
	s_add_i32 s5, s5, 8
	ds_load_b64 v[38:39], v38
	v_cmp_eq_u32_e32 vcc_lo, 0, v35
	s_or_b32 s0, vcc_lo, s0
	s_waitcnt vmcnt(0) lgkmcnt(0)
	v_fma_f64 v[19:20], v[36:37], v[38:39], v[19:20]
	s_and_not1_b32 exec_lo, exec_lo, s0
	s_cbranch_execnz .LBB56_325
; %bb.326:
	s_or_b32 exec_lo, exec_lo, s0
.LBB56_327:
	s_delay_alu instid0(SALU_CYCLE_1)
	s_or_b32 exec_lo, exec_lo, s4
	v_mov_b32_e32 v34, 0
	ds_load_b64 v[34:35], v34 offset:184
	s_waitcnt lgkmcnt(0)
	v_mul_f64 v[19:20], v[19:20], v[34:35]
	scratch_store_b64 off, v[19:20], off offset:184
.LBB56_328:
	s_or_b32 exec_lo, exec_lo, s2
	scratch_load_b64 v[19:20], off, off offset:176
	v_cmp_lt_u32_e64 s0, 22, v0
	s_waitcnt vmcnt(0)
	ds_store_b64 v21, v[19:20]
	s_waitcnt lgkmcnt(0)
	s_waitcnt_vscnt null, 0x0
	s_barrier
	buffer_gl0_inv
	s_and_saveexec_b32 s2, s0
	s_cbranch_execz .LBB56_338
; %bb.329:
	s_and_not1_b32 vcc_lo, exec_lo, s3
	s_cbranch_vccnz .LBB56_331
; %bb.330:
	scratch_load_b64 v[19:20], v22, off
	ds_load_b64 v[34:35], v21
	s_waitcnt vmcnt(0) lgkmcnt(0)
	v_mul_f64 v[19:20], v[19:20], v[34:35]
	s_cbranch_execz .LBB56_332
	s_branch .LBB56_333
.LBB56_331:
                                        ; implicit-def: $vgpr19_vgpr20
.LBB56_332:
	ds_load_b64 v[19:20], v21
.LBB56_333:
	s_and_saveexec_b32 s4, s1
	s_cbranch_execz .LBB56_337
; %bb.334:
	v_mov_b32_e32 v34, 0
	v_subrev_nc_u32_e32 v35, 23, v0
	s_movk_i32 s5, 0x288
	s_mov_b32 s1, 0
	s_delay_alu instid0(VALU_DEP_2)
	v_add_nc_u32_e32 v34, 0xb8, v34
.LBB56_335:                             ; =>This Inner Loop Header: Depth=1
	scratch_load_b64 v[36:37], v34, off
	v_dual_mov_b32 v38, s5 :: v_dual_add_nc_u32 v35, -1, v35
	v_add_nc_u32_e32 v34, 8, v34
	s_add_i32 s5, s5, 8
	ds_load_b64 v[38:39], v38
	v_cmp_eq_u32_e32 vcc_lo, 0, v35
	s_or_b32 s1, vcc_lo, s1
	s_waitcnt vmcnt(0) lgkmcnt(0)
	v_fma_f64 v[19:20], v[36:37], v[38:39], v[19:20]
	s_and_not1_b32 exec_lo, exec_lo, s1
	s_cbranch_execnz .LBB56_335
; %bb.336:
	s_or_b32 exec_lo, exec_lo, s1
.LBB56_337:
	s_delay_alu instid0(SALU_CYCLE_1)
	s_or_b32 exec_lo, exec_lo, s4
	v_mov_b32_e32 v34, 0
	ds_load_b64 v[34:35], v34 offset:176
	s_waitcnt lgkmcnt(0)
	v_mul_f64 v[19:20], v[19:20], v[34:35]
	scratch_store_b64 off, v[19:20], off offset:176
.LBB56_338:
	s_or_b32 exec_lo, exec_lo, s2
	scratch_load_b64 v[19:20], off, off offset:168
	v_cmp_lt_u32_e64 s1, 21, v0
	s_waitcnt vmcnt(0)
	ds_store_b64 v21, v[19:20]
	s_waitcnt lgkmcnt(0)
	s_waitcnt_vscnt null, 0x0
	s_barrier
	buffer_gl0_inv
	s_and_saveexec_b32 s2, s1
	s_cbranch_execz .LBB56_348
; %bb.339:
	s_and_not1_b32 vcc_lo, exec_lo, s3
	s_cbranch_vccnz .LBB56_341
; %bb.340:
	scratch_load_b64 v[19:20], v22, off
	ds_load_b64 v[34:35], v21
	s_waitcnt vmcnt(0) lgkmcnt(0)
	v_mul_f64 v[19:20], v[19:20], v[34:35]
	s_cbranch_execz .LBB56_342
	s_branch .LBB56_343
.LBB56_341:
                                        ; implicit-def: $vgpr19_vgpr20
.LBB56_342:
	ds_load_b64 v[19:20], v21
.LBB56_343:
	s_and_saveexec_b32 s4, s0
	s_cbranch_execz .LBB56_347
; %bb.344:
	v_subrev_nc_u32_e32 v34, 22, v0
	s_movk_i32 s5, 0x280
	s_mov_b32 s0, 0
.LBB56_345:                             ; =>This Inner Loop Header: Depth=1
	scratch_load_b64 v[35:36], v33, off
	v_dual_mov_b32 v37, s5 :: v_dual_add_nc_u32 v34, -1, v34
	v_add_nc_u32_e32 v33, 8, v33
	s_add_i32 s5, s5, 8
	ds_load_b64 v[37:38], v37
	v_cmp_eq_u32_e32 vcc_lo, 0, v34
	s_or_b32 s0, vcc_lo, s0
	s_waitcnt vmcnt(0) lgkmcnt(0)
	v_fma_f64 v[19:20], v[35:36], v[37:38], v[19:20]
	s_and_not1_b32 exec_lo, exec_lo, s0
	s_cbranch_execnz .LBB56_345
; %bb.346:
	s_or_b32 exec_lo, exec_lo, s0
.LBB56_347:
	s_delay_alu instid0(SALU_CYCLE_1)
	s_or_b32 exec_lo, exec_lo, s4
	v_mov_b32_e32 v33, 0
	ds_load_b64 v[33:34], v33 offset:168
	s_waitcnt lgkmcnt(0)
	v_mul_f64 v[19:20], v[19:20], v[33:34]
	scratch_store_b64 off, v[19:20], off offset:168
.LBB56_348:
	s_or_b32 exec_lo, exec_lo, s2
	scratch_load_b64 v[19:20], off, off offset:160
	v_cmp_lt_u32_e64 s0, 20, v0
	s_waitcnt vmcnt(0)
	ds_store_b64 v21, v[19:20]
	s_waitcnt lgkmcnt(0)
	s_waitcnt_vscnt null, 0x0
	s_barrier
	buffer_gl0_inv
	s_and_saveexec_b32 s2, s0
	s_cbranch_execz .LBB56_358
; %bb.349:
	s_and_not1_b32 vcc_lo, exec_lo, s3
	s_cbranch_vccnz .LBB56_351
; %bb.350:
	scratch_load_b64 v[19:20], v22, off
	ds_load_b64 v[33:34], v21
	s_waitcnt vmcnt(0) lgkmcnt(0)
	v_mul_f64 v[19:20], v[19:20], v[33:34]
	s_cbranch_execz .LBB56_352
	s_branch .LBB56_353
.LBB56_351:
                                        ; implicit-def: $vgpr19_vgpr20
.LBB56_352:
	ds_load_b64 v[19:20], v21
.LBB56_353:
	s_and_saveexec_b32 s4, s1
	s_cbranch_execz .LBB56_357
; %bb.354:
	v_mov_b32_e32 v33, 0
	v_subrev_nc_u32_e32 v34, 21, v0
	s_movk_i32 s5, 0x278
	s_mov_b32 s1, 0
	s_delay_alu instid0(VALU_DEP_2)
	v_add_nc_u32_e32 v33, 0xa8, v33
.LBB56_355:                             ; =>This Inner Loop Header: Depth=1
	scratch_load_b64 v[35:36], v33, off
	v_dual_mov_b32 v37, s5 :: v_dual_add_nc_u32 v34, -1, v34
	v_add_nc_u32_e32 v33, 8, v33
	s_add_i32 s5, s5, 8
	ds_load_b64 v[37:38], v37
	v_cmp_eq_u32_e32 vcc_lo, 0, v34
	s_or_b32 s1, vcc_lo, s1
	s_waitcnt vmcnt(0) lgkmcnt(0)
	v_fma_f64 v[19:20], v[35:36], v[37:38], v[19:20]
	s_and_not1_b32 exec_lo, exec_lo, s1
	s_cbranch_execnz .LBB56_355
; %bb.356:
	s_or_b32 exec_lo, exec_lo, s1
.LBB56_357:
	s_delay_alu instid0(SALU_CYCLE_1)
	s_or_b32 exec_lo, exec_lo, s4
	v_mov_b32_e32 v33, 0
	ds_load_b64 v[33:34], v33 offset:160
	s_waitcnt lgkmcnt(0)
	v_mul_f64 v[19:20], v[19:20], v[33:34]
	scratch_store_b64 off, v[19:20], off offset:160
.LBB56_358:
	s_or_b32 exec_lo, exec_lo, s2
	scratch_load_b64 v[19:20], off, off offset:152
	v_cmp_lt_u32_e64 s1, 19, v0
	s_waitcnt vmcnt(0)
	ds_store_b64 v21, v[19:20]
	s_waitcnt lgkmcnt(0)
	s_waitcnt_vscnt null, 0x0
	s_barrier
	buffer_gl0_inv
	s_and_saveexec_b32 s2, s1
	s_cbranch_execz .LBB56_368
; %bb.359:
	s_and_not1_b32 vcc_lo, exec_lo, s3
	s_cbranch_vccnz .LBB56_361
; %bb.360:
	scratch_load_b64 v[19:20], v22, off
	ds_load_b64 v[33:34], v21
	s_waitcnt vmcnt(0) lgkmcnt(0)
	v_mul_f64 v[19:20], v[19:20], v[33:34]
	s_cbranch_execz .LBB56_362
	s_branch .LBB56_363
.LBB56_361:
                                        ; implicit-def: $vgpr19_vgpr20
.LBB56_362:
	ds_load_b64 v[19:20], v21
.LBB56_363:
	s_and_saveexec_b32 s4, s0
	s_cbranch_execz .LBB56_367
; %bb.364:
	v_subrev_nc_u32_e32 v33, 20, v0
	s_movk_i32 s5, 0x270
	s_mov_b32 s0, 0
.LBB56_365:                             ; =>This Inner Loop Header: Depth=1
	scratch_load_b64 v[34:35], v32, off
	v_dual_mov_b32 v36, s5 :: v_dual_add_nc_u32 v33, -1, v33
	v_add_nc_u32_e32 v32, 8, v32
	s_add_i32 s5, s5, 8
	ds_load_b64 v[36:37], v36
	v_cmp_eq_u32_e32 vcc_lo, 0, v33
	s_or_b32 s0, vcc_lo, s0
	s_waitcnt vmcnt(0) lgkmcnt(0)
	v_fma_f64 v[19:20], v[34:35], v[36:37], v[19:20]
	s_and_not1_b32 exec_lo, exec_lo, s0
	s_cbranch_execnz .LBB56_365
; %bb.366:
	s_or_b32 exec_lo, exec_lo, s0
.LBB56_367:
	s_delay_alu instid0(SALU_CYCLE_1)
	s_or_b32 exec_lo, exec_lo, s4
	v_mov_b32_e32 v32, 0
	ds_load_b64 v[32:33], v32 offset:152
	s_waitcnt lgkmcnt(0)
	v_mul_f64 v[19:20], v[19:20], v[32:33]
	scratch_store_b64 off, v[19:20], off offset:152
.LBB56_368:
	s_or_b32 exec_lo, exec_lo, s2
	scratch_load_b64 v[19:20], off, off offset:144
	v_cmp_lt_u32_e64 s0, 18, v0
	s_waitcnt vmcnt(0)
	ds_store_b64 v21, v[19:20]
	s_waitcnt lgkmcnt(0)
	s_waitcnt_vscnt null, 0x0
	s_barrier
	buffer_gl0_inv
	s_and_saveexec_b32 s2, s0
	s_cbranch_execz .LBB56_378
; %bb.369:
	s_and_not1_b32 vcc_lo, exec_lo, s3
	s_cbranch_vccnz .LBB56_371
; %bb.370:
	scratch_load_b64 v[19:20], v22, off
	ds_load_b64 v[32:33], v21
	s_waitcnt vmcnt(0) lgkmcnt(0)
	v_mul_f64 v[19:20], v[19:20], v[32:33]
	s_cbranch_execz .LBB56_372
	s_branch .LBB56_373
.LBB56_371:
                                        ; implicit-def: $vgpr19_vgpr20
.LBB56_372:
	ds_load_b64 v[19:20], v21
.LBB56_373:
	s_and_saveexec_b32 s4, s1
	s_cbranch_execz .LBB56_377
; %bb.374:
	v_mov_b32_e32 v32, 0
	v_subrev_nc_u32_e32 v33, 19, v0
	s_movk_i32 s5, 0x268
	s_mov_b32 s1, 0
	s_delay_alu instid0(VALU_DEP_2)
	v_add_nc_u32_e32 v32, 0x98, v32
.LBB56_375:                             ; =>This Inner Loop Header: Depth=1
	scratch_load_b64 v[34:35], v32, off
	v_dual_mov_b32 v36, s5 :: v_dual_add_nc_u32 v33, -1, v33
	v_add_nc_u32_e32 v32, 8, v32
	s_add_i32 s5, s5, 8
	ds_load_b64 v[36:37], v36
	v_cmp_eq_u32_e32 vcc_lo, 0, v33
	s_or_b32 s1, vcc_lo, s1
	s_waitcnt vmcnt(0) lgkmcnt(0)
	v_fma_f64 v[19:20], v[34:35], v[36:37], v[19:20]
	s_and_not1_b32 exec_lo, exec_lo, s1
	s_cbranch_execnz .LBB56_375
; %bb.376:
	s_or_b32 exec_lo, exec_lo, s1
.LBB56_377:
	s_delay_alu instid0(SALU_CYCLE_1)
	s_or_b32 exec_lo, exec_lo, s4
	v_mov_b32_e32 v32, 0
	ds_load_b64 v[32:33], v32 offset:144
	s_waitcnt lgkmcnt(0)
	v_mul_f64 v[19:20], v[19:20], v[32:33]
	scratch_store_b64 off, v[19:20], off offset:144
.LBB56_378:
	s_or_b32 exec_lo, exec_lo, s2
	scratch_load_b64 v[19:20], off, off offset:136
	v_cmp_lt_u32_e64 s1, 17, v0
	s_waitcnt vmcnt(0)
	ds_store_b64 v21, v[19:20]
	s_waitcnt lgkmcnt(0)
	s_waitcnt_vscnt null, 0x0
	s_barrier
	buffer_gl0_inv
	s_and_saveexec_b32 s2, s1
	s_cbranch_execz .LBB56_388
; %bb.379:
	s_and_not1_b32 vcc_lo, exec_lo, s3
	s_cbranch_vccnz .LBB56_381
; %bb.380:
	scratch_load_b64 v[19:20], v22, off
	ds_load_b64 v[32:33], v21
	s_waitcnt vmcnt(0) lgkmcnt(0)
	v_mul_f64 v[19:20], v[19:20], v[32:33]
	s_cbranch_execz .LBB56_382
	s_branch .LBB56_383
.LBB56_381:
                                        ; implicit-def: $vgpr19_vgpr20
.LBB56_382:
	ds_load_b64 v[19:20], v21
.LBB56_383:
	s_and_saveexec_b32 s4, s0
	s_cbranch_execz .LBB56_387
; %bb.384:
	v_subrev_nc_u32_e32 v32, 18, v0
	s_movk_i32 s5, 0x260
	s_mov_b32 s0, 0
.LBB56_385:                             ; =>This Inner Loop Header: Depth=1
	scratch_load_b64 v[33:34], v31, off
	v_dual_mov_b32 v35, s5 :: v_dual_add_nc_u32 v32, -1, v32
	v_add_nc_u32_e32 v31, 8, v31
	s_add_i32 s5, s5, 8
	ds_load_b64 v[35:36], v35
	v_cmp_eq_u32_e32 vcc_lo, 0, v32
	s_or_b32 s0, vcc_lo, s0
	s_waitcnt vmcnt(0) lgkmcnt(0)
	v_fma_f64 v[19:20], v[33:34], v[35:36], v[19:20]
	s_and_not1_b32 exec_lo, exec_lo, s0
	s_cbranch_execnz .LBB56_385
; %bb.386:
	s_or_b32 exec_lo, exec_lo, s0
.LBB56_387:
	s_delay_alu instid0(SALU_CYCLE_1)
	s_or_b32 exec_lo, exec_lo, s4
	v_mov_b32_e32 v31, 0
	ds_load_b64 v[31:32], v31 offset:136
	s_waitcnt lgkmcnt(0)
	v_mul_f64 v[19:20], v[19:20], v[31:32]
	scratch_store_b64 off, v[19:20], off offset:136
.LBB56_388:
	s_or_b32 exec_lo, exec_lo, s2
	scratch_load_b64 v[19:20], off, off offset:128
	v_cmp_lt_u32_e64 s0, 16, v0
	s_waitcnt vmcnt(0)
	ds_store_b64 v21, v[19:20]
	s_waitcnt lgkmcnt(0)
	s_waitcnt_vscnt null, 0x0
	s_barrier
	buffer_gl0_inv
	s_and_saveexec_b32 s2, s0
	s_cbranch_execz .LBB56_398
; %bb.389:
	s_and_not1_b32 vcc_lo, exec_lo, s3
	s_cbranch_vccnz .LBB56_391
; %bb.390:
	scratch_load_b64 v[19:20], v22, off
	ds_load_b64 v[31:32], v21
	s_waitcnt vmcnt(0) lgkmcnt(0)
	v_mul_f64 v[19:20], v[19:20], v[31:32]
	s_cbranch_execz .LBB56_392
	s_branch .LBB56_393
.LBB56_391:
                                        ; implicit-def: $vgpr19_vgpr20
.LBB56_392:
	ds_load_b64 v[19:20], v21
.LBB56_393:
	s_and_saveexec_b32 s4, s1
	s_cbranch_execz .LBB56_397
; %bb.394:
	v_mov_b32_e32 v31, 0
	v_subrev_nc_u32_e32 v32, 17, v0
	s_movk_i32 s5, 0x258
	s_mov_b32 s1, 0
	s_delay_alu instid0(VALU_DEP_2)
	v_add_nc_u32_e32 v31, 0x88, v31
.LBB56_395:                             ; =>This Inner Loop Header: Depth=1
	scratch_load_b64 v[33:34], v31, off
	v_dual_mov_b32 v35, s5 :: v_dual_add_nc_u32 v32, -1, v32
	v_add_nc_u32_e32 v31, 8, v31
	s_add_i32 s5, s5, 8
	ds_load_b64 v[35:36], v35
	v_cmp_eq_u32_e32 vcc_lo, 0, v32
	s_or_b32 s1, vcc_lo, s1
	s_waitcnt vmcnt(0) lgkmcnt(0)
	v_fma_f64 v[19:20], v[33:34], v[35:36], v[19:20]
	s_and_not1_b32 exec_lo, exec_lo, s1
	s_cbranch_execnz .LBB56_395
; %bb.396:
	s_or_b32 exec_lo, exec_lo, s1
.LBB56_397:
	s_delay_alu instid0(SALU_CYCLE_1)
	s_or_b32 exec_lo, exec_lo, s4
	v_mov_b32_e32 v31, 0
	ds_load_b64 v[31:32], v31 offset:128
	s_waitcnt lgkmcnt(0)
	v_mul_f64 v[19:20], v[19:20], v[31:32]
	scratch_store_b64 off, v[19:20], off offset:128
.LBB56_398:
	s_or_b32 exec_lo, exec_lo, s2
	scratch_load_b64 v[19:20], off, off offset:120
	v_cmp_lt_u32_e64 s1, 15, v0
	s_waitcnt vmcnt(0)
	ds_store_b64 v21, v[19:20]
	s_waitcnt lgkmcnt(0)
	s_waitcnt_vscnt null, 0x0
	s_barrier
	buffer_gl0_inv
	s_and_saveexec_b32 s2, s1
	s_cbranch_execz .LBB56_408
; %bb.399:
	s_and_not1_b32 vcc_lo, exec_lo, s3
	s_cbranch_vccnz .LBB56_401
; %bb.400:
	scratch_load_b64 v[19:20], v22, off
	ds_load_b64 v[31:32], v21
	s_waitcnt vmcnt(0) lgkmcnt(0)
	v_mul_f64 v[19:20], v[19:20], v[31:32]
	s_cbranch_execz .LBB56_402
	s_branch .LBB56_403
.LBB56_401:
                                        ; implicit-def: $vgpr19_vgpr20
.LBB56_402:
	ds_load_b64 v[19:20], v21
.LBB56_403:
	s_and_saveexec_b32 s4, s0
	s_cbranch_execz .LBB56_407
; %bb.404:
	v_add_nc_u32_e32 v31, -16, v0
	s_movk_i32 s5, 0x250
	s_mov_b32 s0, 0
.LBB56_405:                             ; =>This Inner Loop Header: Depth=1
	scratch_load_b64 v[32:33], v30, off
	v_dual_mov_b32 v34, s5 :: v_dual_add_nc_u32 v31, -1, v31
	v_add_nc_u32_e32 v30, 8, v30
	s_add_i32 s5, s5, 8
	ds_load_b64 v[34:35], v34
	v_cmp_eq_u32_e32 vcc_lo, 0, v31
	s_or_b32 s0, vcc_lo, s0
	s_waitcnt vmcnt(0) lgkmcnt(0)
	v_fma_f64 v[19:20], v[32:33], v[34:35], v[19:20]
	s_and_not1_b32 exec_lo, exec_lo, s0
	s_cbranch_execnz .LBB56_405
; %bb.406:
	s_or_b32 exec_lo, exec_lo, s0
.LBB56_407:
	s_delay_alu instid0(SALU_CYCLE_1)
	s_or_b32 exec_lo, exec_lo, s4
	v_mov_b32_e32 v30, 0
	ds_load_b64 v[30:31], v30 offset:120
	s_waitcnt lgkmcnt(0)
	v_mul_f64 v[19:20], v[19:20], v[30:31]
	scratch_store_b64 off, v[19:20], off offset:120
.LBB56_408:
	s_or_b32 exec_lo, exec_lo, s2
	scratch_load_b64 v[19:20], off, off offset:112
	v_cmp_lt_u32_e64 s0, 14, v0
	s_waitcnt vmcnt(0)
	ds_store_b64 v21, v[19:20]
	s_waitcnt lgkmcnt(0)
	s_waitcnt_vscnt null, 0x0
	s_barrier
	buffer_gl0_inv
	s_and_saveexec_b32 s2, s0
	s_cbranch_execz .LBB56_418
; %bb.409:
	s_and_not1_b32 vcc_lo, exec_lo, s3
	s_cbranch_vccnz .LBB56_411
; %bb.410:
	scratch_load_b64 v[19:20], v22, off
	ds_load_b64 v[30:31], v21
	s_waitcnt vmcnt(0) lgkmcnt(0)
	v_mul_f64 v[19:20], v[19:20], v[30:31]
	s_cbranch_execz .LBB56_412
	s_branch .LBB56_413
.LBB56_411:
                                        ; implicit-def: $vgpr19_vgpr20
.LBB56_412:
	ds_load_b64 v[19:20], v21
.LBB56_413:
	s_and_saveexec_b32 s4, s1
	s_cbranch_execz .LBB56_417
; %bb.414:
	v_dual_mov_b32 v30, 0 :: v_dual_add_nc_u32 v31, -15, v0
	s_movk_i32 s5, 0x248
	s_mov_b32 s1, 0
	s_delay_alu instid0(VALU_DEP_1)
	v_add_nc_u32_e32 v30, 0x78, v30
.LBB56_415:                             ; =>This Inner Loop Header: Depth=1
	scratch_load_b64 v[32:33], v30, off
	v_dual_mov_b32 v34, s5 :: v_dual_add_nc_u32 v31, -1, v31
	v_add_nc_u32_e32 v30, 8, v30
	s_add_i32 s5, s5, 8
	ds_load_b64 v[34:35], v34
	v_cmp_eq_u32_e32 vcc_lo, 0, v31
	s_or_b32 s1, vcc_lo, s1
	s_waitcnt vmcnt(0) lgkmcnt(0)
	v_fma_f64 v[19:20], v[32:33], v[34:35], v[19:20]
	s_and_not1_b32 exec_lo, exec_lo, s1
	s_cbranch_execnz .LBB56_415
; %bb.416:
	s_or_b32 exec_lo, exec_lo, s1
.LBB56_417:
	s_delay_alu instid0(SALU_CYCLE_1)
	s_or_b32 exec_lo, exec_lo, s4
	v_mov_b32_e32 v30, 0
	ds_load_b64 v[30:31], v30 offset:112
	s_waitcnt lgkmcnt(0)
	v_mul_f64 v[19:20], v[19:20], v[30:31]
	scratch_store_b64 off, v[19:20], off offset:112
.LBB56_418:
	s_or_b32 exec_lo, exec_lo, s2
	scratch_load_b64 v[19:20], off, off offset:104
	v_cmp_lt_u32_e64 s1, 13, v0
	s_waitcnt vmcnt(0)
	ds_store_b64 v21, v[19:20]
	s_waitcnt lgkmcnt(0)
	s_waitcnt_vscnt null, 0x0
	s_barrier
	buffer_gl0_inv
	s_and_saveexec_b32 s2, s1
	s_cbranch_execz .LBB56_428
; %bb.419:
	s_and_not1_b32 vcc_lo, exec_lo, s3
	s_cbranch_vccnz .LBB56_421
; %bb.420:
	scratch_load_b64 v[19:20], v22, off
	ds_load_b64 v[30:31], v21
	s_waitcnt vmcnt(0) lgkmcnt(0)
	v_mul_f64 v[19:20], v[19:20], v[30:31]
	s_cbranch_execz .LBB56_422
	s_branch .LBB56_423
.LBB56_421:
                                        ; implicit-def: $vgpr19_vgpr20
.LBB56_422:
	ds_load_b64 v[19:20], v21
.LBB56_423:
	s_and_saveexec_b32 s4, s0
	s_cbranch_execz .LBB56_427
; %bb.424:
	v_add_nc_u32_e32 v30, -14, v0
	s_movk_i32 s5, 0x240
	s_mov_b32 s0, 0
.LBB56_425:                             ; =>This Inner Loop Header: Depth=1
	scratch_load_b64 v[31:32], v29, off
	v_dual_mov_b32 v33, s5 :: v_dual_add_nc_u32 v30, -1, v30
	v_add_nc_u32_e32 v29, 8, v29
	s_add_i32 s5, s5, 8
	ds_load_b64 v[33:34], v33
	v_cmp_eq_u32_e32 vcc_lo, 0, v30
	s_or_b32 s0, vcc_lo, s0
	s_waitcnt vmcnt(0) lgkmcnt(0)
	v_fma_f64 v[19:20], v[31:32], v[33:34], v[19:20]
	s_and_not1_b32 exec_lo, exec_lo, s0
	s_cbranch_execnz .LBB56_425
; %bb.426:
	s_or_b32 exec_lo, exec_lo, s0
.LBB56_427:
	s_delay_alu instid0(SALU_CYCLE_1)
	s_or_b32 exec_lo, exec_lo, s4
	v_mov_b32_e32 v29, 0
	ds_load_b64 v[29:30], v29 offset:104
	s_waitcnt lgkmcnt(0)
	v_mul_f64 v[19:20], v[19:20], v[29:30]
	scratch_store_b64 off, v[19:20], off offset:104
.LBB56_428:
	s_or_b32 exec_lo, exec_lo, s2
	scratch_load_b64 v[19:20], off, off offset:96
	v_cmp_lt_u32_e64 s0, 12, v0
	s_waitcnt vmcnt(0)
	ds_store_b64 v21, v[19:20]
	s_waitcnt lgkmcnt(0)
	s_waitcnt_vscnt null, 0x0
	s_barrier
	buffer_gl0_inv
	s_and_saveexec_b32 s2, s0
	s_cbranch_execz .LBB56_438
; %bb.429:
	s_and_not1_b32 vcc_lo, exec_lo, s3
	s_cbranch_vccnz .LBB56_431
; %bb.430:
	scratch_load_b64 v[19:20], v22, off
	ds_load_b64 v[29:30], v21
	s_waitcnt vmcnt(0) lgkmcnt(0)
	v_mul_f64 v[19:20], v[19:20], v[29:30]
	s_cbranch_execz .LBB56_432
	s_branch .LBB56_433
.LBB56_431:
                                        ; implicit-def: $vgpr19_vgpr20
.LBB56_432:
	ds_load_b64 v[19:20], v21
.LBB56_433:
	s_and_saveexec_b32 s4, s1
	s_cbranch_execz .LBB56_437
; %bb.434:
	v_dual_mov_b32 v29, 0 :: v_dual_add_nc_u32 v30, -13, v0
	s_movk_i32 s5, 0x238
	s_mov_b32 s1, 0
	s_delay_alu instid0(VALU_DEP_1)
	v_add_nc_u32_e32 v29, 0x68, v29
.LBB56_435:                             ; =>This Inner Loop Header: Depth=1
	scratch_load_b64 v[31:32], v29, off
	v_dual_mov_b32 v33, s5 :: v_dual_add_nc_u32 v30, -1, v30
	v_add_nc_u32_e32 v29, 8, v29
	s_add_i32 s5, s5, 8
	ds_load_b64 v[33:34], v33
	v_cmp_eq_u32_e32 vcc_lo, 0, v30
	s_or_b32 s1, vcc_lo, s1
	s_waitcnt vmcnt(0) lgkmcnt(0)
	v_fma_f64 v[19:20], v[31:32], v[33:34], v[19:20]
	s_and_not1_b32 exec_lo, exec_lo, s1
	s_cbranch_execnz .LBB56_435
; %bb.436:
	s_or_b32 exec_lo, exec_lo, s1
.LBB56_437:
	s_delay_alu instid0(SALU_CYCLE_1)
	s_or_b32 exec_lo, exec_lo, s4
	v_mov_b32_e32 v29, 0
	ds_load_b64 v[29:30], v29 offset:96
	s_waitcnt lgkmcnt(0)
	v_mul_f64 v[19:20], v[19:20], v[29:30]
	scratch_store_b64 off, v[19:20], off offset:96
.LBB56_438:
	s_or_b32 exec_lo, exec_lo, s2
	scratch_load_b64 v[19:20], off, off offset:88
	v_cmp_lt_u32_e64 s1, 11, v0
	s_waitcnt vmcnt(0)
	ds_store_b64 v21, v[19:20]
	s_waitcnt lgkmcnt(0)
	s_waitcnt_vscnt null, 0x0
	s_barrier
	buffer_gl0_inv
	s_and_saveexec_b32 s2, s1
	s_cbranch_execz .LBB56_448
; %bb.439:
	s_and_not1_b32 vcc_lo, exec_lo, s3
	s_cbranch_vccnz .LBB56_441
; %bb.440:
	scratch_load_b64 v[19:20], v22, off
	ds_load_b64 v[29:30], v21
	s_waitcnt vmcnt(0) lgkmcnt(0)
	v_mul_f64 v[19:20], v[19:20], v[29:30]
	s_cbranch_execz .LBB56_442
	s_branch .LBB56_443
.LBB56_441:
                                        ; implicit-def: $vgpr19_vgpr20
.LBB56_442:
	ds_load_b64 v[19:20], v21
.LBB56_443:
	s_and_saveexec_b32 s4, s0
	s_cbranch_execz .LBB56_447
; %bb.444:
	v_add_nc_u32_e32 v29, -12, v0
	s_movk_i32 s5, 0x230
	s_mov_b32 s0, 0
.LBB56_445:                             ; =>This Inner Loop Header: Depth=1
	scratch_load_b64 v[30:31], v28, off
	v_dual_mov_b32 v32, s5 :: v_dual_add_nc_u32 v29, -1, v29
	v_add_nc_u32_e32 v28, 8, v28
	s_add_i32 s5, s5, 8
	ds_load_b64 v[32:33], v32
	v_cmp_eq_u32_e32 vcc_lo, 0, v29
	s_or_b32 s0, vcc_lo, s0
	s_waitcnt vmcnt(0) lgkmcnt(0)
	v_fma_f64 v[19:20], v[30:31], v[32:33], v[19:20]
	s_and_not1_b32 exec_lo, exec_lo, s0
	s_cbranch_execnz .LBB56_445
; %bb.446:
	s_or_b32 exec_lo, exec_lo, s0
.LBB56_447:
	s_delay_alu instid0(SALU_CYCLE_1)
	s_or_b32 exec_lo, exec_lo, s4
	v_mov_b32_e32 v28, 0
	ds_load_b64 v[28:29], v28 offset:88
	s_waitcnt lgkmcnt(0)
	v_mul_f64 v[19:20], v[19:20], v[28:29]
	scratch_store_b64 off, v[19:20], off offset:88
.LBB56_448:
	s_or_b32 exec_lo, exec_lo, s2
	scratch_load_b64 v[19:20], off, off offset:80
	v_cmp_lt_u32_e64 s0, 10, v0
	s_waitcnt vmcnt(0)
	ds_store_b64 v21, v[19:20]
	s_waitcnt lgkmcnt(0)
	s_waitcnt_vscnt null, 0x0
	s_barrier
	buffer_gl0_inv
	s_and_saveexec_b32 s2, s0
	s_cbranch_execz .LBB56_458
; %bb.449:
	s_and_not1_b32 vcc_lo, exec_lo, s3
	s_cbranch_vccnz .LBB56_451
; %bb.450:
	scratch_load_b64 v[19:20], v22, off
	ds_load_b64 v[28:29], v21
	s_waitcnt vmcnt(0) lgkmcnt(0)
	v_mul_f64 v[19:20], v[19:20], v[28:29]
	s_cbranch_execz .LBB56_452
	s_branch .LBB56_453
.LBB56_451:
                                        ; implicit-def: $vgpr19_vgpr20
.LBB56_452:
	ds_load_b64 v[19:20], v21
.LBB56_453:
	s_and_saveexec_b32 s4, s1
	s_cbranch_execz .LBB56_457
; %bb.454:
	v_dual_mov_b32 v28, 0 :: v_dual_add_nc_u32 v29, -11, v0
	s_movk_i32 s5, 0x228
	s_mov_b32 s1, 0
	s_delay_alu instid0(VALU_DEP_1)
	v_add_nc_u32_e32 v28, 0x58, v28
.LBB56_455:                             ; =>This Inner Loop Header: Depth=1
	scratch_load_b64 v[30:31], v28, off
	v_dual_mov_b32 v32, s5 :: v_dual_add_nc_u32 v29, -1, v29
	v_add_nc_u32_e32 v28, 8, v28
	s_add_i32 s5, s5, 8
	ds_load_b64 v[32:33], v32
	v_cmp_eq_u32_e32 vcc_lo, 0, v29
	s_or_b32 s1, vcc_lo, s1
	s_waitcnt vmcnt(0) lgkmcnt(0)
	v_fma_f64 v[19:20], v[30:31], v[32:33], v[19:20]
	s_and_not1_b32 exec_lo, exec_lo, s1
	s_cbranch_execnz .LBB56_455
; %bb.456:
	s_or_b32 exec_lo, exec_lo, s1
.LBB56_457:
	s_delay_alu instid0(SALU_CYCLE_1)
	s_or_b32 exec_lo, exec_lo, s4
	v_mov_b32_e32 v28, 0
	ds_load_b64 v[28:29], v28 offset:80
	s_waitcnt lgkmcnt(0)
	v_mul_f64 v[19:20], v[19:20], v[28:29]
	scratch_store_b64 off, v[19:20], off offset:80
.LBB56_458:
	s_or_b32 exec_lo, exec_lo, s2
	scratch_load_b64 v[19:20], off, off offset:72
	v_cmp_lt_u32_e64 s1, 9, v0
	s_waitcnt vmcnt(0)
	ds_store_b64 v21, v[19:20]
	s_waitcnt lgkmcnt(0)
	s_waitcnt_vscnt null, 0x0
	s_barrier
	buffer_gl0_inv
	s_and_saveexec_b32 s2, s1
	s_cbranch_execz .LBB56_468
; %bb.459:
	s_and_not1_b32 vcc_lo, exec_lo, s3
	s_cbranch_vccnz .LBB56_461
; %bb.460:
	scratch_load_b64 v[19:20], v22, off
	ds_load_b64 v[28:29], v21
	s_waitcnt vmcnt(0) lgkmcnt(0)
	v_mul_f64 v[19:20], v[19:20], v[28:29]
	s_cbranch_execz .LBB56_462
	s_branch .LBB56_463
.LBB56_461:
                                        ; implicit-def: $vgpr19_vgpr20
.LBB56_462:
	ds_load_b64 v[19:20], v21
.LBB56_463:
	s_and_saveexec_b32 s4, s0
	s_cbranch_execz .LBB56_467
; %bb.464:
	v_add_nc_u32_e32 v28, -10, v0
	s_movk_i32 s5, 0x220
	s_mov_b32 s0, 0
.LBB56_465:                             ; =>This Inner Loop Header: Depth=1
	scratch_load_b64 v[29:30], v27, off
	v_dual_mov_b32 v31, s5 :: v_dual_add_nc_u32 v28, -1, v28
	v_add_nc_u32_e32 v27, 8, v27
	s_add_i32 s5, s5, 8
	ds_load_b64 v[31:32], v31
	v_cmp_eq_u32_e32 vcc_lo, 0, v28
	s_or_b32 s0, vcc_lo, s0
	s_waitcnt vmcnt(0) lgkmcnt(0)
	v_fma_f64 v[19:20], v[29:30], v[31:32], v[19:20]
	s_and_not1_b32 exec_lo, exec_lo, s0
	s_cbranch_execnz .LBB56_465
; %bb.466:
	s_or_b32 exec_lo, exec_lo, s0
.LBB56_467:
	s_delay_alu instid0(SALU_CYCLE_1)
	s_or_b32 exec_lo, exec_lo, s4
	v_mov_b32_e32 v27, 0
	ds_load_b64 v[27:28], v27 offset:72
	s_waitcnt lgkmcnt(0)
	v_mul_f64 v[19:20], v[19:20], v[27:28]
	scratch_store_b64 off, v[19:20], off offset:72
.LBB56_468:
	s_or_b32 exec_lo, exec_lo, s2
	scratch_load_b64 v[19:20], off, off offset:64
	v_cmp_lt_u32_e64 s0, 8, v0
	s_waitcnt vmcnt(0)
	ds_store_b64 v21, v[19:20]
	s_waitcnt lgkmcnt(0)
	s_waitcnt_vscnt null, 0x0
	s_barrier
	buffer_gl0_inv
	s_and_saveexec_b32 s2, s0
	s_cbranch_execz .LBB56_478
; %bb.469:
	s_and_not1_b32 vcc_lo, exec_lo, s3
	s_cbranch_vccnz .LBB56_471
; %bb.470:
	scratch_load_b64 v[19:20], v22, off
	ds_load_b64 v[27:28], v21
	s_waitcnt vmcnt(0) lgkmcnt(0)
	v_mul_f64 v[19:20], v[19:20], v[27:28]
	s_cbranch_execz .LBB56_472
	s_branch .LBB56_473
.LBB56_471:
                                        ; implicit-def: $vgpr19_vgpr20
.LBB56_472:
	ds_load_b64 v[19:20], v21
.LBB56_473:
	s_and_saveexec_b32 s4, s1
	s_cbranch_execz .LBB56_477
; %bb.474:
	v_dual_mov_b32 v27, 0 :: v_dual_add_nc_u32 v28, -9, v0
	s_movk_i32 s5, 0x218
	s_mov_b32 s1, 0
	s_delay_alu instid0(VALU_DEP_1)
	v_add_nc_u32_e32 v27, 0x48, v27
.LBB56_475:                             ; =>This Inner Loop Header: Depth=1
	scratch_load_b64 v[29:30], v27, off
	v_dual_mov_b32 v31, s5 :: v_dual_add_nc_u32 v28, -1, v28
	v_add_nc_u32_e32 v27, 8, v27
	s_add_i32 s5, s5, 8
	ds_load_b64 v[31:32], v31
	v_cmp_eq_u32_e32 vcc_lo, 0, v28
	s_or_b32 s1, vcc_lo, s1
	s_waitcnt vmcnt(0) lgkmcnt(0)
	v_fma_f64 v[19:20], v[29:30], v[31:32], v[19:20]
	s_and_not1_b32 exec_lo, exec_lo, s1
	s_cbranch_execnz .LBB56_475
; %bb.476:
	s_or_b32 exec_lo, exec_lo, s1
.LBB56_477:
	s_delay_alu instid0(SALU_CYCLE_1)
	s_or_b32 exec_lo, exec_lo, s4
	v_mov_b32_e32 v27, 0
	ds_load_b64 v[27:28], v27 offset:64
	s_waitcnt lgkmcnt(0)
	v_mul_f64 v[19:20], v[19:20], v[27:28]
	scratch_store_b64 off, v[19:20], off offset:64
.LBB56_478:
	s_or_b32 exec_lo, exec_lo, s2
	scratch_load_b64 v[19:20], off, off offset:56
	v_cmp_lt_u32_e64 s1, 7, v0
	s_waitcnt vmcnt(0)
	ds_store_b64 v21, v[19:20]
	s_waitcnt lgkmcnt(0)
	s_waitcnt_vscnt null, 0x0
	s_barrier
	buffer_gl0_inv
	s_and_saveexec_b32 s2, s1
	s_cbranch_execz .LBB56_488
; %bb.479:
	s_and_not1_b32 vcc_lo, exec_lo, s3
	s_cbranch_vccnz .LBB56_481
; %bb.480:
	scratch_load_b64 v[19:20], v22, off
	ds_load_b64 v[27:28], v21
	s_waitcnt vmcnt(0) lgkmcnt(0)
	v_mul_f64 v[19:20], v[19:20], v[27:28]
	s_cbranch_execz .LBB56_482
	s_branch .LBB56_483
.LBB56_481:
                                        ; implicit-def: $vgpr19_vgpr20
.LBB56_482:
	ds_load_b64 v[19:20], v21
.LBB56_483:
	s_and_saveexec_b32 s4, s0
	s_cbranch_execz .LBB56_487
; %bb.484:
	v_add_nc_u32_e32 v27, -8, v0
	s_movk_i32 s5, 0x210
	s_mov_b32 s0, 0
.LBB56_485:                             ; =>This Inner Loop Header: Depth=1
	scratch_load_b64 v[28:29], v26, off
	v_dual_mov_b32 v30, s5 :: v_dual_add_nc_u32 v27, -1, v27
	v_add_nc_u32_e32 v26, 8, v26
	s_add_i32 s5, s5, 8
	ds_load_b64 v[30:31], v30
	v_cmp_eq_u32_e32 vcc_lo, 0, v27
	s_or_b32 s0, vcc_lo, s0
	s_waitcnt vmcnt(0) lgkmcnt(0)
	v_fma_f64 v[19:20], v[28:29], v[30:31], v[19:20]
	s_and_not1_b32 exec_lo, exec_lo, s0
	s_cbranch_execnz .LBB56_485
; %bb.486:
	s_or_b32 exec_lo, exec_lo, s0
.LBB56_487:
	s_delay_alu instid0(SALU_CYCLE_1)
	s_or_b32 exec_lo, exec_lo, s4
	v_mov_b32_e32 v26, 0
	ds_load_b64 v[26:27], v26 offset:56
	s_waitcnt lgkmcnt(0)
	v_mul_f64 v[19:20], v[19:20], v[26:27]
	scratch_store_b64 off, v[19:20], off offset:56
.LBB56_488:
	s_or_b32 exec_lo, exec_lo, s2
	scratch_load_b64 v[19:20], off, off offset:48
	v_cmp_lt_u32_e64 s0, 6, v0
	s_waitcnt vmcnt(0)
	ds_store_b64 v21, v[19:20]
	s_waitcnt lgkmcnt(0)
	s_waitcnt_vscnt null, 0x0
	s_barrier
	buffer_gl0_inv
	s_and_saveexec_b32 s2, s0
	s_cbranch_execz .LBB56_498
; %bb.489:
	s_and_not1_b32 vcc_lo, exec_lo, s3
	s_cbranch_vccnz .LBB56_491
; %bb.490:
	scratch_load_b64 v[19:20], v22, off
	ds_load_b64 v[26:27], v21
	s_waitcnt vmcnt(0) lgkmcnt(0)
	v_mul_f64 v[19:20], v[19:20], v[26:27]
	s_cbranch_execz .LBB56_492
	s_branch .LBB56_493
.LBB56_491:
                                        ; implicit-def: $vgpr19_vgpr20
.LBB56_492:
	ds_load_b64 v[19:20], v21
.LBB56_493:
	s_and_saveexec_b32 s4, s1
	s_cbranch_execz .LBB56_497
; %bb.494:
	v_add_nc_u32_e64 v26, 0, 56
	v_add_nc_u32_e32 v27, -7, v0
	s_movk_i32 s5, 0x208
	s_mov_b32 s1, 0
.LBB56_495:                             ; =>This Inner Loop Header: Depth=1
	scratch_load_b64 v[28:29], v26, off
	v_dual_mov_b32 v30, s5 :: v_dual_add_nc_u32 v27, -1, v27
	v_add_nc_u32_e32 v26, 8, v26
	s_add_i32 s5, s5, 8
	ds_load_b64 v[30:31], v30
	v_cmp_eq_u32_e32 vcc_lo, 0, v27
	s_or_b32 s1, vcc_lo, s1
	s_waitcnt vmcnt(0) lgkmcnt(0)
	v_fma_f64 v[19:20], v[28:29], v[30:31], v[19:20]
	s_and_not1_b32 exec_lo, exec_lo, s1
	s_cbranch_execnz .LBB56_495
; %bb.496:
	s_or_b32 exec_lo, exec_lo, s1
.LBB56_497:
	s_delay_alu instid0(SALU_CYCLE_1)
	s_or_b32 exec_lo, exec_lo, s4
	v_mov_b32_e32 v26, 0
	ds_load_b64 v[26:27], v26 offset:48
	s_waitcnt lgkmcnt(0)
	v_mul_f64 v[19:20], v[19:20], v[26:27]
	scratch_store_b64 off, v[19:20], off offset:48
.LBB56_498:
	s_or_b32 exec_lo, exec_lo, s2
	scratch_load_b64 v[19:20], off, off offset:40
	v_cmp_lt_u32_e64 s1, 5, v0
	s_waitcnt vmcnt(0)
	ds_store_b64 v21, v[19:20]
	s_waitcnt lgkmcnt(0)
	s_waitcnt_vscnt null, 0x0
	s_barrier
	buffer_gl0_inv
	s_and_saveexec_b32 s2, s1
	s_cbranch_execz .LBB56_508
; %bb.499:
	s_and_not1_b32 vcc_lo, exec_lo, s3
	s_cbranch_vccnz .LBB56_501
; %bb.500:
	scratch_load_b64 v[19:20], v22, off
	ds_load_b64 v[26:27], v21
	s_waitcnt vmcnt(0) lgkmcnt(0)
	v_mul_f64 v[19:20], v[19:20], v[26:27]
	s_cbranch_execz .LBB56_502
	s_branch .LBB56_503
.LBB56_501:
                                        ; implicit-def: $vgpr19_vgpr20
.LBB56_502:
	ds_load_b64 v[19:20], v21
.LBB56_503:
	s_and_saveexec_b32 s4, s0
	s_cbranch_execz .LBB56_507
; %bb.504:
	v_add_nc_u32_e32 v26, -6, v0
	s_movk_i32 s5, 0x200
	s_mov_b32 s0, 0
.LBB56_505:                             ; =>This Inner Loop Header: Depth=1
	scratch_load_b64 v[27:28], v25, off
	v_dual_mov_b32 v29, s5 :: v_dual_add_nc_u32 v26, -1, v26
	v_add_nc_u32_e32 v25, 8, v25
	s_add_i32 s5, s5, 8
	ds_load_b64 v[29:30], v29
	v_cmp_eq_u32_e32 vcc_lo, 0, v26
	s_or_b32 s0, vcc_lo, s0
	s_waitcnt vmcnt(0) lgkmcnt(0)
	v_fma_f64 v[19:20], v[27:28], v[29:30], v[19:20]
	s_and_not1_b32 exec_lo, exec_lo, s0
	s_cbranch_execnz .LBB56_505
; %bb.506:
	s_or_b32 exec_lo, exec_lo, s0
.LBB56_507:
	s_delay_alu instid0(SALU_CYCLE_1)
	s_or_b32 exec_lo, exec_lo, s4
	v_mov_b32_e32 v25, 0
	ds_load_b64 v[25:26], v25 offset:40
	s_waitcnt lgkmcnt(0)
	v_mul_f64 v[19:20], v[19:20], v[25:26]
	scratch_store_b64 off, v[19:20], off offset:40
.LBB56_508:
	s_or_b32 exec_lo, exec_lo, s2
	scratch_load_b64 v[19:20], off, off offset:32
	v_cmp_lt_u32_e64 s0, 4, v0
	s_waitcnt vmcnt(0)
	ds_store_b64 v21, v[19:20]
	s_waitcnt lgkmcnt(0)
	s_waitcnt_vscnt null, 0x0
	s_barrier
	buffer_gl0_inv
	s_and_saveexec_b32 s2, s0
	s_cbranch_execz .LBB56_518
; %bb.509:
	s_and_not1_b32 vcc_lo, exec_lo, s3
	s_cbranch_vccnz .LBB56_511
; %bb.510:
	scratch_load_b64 v[19:20], v22, off
	ds_load_b64 v[25:26], v21
	s_waitcnt vmcnt(0) lgkmcnt(0)
	v_mul_f64 v[19:20], v[19:20], v[25:26]
	s_cbranch_execz .LBB56_512
	s_branch .LBB56_513
.LBB56_511:
                                        ; implicit-def: $vgpr19_vgpr20
.LBB56_512:
	ds_load_b64 v[19:20], v21
.LBB56_513:
	s_and_saveexec_b32 s4, s1
	s_cbranch_execz .LBB56_517
; %bb.514:
	v_add_nc_u32_e64 v25, 0, 40
	v_add_nc_u32_e32 v26, -5, v0
	s_movk_i32 s5, 0x1f8
	s_mov_b32 s1, 0
.LBB56_515:                             ; =>This Inner Loop Header: Depth=1
	scratch_load_b64 v[27:28], v25, off
	v_dual_mov_b32 v29, s5 :: v_dual_add_nc_u32 v26, -1, v26
	v_add_nc_u32_e32 v25, 8, v25
	s_add_i32 s5, s5, 8
	ds_load_b64 v[29:30], v29
	v_cmp_eq_u32_e32 vcc_lo, 0, v26
	s_or_b32 s1, vcc_lo, s1
	s_waitcnt vmcnt(0) lgkmcnt(0)
	v_fma_f64 v[19:20], v[27:28], v[29:30], v[19:20]
	s_and_not1_b32 exec_lo, exec_lo, s1
	s_cbranch_execnz .LBB56_515
; %bb.516:
	s_or_b32 exec_lo, exec_lo, s1
.LBB56_517:
	s_delay_alu instid0(SALU_CYCLE_1)
	s_or_b32 exec_lo, exec_lo, s4
	v_mov_b32_e32 v25, 0
	ds_load_b64 v[25:26], v25 offset:32
	s_waitcnt lgkmcnt(0)
	v_mul_f64 v[19:20], v[19:20], v[25:26]
	scratch_store_b64 off, v[19:20], off offset:32
.LBB56_518:
	s_or_b32 exec_lo, exec_lo, s2
	scratch_load_b64 v[19:20], off, off offset:24
	v_cmp_lt_u32_e64 s1, 3, v0
	s_waitcnt vmcnt(0)
	ds_store_b64 v21, v[19:20]
	s_waitcnt lgkmcnt(0)
	s_waitcnt_vscnt null, 0x0
	s_barrier
	buffer_gl0_inv
	s_and_saveexec_b32 s2, s1
	s_cbranch_execz .LBB56_528
; %bb.519:
	s_and_not1_b32 vcc_lo, exec_lo, s3
	s_cbranch_vccnz .LBB56_521
; %bb.520:
	scratch_load_b64 v[19:20], v22, off
	ds_load_b64 v[25:26], v21
	s_waitcnt vmcnt(0) lgkmcnt(0)
	v_mul_f64 v[19:20], v[19:20], v[25:26]
	s_cbranch_execz .LBB56_522
	s_branch .LBB56_523
.LBB56_521:
                                        ; implicit-def: $vgpr19_vgpr20
.LBB56_522:
	ds_load_b64 v[19:20], v21
.LBB56_523:
	s_and_saveexec_b32 s4, s0
	s_cbranch_execz .LBB56_527
; %bb.524:
	v_add_nc_u32_e32 v25, -4, v0
	s_movk_i32 s5, 0x1f0
	s_mov_b32 s0, 0
.LBB56_525:                             ; =>This Inner Loop Header: Depth=1
	scratch_load_b64 v[26:27], v24, off
	v_dual_mov_b32 v28, s5 :: v_dual_add_nc_u32 v25, -1, v25
	v_add_nc_u32_e32 v24, 8, v24
	s_add_i32 s5, s5, 8
	ds_load_b64 v[28:29], v28
	v_cmp_eq_u32_e32 vcc_lo, 0, v25
	s_or_b32 s0, vcc_lo, s0
	s_waitcnt vmcnt(0) lgkmcnt(0)
	v_fma_f64 v[19:20], v[26:27], v[28:29], v[19:20]
	s_and_not1_b32 exec_lo, exec_lo, s0
	s_cbranch_execnz .LBB56_525
; %bb.526:
	s_or_b32 exec_lo, exec_lo, s0
.LBB56_527:
	s_delay_alu instid0(SALU_CYCLE_1)
	s_or_b32 exec_lo, exec_lo, s4
	v_mov_b32_e32 v24, 0
	ds_load_b64 v[24:25], v24 offset:24
	s_waitcnt lgkmcnt(0)
	v_mul_f64 v[19:20], v[19:20], v[24:25]
	scratch_store_b64 off, v[19:20], off offset:24
.LBB56_528:
	s_or_b32 exec_lo, exec_lo, s2
	scratch_load_b64 v[19:20], off, off offset:16
	v_cmp_lt_u32_e64 s0, 2, v0
	s_waitcnt vmcnt(0)
	ds_store_b64 v21, v[19:20]
	s_waitcnt lgkmcnt(0)
	s_waitcnt_vscnt null, 0x0
	s_barrier
	buffer_gl0_inv
	s_and_saveexec_b32 s2, s0
	s_cbranch_execz .LBB56_538
; %bb.529:
	s_and_not1_b32 vcc_lo, exec_lo, s3
	s_cbranch_vccnz .LBB56_531
; %bb.530:
	scratch_load_b64 v[19:20], v22, off
	ds_load_b64 v[24:25], v21
	s_waitcnt vmcnt(0) lgkmcnt(0)
	v_mul_f64 v[19:20], v[19:20], v[24:25]
	s_cbranch_execz .LBB56_532
	s_branch .LBB56_533
.LBB56_531:
                                        ; implicit-def: $vgpr19_vgpr20
.LBB56_532:
	ds_load_b64 v[19:20], v21
.LBB56_533:
	s_and_saveexec_b32 s4, s1
	s_cbranch_execz .LBB56_537
; %bb.534:
	v_add_nc_u32_e64 v24, 0, 24
	v_add_nc_u32_e32 v25, -3, v0
	s_movk_i32 s5, 0x1e8
	s_mov_b32 s1, 0
.LBB56_535:                             ; =>This Inner Loop Header: Depth=1
	scratch_load_b64 v[26:27], v24, off
	v_dual_mov_b32 v28, s5 :: v_dual_add_nc_u32 v25, -1, v25
	v_add_nc_u32_e32 v24, 8, v24
	s_add_i32 s5, s5, 8
	ds_load_b64 v[28:29], v28
	v_cmp_eq_u32_e32 vcc_lo, 0, v25
	s_or_b32 s1, vcc_lo, s1
	s_waitcnt vmcnt(0) lgkmcnt(0)
	v_fma_f64 v[19:20], v[26:27], v[28:29], v[19:20]
	s_and_not1_b32 exec_lo, exec_lo, s1
	s_cbranch_execnz .LBB56_535
; %bb.536:
	s_or_b32 exec_lo, exec_lo, s1
.LBB56_537:
	s_delay_alu instid0(SALU_CYCLE_1)
	s_or_b32 exec_lo, exec_lo, s4
	v_mov_b32_e32 v24, 0
	ds_load_b64 v[24:25], v24 offset:16
	s_waitcnt lgkmcnt(0)
	v_mul_f64 v[19:20], v[19:20], v[24:25]
	scratch_store_b64 off, v[19:20], off offset:16
.LBB56_538:
	s_or_b32 exec_lo, exec_lo, s2
	scratch_load_b64 v[19:20], off, off offset:8
	v_cmp_lt_u32_e64 s1, 1, v0
	s_waitcnt vmcnt(0)
	ds_store_b64 v21, v[19:20]
	s_waitcnt lgkmcnt(0)
	s_waitcnt_vscnt null, 0x0
	s_barrier
	buffer_gl0_inv
	s_and_saveexec_b32 s2, s1
	s_cbranch_execz .LBB56_548
; %bb.539:
	s_and_not1_b32 vcc_lo, exec_lo, s3
	s_cbranch_vccnz .LBB56_541
; %bb.540:
	scratch_load_b64 v[19:20], v22, off
	ds_load_b64 v[24:25], v21
	s_waitcnt vmcnt(0) lgkmcnt(0)
	v_mul_f64 v[19:20], v[19:20], v[24:25]
	s_cbranch_execz .LBB56_542
	s_branch .LBB56_543
.LBB56_541:
                                        ; implicit-def: $vgpr19_vgpr20
.LBB56_542:
	ds_load_b64 v[19:20], v21
.LBB56_543:
	s_and_saveexec_b32 s4, s0
	s_cbranch_execz .LBB56_547
; %bb.544:
	v_add_nc_u32_e32 v24, -2, v0
	s_movk_i32 s5, 0x1e0
	s_mov_b32 s0, 0
.LBB56_545:                             ; =>This Inner Loop Header: Depth=1
	scratch_load_b64 v[25:26], v23, off
	v_dual_mov_b32 v27, s5 :: v_dual_add_nc_u32 v24, -1, v24
	v_add_nc_u32_e32 v23, 8, v23
	s_add_i32 s5, s5, 8
	ds_load_b64 v[27:28], v27
	v_cmp_eq_u32_e32 vcc_lo, 0, v24
	s_or_b32 s0, vcc_lo, s0
	s_waitcnt vmcnt(0) lgkmcnt(0)
	v_fma_f64 v[19:20], v[25:26], v[27:28], v[19:20]
	s_and_not1_b32 exec_lo, exec_lo, s0
	s_cbranch_execnz .LBB56_545
; %bb.546:
	s_or_b32 exec_lo, exec_lo, s0
.LBB56_547:
	s_delay_alu instid0(SALU_CYCLE_1)
	s_or_b32 exec_lo, exec_lo, s4
	v_mov_b32_e32 v23, 0
	ds_load_b64 v[23:24], v23 offset:8
	s_waitcnt lgkmcnt(0)
	v_mul_f64 v[19:20], v[19:20], v[23:24]
	scratch_store_b64 off, v[19:20], off offset:8
.LBB56_548:
	s_or_b32 exec_lo, exec_lo, s2
	scratch_load_b64 v[19:20], off, off
	s_mov_b32 s0, 0
	s_mov_b32 s2, exec_lo
	s_waitcnt vmcnt(0)
	ds_store_b64 v21, v[19:20]
	s_waitcnt lgkmcnt(0)
	s_waitcnt_vscnt null, 0x0
	s_barrier
	buffer_gl0_inv
	v_cmpx_ne_u32_e32 0, v0
	s_cbranch_execz .LBB56_558
; %bb.549:
	s_and_not1_b32 vcc_lo, exec_lo, s3
	s_cbranch_vccnz .LBB56_551
; %bb.550:
	scratch_load_b64 v[19:20], v22, off
	ds_load_b64 v[23:24], v21
	s_waitcnt vmcnt(0) lgkmcnt(0)
	v_mul_f64 v[19:20], v[19:20], v[23:24]
	s_cbranch_execz .LBB56_552
	s_branch .LBB56_553
.LBB56_551:
                                        ; implicit-def: $vgpr19_vgpr20
.LBB56_552:
	ds_load_b64 v[19:20], v21
.LBB56_553:
	s_and_saveexec_b32 s4, s1
	s_cbranch_execz .LBB56_557
; %bb.554:
	v_or_b32_e64 v23, 0, 8
	v_add_nc_u32_e32 v24, -1, v0
	s_movk_i32 s5, 0x1d8
	s_mov_b32 s1, 0
.LBB56_555:                             ; =>This Inner Loop Header: Depth=1
	scratch_load_b64 v[25:26], v23, off
	v_dual_mov_b32 v27, s5 :: v_dual_add_nc_u32 v24, -1, v24
	v_add_nc_u32_e32 v23, 8, v23
	s_add_i32 s5, s5, 8
	ds_load_b64 v[27:28], v27
	v_cmp_eq_u32_e32 vcc_lo, 0, v24
	s_or_b32 s1, vcc_lo, s1
	s_waitcnt vmcnt(0) lgkmcnt(0)
	v_fma_f64 v[19:20], v[25:26], v[27:28], v[19:20]
	s_and_not1_b32 exec_lo, exec_lo, s1
	s_cbranch_execnz .LBB56_555
; %bb.556:
	s_or_b32 exec_lo, exec_lo, s1
.LBB56_557:
	s_delay_alu instid0(SALU_CYCLE_1)
	s_or_b32 exec_lo, exec_lo, s4
	v_mov_b32_e32 v23, 0
	ds_load_b64 v[23:24], v23
	s_waitcnt lgkmcnt(0)
	v_mul_f64 v[19:20], v[19:20], v[23:24]
	scratch_store_b64 off, v[19:20], off
.LBB56_558:
	s_or_b32 exec_lo, exec_lo, s2
.LBB56_559:
	s_delay_alu instid0(SALU_CYCLE_1)
	s_and_b32 vcc_lo, exec_lo, s0
	s_cbranch_vccz .LBB56_1115
; %bb.560:
	scratch_load_b64 v[19:20], off, off offset:8
	v_cmp_eq_u32_e64 s0, 0, v0
	s_waitcnt vmcnt(0)
	ds_store_b64 v21, v[19:20]
	s_waitcnt lgkmcnt(0)
	s_waitcnt_vscnt null, 0x0
	s_barrier
	buffer_gl0_inv
	s_and_saveexec_b32 s1, s0
	s_cbranch_execz .LBB56_566
; %bb.561:
	s_and_b32 vcc_lo, exec_lo, s3
	s_cbranch_vccz .LBB56_563
; %bb.562:
	scratch_load_b64 v[19:20], v22, off
	ds_load_b64 v[23:24], v21
	s_waitcnt vmcnt(0) lgkmcnt(0)
	v_mul_f64 v[19:20], v[19:20], v[23:24]
	s_cbranch_execz .LBB56_564
	s_branch .LBB56_565
.LBB56_563:
                                        ; implicit-def: $vgpr19_vgpr20
.LBB56_564:
	ds_load_b64 v[19:20], v21
.LBB56_565:
	v_mov_b32_e32 v23, 0
	ds_load_b64 v[23:24], v23 offset:8
	s_waitcnt lgkmcnt(0)
	v_mul_f64 v[19:20], v[19:20], v[23:24]
	scratch_store_b64 off, v[19:20], off offset:8
.LBB56_566:
	s_or_b32 exec_lo, exec_lo, s1
	scratch_load_b64 v[19:20], off, off offset:16
	v_cndmask_b32_e64 v23, 0, 1, s3
	s_mov_b32 s1, exec_lo
	s_waitcnt vmcnt(0)
	ds_store_b64 v21, v[19:20]
	s_waitcnt lgkmcnt(0)
	s_waitcnt_vscnt null, 0x0
	s_barrier
	buffer_gl0_inv
	v_cmpx_gt_u32_e32 2, v0
	s_cbranch_execz .LBB56_574
; %bb.567:
	s_and_not1_b32 vcc_lo, exec_lo, s3
	s_cbranch_vccnz .LBB56_569
; %bb.568:
	scratch_load_b64 v[19:20], v22, off
	ds_load_b64 v[24:25], v21
	s_waitcnt vmcnt(0) lgkmcnt(0)
	v_mul_f64 v[19:20], v[19:20], v[24:25]
	s_cbranch_execz .LBB56_570
	s_branch .LBB56_571
.LBB56_569:
                                        ; implicit-def: $vgpr19_vgpr20
.LBB56_570:
	ds_load_b64 v[19:20], v21
.LBB56_571:
	s_and_saveexec_b32 s2, s0
	s_cbranch_execz .LBB56_573
; %bb.572:
	scratch_load_b64 v[24:25], v22, off offset:8
	ds_load_b64 v[26:27], v21 offset:8
	s_waitcnt vmcnt(0) lgkmcnt(0)
	v_fma_f64 v[19:20], v[24:25], v[26:27], v[19:20]
.LBB56_573:
	s_or_b32 exec_lo, exec_lo, s2
	v_mov_b32_e32 v24, 0
	ds_load_b64 v[24:25], v24 offset:16
	s_waitcnt lgkmcnt(0)
	v_mul_f64 v[19:20], v[19:20], v[24:25]
	scratch_store_b64 off, v[19:20], off offset:16
.LBB56_574:
	s_or_b32 exec_lo, exec_lo, s1
	scratch_load_b64 v[19:20], off, off offset:24
	s_mov_b32 s1, exec_lo
	s_waitcnt vmcnt(0)
	ds_store_b64 v21, v[19:20]
	s_waitcnt lgkmcnt(0)
	s_waitcnt_vscnt null, 0x0
	s_barrier
	buffer_gl0_inv
	v_cmpx_gt_u32_e32 3, v0
	s_cbranch_execz .LBB56_584
; %bb.575:
	v_cmp_ne_u32_e32 vcc_lo, 1, v23
	s_cbranch_vccnz .LBB56_577
; %bb.576:
	scratch_load_b64 v[19:20], v22, off
	ds_load_b64 v[24:25], v21
	s_waitcnt vmcnt(0) lgkmcnt(0)
	v_mul_f64 v[19:20], v[19:20], v[24:25]
	s_cbranch_execz .LBB56_578
	s_branch .LBB56_579
.LBB56_577:
                                        ; implicit-def: $vgpr19_vgpr20
.LBB56_578:
	ds_load_b64 v[19:20], v21
.LBB56_579:
	s_mov_b32 s2, exec_lo
	v_cmpx_ne_u32_e32 2, v0
	s_cbranch_execz .LBB56_583
; %bb.580:
	scratch_load_b64 v[24:25], v22, off offset:8
	ds_load_b64 v[26:27], v21 offset:8
	s_waitcnt vmcnt(0) lgkmcnt(0)
	v_fma_f64 v[19:20], v[24:25], v[26:27], v[19:20]
	s_and_saveexec_b32 s3, s0
	s_cbranch_execz .LBB56_582
; %bb.581:
	scratch_load_b64 v[24:25], off, off offset:16
	v_mov_b32_e32 v26, 0
	ds_load_b64 v[26:27], v26 offset:480
	s_waitcnt vmcnt(0) lgkmcnt(0)
	v_fma_f64 v[19:20], v[24:25], v[26:27], v[19:20]
.LBB56_582:
	s_or_b32 exec_lo, exec_lo, s3
.LBB56_583:
	s_delay_alu instid0(SALU_CYCLE_1)
	s_or_b32 exec_lo, exec_lo, s2
	v_mov_b32_e32 v24, 0
	ds_load_b64 v[24:25], v24 offset:24
	s_waitcnt lgkmcnt(0)
	v_mul_f64 v[19:20], v[19:20], v[24:25]
	scratch_store_b64 off, v[19:20], off offset:24
.LBB56_584:
	s_or_b32 exec_lo, exec_lo, s1
	scratch_load_b64 v[19:20], off, off offset:32
	s_mov_b32 s0, exec_lo
	s_waitcnt vmcnt(0)
	ds_store_b64 v21, v[19:20]
	s_waitcnt lgkmcnt(0)
	s_waitcnt_vscnt null, 0x0
	s_barrier
	buffer_gl0_inv
	v_cmpx_gt_u32_e32 4, v0
	s_cbranch_execz .LBB56_594
; %bb.585:
	v_cmp_ne_u32_e32 vcc_lo, 1, v23
	s_cbranch_vccnz .LBB56_587
; %bb.586:
	scratch_load_b64 v[19:20], v22, off
	ds_load_b64 v[24:25], v21
	s_waitcnt vmcnt(0) lgkmcnt(0)
	v_mul_f64 v[19:20], v[19:20], v[24:25]
	s_cbranch_execz .LBB56_588
	s_branch .LBB56_589
.LBB56_587:
                                        ; implicit-def: $vgpr19_vgpr20
.LBB56_588:
	ds_load_b64 v[19:20], v21
.LBB56_589:
	s_mov_b32 s1, exec_lo
	v_cmpx_ne_u32_e32 3, v0
	s_cbranch_execz .LBB56_593
; %bb.590:
	v_add_nc_u32_e32 v24, 0x1d8, v149
	v_add3_u32 v25, 0, v149, 8
	v_mov_b32_e32 v26, v0
	s_mov_b32 s2, 0
.LBB56_591:                             ; =>This Inner Loop Header: Depth=1
	scratch_load_b64 v[27:28], v25, off
	ds_load_b64 v[29:30], v24
	v_add_nc_u32_e32 v26, 1, v26
	v_add_nc_u32_e32 v24, 8, v24
	v_add_nc_u32_e32 v25, 8, v25
	s_delay_alu instid0(VALU_DEP_3)
	v_cmp_lt_u32_e32 vcc_lo, 2, v26
	s_or_b32 s2, vcc_lo, s2
	s_waitcnt vmcnt(0) lgkmcnt(0)
	v_fma_f64 v[19:20], v[27:28], v[29:30], v[19:20]
	s_and_not1_b32 exec_lo, exec_lo, s2
	s_cbranch_execnz .LBB56_591
; %bb.592:
	s_or_b32 exec_lo, exec_lo, s2
.LBB56_593:
	s_delay_alu instid0(SALU_CYCLE_1)
	s_or_b32 exec_lo, exec_lo, s1
	v_mov_b32_e32 v24, 0
	ds_load_b64 v[24:25], v24 offset:32
	s_waitcnt lgkmcnt(0)
	v_mul_f64 v[19:20], v[19:20], v[24:25]
	scratch_store_b64 off, v[19:20], off offset:32
.LBB56_594:
	s_or_b32 exec_lo, exec_lo, s0
	scratch_load_b64 v[19:20], off, off offset:40
	s_mov_b32 s0, exec_lo
	s_waitcnt vmcnt(0)
	ds_store_b64 v21, v[19:20]
	s_waitcnt lgkmcnt(0)
	s_waitcnt_vscnt null, 0x0
	s_barrier
	buffer_gl0_inv
	v_cmpx_gt_u32_e32 5, v0
	s_cbranch_execz .LBB56_604
; %bb.595:
	v_cmp_ne_u32_e32 vcc_lo, 1, v23
	s_cbranch_vccnz .LBB56_597
; %bb.596:
	scratch_load_b64 v[19:20], v22, off
	ds_load_b64 v[24:25], v21
	s_waitcnt vmcnt(0) lgkmcnt(0)
	v_mul_f64 v[19:20], v[19:20], v[24:25]
	s_cbranch_execz .LBB56_598
	s_branch .LBB56_599
.LBB56_597:
                                        ; implicit-def: $vgpr19_vgpr20
.LBB56_598:
	ds_load_b64 v[19:20], v21
.LBB56_599:
	s_mov_b32 s1, exec_lo
	v_cmpx_ne_u32_e32 4, v0
	s_cbranch_execz .LBB56_603
; %bb.600:
	v_add_nc_u32_e32 v24, 0x1d8, v149
	v_add3_u32 v25, 0, v149, 8
	v_mov_b32_e32 v26, v0
	s_mov_b32 s2, 0
.LBB56_601:                             ; =>This Inner Loop Header: Depth=1
	scratch_load_b64 v[27:28], v25, off
	ds_load_b64 v[29:30], v24
	v_add_nc_u32_e32 v26, 1, v26
	v_add_nc_u32_e32 v24, 8, v24
	v_add_nc_u32_e32 v25, 8, v25
	s_delay_alu instid0(VALU_DEP_3)
	v_cmp_lt_u32_e32 vcc_lo, 3, v26
	s_or_b32 s2, vcc_lo, s2
	s_waitcnt vmcnt(0) lgkmcnt(0)
	v_fma_f64 v[19:20], v[27:28], v[29:30], v[19:20]
	s_and_not1_b32 exec_lo, exec_lo, s2
	s_cbranch_execnz .LBB56_601
; %bb.602:
	s_or_b32 exec_lo, exec_lo, s2
.LBB56_603:
	s_delay_alu instid0(SALU_CYCLE_1)
	s_or_b32 exec_lo, exec_lo, s1
	v_mov_b32_e32 v24, 0
	ds_load_b64 v[24:25], v24 offset:40
	s_waitcnt lgkmcnt(0)
	v_mul_f64 v[19:20], v[19:20], v[24:25]
	scratch_store_b64 off, v[19:20], off offset:40
.LBB56_604:
	s_or_b32 exec_lo, exec_lo, s0
	scratch_load_b64 v[19:20], off, off offset:48
	s_mov_b32 s0, exec_lo
	s_waitcnt vmcnt(0)
	ds_store_b64 v21, v[19:20]
	s_waitcnt lgkmcnt(0)
	s_waitcnt_vscnt null, 0x0
	s_barrier
	buffer_gl0_inv
	v_cmpx_gt_u32_e32 6, v0
	s_cbranch_execz .LBB56_614
; %bb.605:
	v_cmp_ne_u32_e32 vcc_lo, 1, v23
	s_cbranch_vccnz .LBB56_607
; %bb.606:
	scratch_load_b64 v[19:20], v22, off
	ds_load_b64 v[24:25], v21
	s_waitcnt vmcnt(0) lgkmcnt(0)
	v_mul_f64 v[19:20], v[19:20], v[24:25]
	s_cbranch_execz .LBB56_608
	s_branch .LBB56_609
.LBB56_607:
                                        ; implicit-def: $vgpr19_vgpr20
.LBB56_608:
	ds_load_b64 v[19:20], v21
.LBB56_609:
	s_mov_b32 s1, exec_lo
	v_cmpx_ne_u32_e32 5, v0
	s_cbranch_execz .LBB56_613
; %bb.610:
	v_add_nc_u32_e32 v24, 0x1d8, v149
	v_add3_u32 v25, 0, v149, 8
	v_mov_b32_e32 v26, v0
	s_mov_b32 s2, 0
.LBB56_611:                             ; =>This Inner Loop Header: Depth=1
	scratch_load_b64 v[27:28], v25, off
	ds_load_b64 v[29:30], v24
	v_add_nc_u32_e32 v26, 1, v26
	v_add_nc_u32_e32 v24, 8, v24
	v_add_nc_u32_e32 v25, 8, v25
	s_delay_alu instid0(VALU_DEP_3)
	v_cmp_lt_u32_e32 vcc_lo, 4, v26
	s_or_b32 s2, vcc_lo, s2
	s_waitcnt vmcnt(0) lgkmcnt(0)
	v_fma_f64 v[19:20], v[27:28], v[29:30], v[19:20]
	s_and_not1_b32 exec_lo, exec_lo, s2
	s_cbranch_execnz .LBB56_611
; %bb.612:
	s_or_b32 exec_lo, exec_lo, s2
.LBB56_613:
	s_delay_alu instid0(SALU_CYCLE_1)
	s_or_b32 exec_lo, exec_lo, s1
	v_mov_b32_e32 v24, 0
	ds_load_b64 v[24:25], v24 offset:48
	s_waitcnt lgkmcnt(0)
	v_mul_f64 v[19:20], v[19:20], v[24:25]
	scratch_store_b64 off, v[19:20], off offset:48
.LBB56_614:
	s_or_b32 exec_lo, exec_lo, s0
	scratch_load_b64 v[19:20], off, off offset:56
	s_mov_b32 s0, exec_lo
	s_waitcnt vmcnt(0)
	ds_store_b64 v21, v[19:20]
	s_waitcnt lgkmcnt(0)
	s_waitcnt_vscnt null, 0x0
	s_barrier
	buffer_gl0_inv
	v_cmpx_gt_u32_e32 7, v0
	s_cbranch_execz .LBB56_624
; %bb.615:
	v_cmp_ne_u32_e32 vcc_lo, 1, v23
	s_cbranch_vccnz .LBB56_617
; %bb.616:
	scratch_load_b64 v[19:20], v22, off
	ds_load_b64 v[24:25], v21
	s_waitcnt vmcnt(0) lgkmcnt(0)
	v_mul_f64 v[19:20], v[19:20], v[24:25]
	s_cbranch_execz .LBB56_618
	s_branch .LBB56_619
.LBB56_617:
                                        ; implicit-def: $vgpr19_vgpr20
.LBB56_618:
	ds_load_b64 v[19:20], v21
.LBB56_619:
	s_mov_b32 s1, exec_lo
	v_cmpx_ne_u32_e32 6, v0
	s_cbranch_execz .LBB56_623
; %bb.620:
	v_add_nc_u32_e32 v24, 0x1d8, v149
	v_add3_u32 v25, 0, v149, 8
	v_mov_b32_e32 v26, v0
	s_mov_b32 s2, 0
.LBB56_621:                             ; =>This Inner Loop Header: Depth=1
	scratch_load_b64 v[27:28], v25, off
	ds_load_b64 v[29:30], v24
	v_add_nc_u32_e32 v26, 1, v26
	v_add_nc_u32_e32 v24, 8, v24
	v_add_nc_u32_e32 v25, 8, v25
	s_delay_alu instid0(VALU_DEP_3)
	v_cmp_lt_u32_e32 vcc_lo, 5, v26
	s_or_b32 s2, vcc_lo, s2
	s_waitcnt vmcnt(0) lgkmcnt(0)
	v_fma_f64 v[19:20], v[27:28], v[29:30], v[19:20]
	s_and_not1_b32 exec_lo, exec_lo, s2
	s_cbranch_execnz .LBB56_621
; %bb.622:
	s_or_b32 exec_lo, exec_lo, s2
.LBB56_623:
	s_delay_alu instid0(SALU_CYCLE_1)
	s_or_b32 exec_lo, exec_lo, s1
	v_mov_b32_e32 v24, 0
	ds_load_b64 v[24:25], v24 offset:56
	s_waitcnt lgkmcnt(0)
	v_mul_f64 v[19:20], v[19:20], v[24:25]
	scratch_store_b64 off, v[19:20], off offset:56
.LBB56_624:
	s_or_b32 exec_lo, exec_lo, s0
	scratch_load_b64 v[19:20], off, off offset:64
	s_mov_b32 s0, exec_lo
	s_waitcnt vmcnt(0)
	ds_store_b64 v21, v[19:20]
	s_waitcnt lgkmcnt(0)
	s_waitcnt_vscnt null, 0x0
	s_barrier
	buffer_gl0_inv
	v_cmpx_gt_u32_e32 8, v0
	s_cbranch_execz .LBB56_634
; %bb.625:
	v_cmp_ne_u32_e32 vcc_lo, 1, v23
	s_cbranch_vccnz .LBB56_627
; %bb.626:
	scratch_load_b64 v[19:20], v22, off
	ds_load_b64 v[24:25], v21
	s_waitcnt vmcnt(0) lgkmcnt(0)
	v_mul_f64 v[19:20], v[19:20], v[24:25]
	s_cbranch_execz .LBB56_628
	s_branch .LBB56_629
.LBB56_627:
                                        ; implicit-def: $vgpr19_vgpr20
.LBB56_628:
	ds_load_b64 v[19:20], v21
.LBB56_629:
	s_mov_b32 s1, exec_lo
	v_cmpx_ne_u32_e32 7, v0
	s_cbranch_execz .LBB56_633
; %bb.630:
	v_add_nc_u32_e32 v24, 0x1d8, v149
	v_add3_u32 v25, 0, v149, 8
	v_mov_b32_e32 v26, v0
	s_mov_b32 s2, 0
.LBB56_631:                             ; =>This Inner Loop Header: Depth=1
	scratch_load_b64 v[27:28], v25, off
	ds_load_b64 v[29:30], v24
	v_add_nc_u32_e32 v26, 1, v26
	v_add_nc_u32_e32 v24, 8, v24
	v_add_nc_u32_e32 v25, 8, v25
	s_delay_alu instid0(VALU_DEP_3)
	v_cmp_lt_u32_e32 vcc_lo, 6, v26
	s_or_b32 s2, vcc_lo, s2
	s_waitcnt vmcnt(0) lgkmcnt(0)
	v_fma_f64 v[19:20], v[27:28], v[29:30], v[19:20]
	s_and_not1_b32 exec_lo, exec_lo, s2
	s_cbranch_execnz .LBB56_631
; %bb.632:
	s_or_b32 exec_lo, exec_lo, s2
.LBB56_633:
	s_delay_alu instid0(SALU_CYCLE_1)
	s_or_b32 exec_lo, exec_lo, s1
	v_mov_b32_e32 v24, 0
	ds_load_b64 v[24:25], v24 offset:64
	s_waitcnt lgkmcnt(0)
	v_mul_f64 v[19:20], v[19:20], v[24:25]
	scratch_store_b64 off, v[19:20], off offset:64
.LBB56_634:
	s_or_b32 exec_lo, exec_lo, s0
	scratch_load_b64 v[19:20], off, off offset:72
	s_mov_b32 s0, exec_lo
	s_waitcnt vmcnt(0)
	ds_store_b64 v21, v[19:20]
	s_waitcnt lgkmcnt(0)
	s_waitcnt_vscnt null, 0x0
	s_barrier
	buffer_gl0_inv
	v_cmpx_gt_u32_e32 9, v0
	s_cbranch_execz .LBB56_644
; %bb.635:
	v_cmp_ne_u32_e32 vcc_lo, 1, v23
	s_cbranch_vccnz .LBB56_637
; %bb.636:
	scratch_load_b64 v[19:20], v22, off
	ds_load_b64 v[24:25], v21
	s_waitcnt vmcnt(0) lgkmcnt(0)
	v_mul_f64 v[19:20], v[19:20], v[24:25]
	s_cbranch_execz .LBB56_638
	s_branch .LBB56_639
.LBB56_637:
                                        ; implicit-def: $vgpr19_vgpr20
.LBB56_638:
	ds_load_b64 v[19:20], v21
.LBB56_639:
	s_mov_b32 s1, exec_lo
	v_cmpx_ne_u32_e32 8, v0
	s_cbranch_execz .LBB56_643
; %bb.640:
	v_add_nc_u32_e32 v24, 0x1d8, v149
	v_add3_u32 v25, 0, v149, 8
	v_mov_b32_e32 v26, v0
	s_mov_b32 s2, 0
.LBB56_641:                             ; =>This Inner Loop Header: Depth=1
	scratch_load_b64 v[27:28], v25, off
	ds_load_b64 v[29:30], v24
	v_add_nc_u32_e32 v26, 1, v26
	v_add_nc_u32_e32 v24, 8, v24
	v_add_nc_u32_e32 v25, 8, v25
	s_delay_alu instid0(VALU_DEP_3)
	v_cmp_lt_u32_e32 vcc_lo, 7, v26
	s_or_b32 s2, vcc_lo, s2
	s_waitcnt vmcnt(0) lgkmcnt(0)
	v_fma_f64 v[19:20], v[27:28], v[29:30], v[19:20]
	s_and_not1_b32 exec_lo, exec_lo, s2
	s_cbranch_execnz .LBB56_641
; %bb.642:
	s_or_b32 exec_lo, exec_lo, s2
.LBB56_643:
	s_delay_alu instid0(SALU_CYCLE_1)
	s_or_b32 exec_lo, exec_lo, s1
	v_mov_b32_e32 v24, 0
	ds_load_b64 v[24:25], v24 offset:72
	s_waitcnt lgkmcnt(0)
	v_mul_f64 v[19:20], v[19:20], v[24:25]
	scratch_store_b64 off, v[19:20], off offset:72
.LBB56_644:
	s_or_b32 exec_lo, exec_lo, s0
	scratch_load_b64 v[19:20], off, off offset:80
	s_mov_b32 s0, exec_lo
	s_waitcnt vmcnt(0)
	ds_store_b64 v21, v[19:20]
	s_waitcnt lgkmcnt(0)
	s_waitcnt_vscnt null, 0x0
	s_barrier
	buffer_gl0_inv
	v_cmpx_gt_u32_e32 10, v0
	s_cbranch_execz .LBB56_654
; %bb.645:
	v_cmp_ne_u32_e32 vcc_lo, 1, v23
	s_cbranch_vccnz .LBB56_647
; %bb.646:
	scratch_load_b64 v[19:20], v22, off
	ds_load_b64 v[24:25], v21
	s_waitcnt vmcnt(0) lgkmcnt(0)
	v_mul_f64 v[19:20], v[19:20], v[24:25]
	s_cbranch_execz .LBB56_648
	s_branch .LBB56_649
.LBB56_647:
                                        ; implicit-def: $vgpr19_vgpr20
.LBB56_648:
	ds_load_b64 v[19:20], v21
.LBB56_649:
	s_mov_b32 s1, exec_lo
	v_cmpx_ne_u32_e32 9, v0
	s_cbranch_execz .LBB56_653
; %bb.650:
	v_add_nc_u32_e32 v24, 0x1d8, v149
	v_add3_u32 v25, 0, v149, 8
	v_mov_b32_e32 v26, v0
	s_mov_b32 s2, 0
.LBB56_651:                             ; =>This Inner Loop Header: Depth=1
	scratch_load_b64 v[27:28], v25, off
	ds_load_b64 v[29:30], v24
	v_add_nc_u32_e32 v26, 1, v26
	v_add_nc_u32_e32 v24, 8, v24
	v_add_nc_u32_e32 v25, 8, v25
	s_delay_alu instid0(VALU_DEP_3)
	v_cmp_lt_u32_e32 vcc_lo, 8, v26
	s_or_b32 s2, vcc_lo, s2
	s_waitcnt vmcnt(0) lgkmcnt(0)
	v_fma_f64 v[19:20], v[27:28], v[29:30], v[19:20]
	s_and_not1_b32 exec_lo, exec_lo, s2
	s_cbranch_execnz .LBB56_651
; %bb.652:
	s_or_b32 exec_lo, exec_lo, s2
.LBB56_653:
	s_delay_alu instid0(SALU_CYCLE_1)
	s_or_b32 exec_lo, exec_lo, s1
	v_mov_b32_e32 v24, 0
	ds_load_b64 v[24:25], v24 offset:80
	s_waitcnt lgkmcnt(0)
	v_mul_f64 v[19:20], v[19:20], v[24:25]
	scratch_store_b64 off, v[19:20], off offset:80
.LBB56_654:
	s_or_b32 exec_lo, exec_lo, s0
	scratch_load_b64 v[19:20], off, off offset:88
	s_mov_b32 s0, exec_lo
	s_waitcnt vmcnt(0)
	ds_store_b64 v21, v[19:20]
	s_waitcnt lgkmcnt(0)
	s_waitcnt_vscnt null, 0x0
	s_barrier
	buffer_gl0_inv
	v_cmpx_gt_u32_e32 11, v0
	s_cbranch_execz .LBB56_664
; %bb.655:
	v_cmp_ne_u32_e32 vcc_lo, 1, v23
	s_cbranch_vccnz .LBB56_657
; %bb.656:
	scratch_load_b64 v[19:20], v22, off
	ds_load_b64 v[24:25], v21
	s_waitcnt vmcnt(0) lgkmcnt(0)
	v_mul_f64 v[19:20], v[19:20], v[24:25]
	s_cbranch_execz .LBB56_658
	s_branch .LBB56_659
.LBB56_657:
                                        ; implicit-def: $vgpr19_vgpr20
.LBB56_658:
	ds_load_b64 v[19:20], v21
.LBB56_659:
	s_mov_b32 s1, exec_lo
	v_cmpx_ne_u32_e32 10, v0
	s_cbranch_execz .LBB56_663
; %bb.660:
	v_add_nc_u32_e32 v24, 0x1d8, v149
	v_add3_u32 v25, 0, v149, 8
	v_mov_b32_e32 v26, v0
	s_mov_b32 s2, 0
.LBB56_661:                             ; =>This Inner Loop Header: Depth=1
	scratch_load_b64 v[27:28], v25, off
	ds_load_b64 v[29:30], v24
	v_add_nc_u32_e32 v26, 1, v26
	v_add_nc_u32_e32 v24, 8, v24
	v_add_nc_u32_e32 v25, 8, v25
	s_delay_alu instid0(VALU_DEP_3)
	v_cmp_lt_u32_e32 vcc_lo, 9, v26
	s_or_b32 s2, vcc_lo, s2
	s_waitcnt vmcnt(0) lgkmcnt(0)
	v_fma_f64 v[19:20], v[27:28], v[29:30], v[19:20]
	s_and_not1_b32 exec_lo, exec_lo, s2
	s_cbranch_execnz .LBB56_661
; %bb.662:
	s_or_b32 exec_lo, exec_lo, s2
.LBB56_663:
	s_delay_alu instid0(SALU_CYCLE_1)
	s_or_b32 exec_lo, exec_lo, s1
	v_mov_b32_e32 v24, 0
	ds_load_b64 v[24:25], v24 offset:88
	s_waitcnt lgkmcnt(0)
	v_mul_f64 v[19:20], v[19:20], v[24:25]
	scratch_store_b64 off, v[19:20], off offset:88
.LBB56_664:
	s_or_b32 exec_lo, exec_lo, s0
	scratch_load_b64 v[19:20], off, off offset:96
	s_mov_b32 s0, exec_lo
	s_waitcnt vmcnt(0)
	ds_store_b64 v21, v[19:20]
	s_waitcnt lgkmcnt(0)
	s_waitcnt_vscnt null, 0x0
	s_barrier
	buffer_gl0_inv
	v_cmpx_gt_u32_e32 12, v0
	s_cbranch_execz .LBB56_674
; %bb.665:
	v_cmp_ne_u32_e32 vcc_lo, 1, v23
	s_cbranch_vccnz .LBB56_667
; %bb.666:
	scratch_load_b64 v[19:20], v22, off
	ds_load_b64 v[24:25], v21
	s_waitcnt vmcnt(0) lgkmcnt(0)
	v_mul_f64 v[19:20], v[19:20], v[24:25]
	s_cbranch_execz .LBB56_668
	s_branch .LBB56_669
.LBB56_667:
                                        ; implicit-def: $vgpr19_vgpr20
.LBB56_668:
	ds_load_b64 v[19:20], v21
.LBB56_669:
	s_mov_b32 s1, exec_lo
	v_cmpx_ne_u32_e32 11, v0
	s_cbranch_execz .LBB56_673
; %bb.670:
	v_add_nc_u32_e32 v24, 0x1d8, v149
	v_add3_u32 v25, 0, v149, 8
	v_mov_b32_e32 v26, v0
	s_mov_b32 s2, 0
.LBB56_671:                             ; =>This Inner Loop Header: Depth=1
	scratch_load_b64 v[27:28], v25, off
	ds_load_b64 v[29:30], v24
	v_add_nc_u32_e32 v26, 1, v26
	v_add_nc_u32_e32 v24, 8, v24
	v_add_nc_u32_e32 v25, 8, v25
	s_delay_alu instid0(VALU_DEP_3)
	v_cmp_lt_u32_e32 vcc_lo, 10, v26
	s_or_b32 s2, vcc_lo, s2
	s_waitcnt vmcnt(0) lgkmcnt(0)
	v_fma_f64 v[19:20], v[27:28], v[29:30], v[19:20]
	s_and_not1_b32 exec_lo, exec_lo, s2
	s_cbranch_execnz .LBB56_671
; %bb.672:
	s_or_b32 exec_lo, exec_lo, s2
.LBB56_673:
	s_delay_alu instid0(SALU_CYCLE_1)
	s_or_b32 exec_lo, exec_lo, s1
	v_mov_b32_e32 v24, 0
	ds_load_b64 v[24:25], v24 offset:96
	s_waitcnt lgkmcnt(0)
	v_mul_f64 v[19:20], v[19:20], v[24:25]
	scratch_store_b64 off, v[19:20], off offset:96
.LBB56_674:
	s_or_b32 exec_lo, exec_lo, s0
	scratch_load_b64 v[19:20], off, off offset:104
	s_mov_b32 s0, exec_lo
	s_waitcnt vmcnt(0)
	ds_store_b64 v21, v[19:20]
	s_waitcnt lgkmcnt(0)
	s_waitcnt_vscnt null, 0x0
	s_barrier
	buffer_gl0_inv
	v_cmpx_gt_u32_e32 13, v0
	s_cbranch_execz .LBB56_684
; %bb.675:
	v_cmp_ne_u32_e32 vcc_lo, 1, v23
	s_cbranch_vccnz .LBB56_677
; %bb.676:
	scratch_load_b64 v[19:20], v22, off
	ds_load_b64 v[24:25], v21
	s_waitcnt vmcnt(0) lgkmcnt(0)
	v_mul_f64 v[19:20], v[19:20], v[24:25]
	s_cbranch_execz .LBB56_678
	s_branch .LBB56_679
.LBB56_677:
                                        ; implicit-def: $vgpr19_vgpr20
.LBB56_678:
	ds_load_b64 v[19:20], v21
.LBB56_679:
	s_mov_b32 s1, exec_lo
	v_cmpx_ne_u32_e32 12, v0
	s_cbranch_execz .LBB56_683
; %bb.680:
	v_add_nc_u32_e32 v24, 0x1d8, v149
	v_add3_u32 v25, 0, v149, 8
	v_mov_b32_e32 v26, v0
	s_mov_b32 s2, 0
.LBB56_681:                             ; =>This Inner Loop Header: Depth=1
	scratch_load_b64 v[27:28], v25, off
	ds_load_b64 v[29:30], v24
	v_add_nc_u32_e32 v26, 1, v26
	v_add_nc_u32_e32 v24, 8, v24
	v_add_nc_u32_e32 v25, 8, v25
	s_delay_alu instid0(VALU_DEP_3)
	v_cmp_lt_u32_e32 vcc_lo, 11, v26
	s_or_b32 s2, vcc_lo, s2
	s_waitcnt vmcnt(0) lgkmcnt(0)
	v_fma_f64 v[19:20], v[27:28], v[29:30], v[19:20]
	s_and_not1_b32 exec_lo, exec_lo, s2
	s_cbranch_execnz .LBB56_681
; %bb.682:
	s_or_b32 exec_lo, exec_lo, s2
.LBB56_683:
	s_delay_alu instid0(SALU_CYCLE_1)
	s_or_b32 exec_lo, exec_lo, s1
	v_mov_b32_e32 v24, 0
	ds_load_b64 v[24:25], v24 offset:104
	s_waitcnt lgkmcnt(0)
	v_mul_f64 v[19:20], v[19:20], v[24:25]
	scratch_store_b64 off, v[19:20], off offset:104
.LBB56_684:
	s_or_b32 exec_lo, exec_lo, s0
	scratch_load_b64 v[19:20], off, off offset:112
	s_mov_b32 s0, exec_lo
	s_waitcnt vmcnt(0)
	ds_store_b64 v21, v[19:20]
	s_waitcnt lgkmcnt(0)
	s_waitcnt_vscnt null, 0x0
	s_barrier
	buffer_gl0_inv
	v_cmpx_gt_u32_e32 14, v0
	s_cbranch_execz .LBB56_694
; %bb.685:
	v_cmp_ne_u32_e32 vcc_lo, 1, v23
	s_cbranch_vccnz .LBB56_687
; %bb.686:
	scratch_load_b64 v[19:20], v22, off
	ds_load_b64 v[24:25], v21
	s_waitcnt vmcnt(0) lgkmcnt(0)
	v_mul_f64 v[19:20], v[19:20], v[24:25]
	s_cbranch_execz .LBB56_688
	s_branch .LBB56_689
.LBB56_687:
                                        ; implicit-def: $vgpr19_vgpr20
.LBB56_688:
	ds_load_b64 v[19:20], v21
.LBB56_689:
	s_mov_b32 s1, exec_lo
	v_cmpx_ne_u32_e32 13, v0
	s_cbranch_execz .LBB56_693
; %bb.690:
	v_add_nc_u32_e32 v24, 0x1d8, v149
	v_add3_u32 v25, 0, v149, 8
	v_mov_b32_e32 v26, v0
	s_mov_b32 s2, 0
.LBB56_691:                             ; =>This Inner Loop Header: Depth=1
	scratch_load_b64 v[27:28], v25, off
	ds_load_b64 v[29:30], v24
	v_add_nc_u32_e32 v26, 1, v26
	v_add_nc_u32_e32 v24, 8, v24
	v_add_nc_u32_e32 v25, 8, v25
	s_delay_alu instid0(VALU_DEP_3)
	v_cmp_lt_u32_e32 vcc_lo, 12, v26
	s_or_b32 s2, vcc_lo, s2
	s_waitcnt vmcnt(0) lgkmcnt(0)
	v_fma_f64 v[19:20], v[27:28], v[29:30], v[19:20]
	s_and_not1_b32 exec_lo, exec_lo, s2
	s_cbranch_execnz .LBB56_691
; %bb.692:
	s_or_b32 exec_lo, exec_lo, s2
.LBB56_693:
	s_delay_alu instid0(SALU_CYCLE_1)
	s_or_b32 exec_lo, exec_lo, s1
	v_mov_b32_e32 v24, 0
	ds_load_b64 v[24:25], v24 offset:112
	s_waitcnt lgkmcnt(0)
	v_mul_f64 v[19:20], v[19:20], v[24:25]
	scratch_store_b64 off, v[19:20], off offset:112
.LBB56_694:
	s_or_b32 exec_lo, exec_lo, s0
	scratch_load_b64 v[19:20], off, off offset:120
	s_mov_b32 s0, exec_lo
	s_waitcnt vmcnt(0)
	ds_store_b64 v21, v[19:20]
	s_waitcnt lgkmcnt(0)
	s_waitcnt_vscnt null, 0x0
	s_barrier
	buffer_gl0_inv
	v_cmpx_gt_u32_e32 15, v0
	s_cbranch_execz .LBB56_704
; %bb.695:
	v_cmp_ne_u32_e32 vcc_lo, 1, v23
	s_cbranch_vccnz .LBB56_697
; %bb.696:
	scratch_load_b64 v[19:20], v22, off
	ds_load_b64 v[24:25], v21
	s_waitcnt vmcnt(0) lgkmcnt(0)
	v_mul_f64 v[19:20], v[19:20], v[24:25]
	s_cbranch_execz .LBB56_698
	s_branch .LBB56_699
.LBB56_697:
                                        ; implicit-def: $vgpr19_vgpr20
.LBB56_698:
	ds_load_b64 v[19:20], v21
.LBB56_699:
	s_mov_b32 s1, exec_lo
	v_cmpx_ne_u32_e32 14, v0
	s_cbranch_execz .LBB56_703
; %bb.700:
	v_add_nc_u32_e32 v24, 0x1d8, v149
	v_add3_u32 v25, 0, v149, 8
	v_mov_b32_e32 v26, v0
	s_mov_b32 s2, 0
.LBB56_701:                             ; =>This Inner Loop Header: Depth=1
	scratch_load_b64 v[27:28], v25, off
	ds_load_b64 v[29:30], v24
	v_add_nc_u32_e32 v26, 1, v26
	v_add_nc_u32_e32 v24, 8, v24
	v_add_nc_u32_e32 v25, 8, v25
	s_delay_alu instid0(VALU_DEP_3)
	v_cmp_lt_u32_e32 vcc_lo, 13, v26
	s_or_b32 s2, vcc_lo, s2
	s_waitcnt vmcnt(0) lgkmcnt(0)
	v_fma_f64 v[19:20], v[27:28], v[29:30], v[19:20]
	s_and_not1_b32 exec_lo, exec_lo, s2
	s_cbranch_execnz .LBB56_701
; %bb.702:
	s_or_b32 exec_lo, exec_lo, s2
.LBB56_703:
	s_delay_alu instid0(SALU_CYCLE_1)
	s_or_b32 exec_lo, exec_lo, s1
	v_mov_b32_e32 v24, 0
	ds_load_b64 v[24:25], v24 offset:120
	s_waitcnt lgkmcnt(0)
	v_mul_f64 v[19:20], v[19:20], v[24:25]
	scratch_store_b64 off, v[19:20], off offset:120
.LBB56_704:
	s_or_b32 exec_lo, exec_lo, s0
	scratch_load_b64 v[19:20], off, off offset:128
	s_mov_b32 s0, exec_lo
	s_waitcnt vmcnt(0)
	ds_store_b64 v21, v[19:20]
	s_waitcnt lgkmcnt(0)
	s_waitcnt_vscnt null, 0x0
	s_barrier
	buffer_gl0_inv
	v_cmpx_gt_u32_e32 16, v0
	s_cbranch_execz .LBB56_714
; %bb.705:
	v_cmp_ne_u32_e32 vcc_lo, 1, v23
	s_cbranch_vccnz .LBB56_707
; %bb.706:
	scratch_load_b64 v[19:20], v22, off
	ds_load_b64 v[24:25], v21
	s_waitcnt vmcnt(0) lgkmcnt(0)
	v_mul_f64 v[19:20], v[19:20], v[24:25]
	s_cbranch_execz .LBB56_708
	s_branch .LBB56_709
.LBB56_707:
                                        ; implicit-def: $vgpr19_vgpr20
.LBB56_708:
	ds_load_b64 v[19:20], v21
.LBB56_709:
	s_mov_b32 s1, exec_lo
	v_cmpx_ne_u32_e32 15, v0
	s_cbranch_execz .LBB56_713
; %bb.710:
	v_add_nc_u32_e32 v24, 0x1d8, v149
	v_add3_u32 v25, 0, v149, 8
	v_mov_b32_e32 v26, v0
	s_mov_b32 s2, 0
.LBB56_711:                             ; =>This Inner Loop Header: Depth=1
	scratch_load_b64 v[27:28], v25, off
	ds_load_b64 v[29:30], v24
	v_add_nc_u32_e32 v26, 1, v26
	v_add_nc_u32_e32 v24, 8, v24
	v_add_nc_u32_e32 v25, 8, v25
	s_delay_alu instid0(VALU_DEP_3)
	v_cmp_lt_u32_e32 vcc_lo, 14, v26
	s_or_b32 s2, vcc_lo, s2
	s_waitcnt vmcnt(0) lgkmcnt(0)
	v_fma_f64 v[19:20], v[27:28], v[29:30], v[19:20]
	s_and_not1_b32 exec_lo, exec_lo, s2
	s_cbranch_execnz .LBB56_711
; %bb.712:
	s_or_b32 exec_lo, exec_lo, s2
.LBB56_713:
	s_delay_alu instid0(SALU_CYCLE_1)
	s_or_b32 exec_lo, exec_lo, s1
	v_mov_b32_e32 v24, 0
	ds_load_b64 v[24:25], v24 offset:128
	s_waitcnt lgkmcnt(0)
	v_mul_f64 v[19:20], v[19:20], v[24:25]
	scratch_store_b64 off, v[19:20], off offset:128
.LBB56_714:
	s_or_b32 exec_lo, exec_lo, s0
	scratch_load_b64 v[19:20], off, off offset:136
	s_mov_b32 s0, exec_lo
	s_waitcnt vmcnt(0)
	ds_store_b64 v21, v[19:20]
	s_waitcnt lgkmcnt(0)
	s_waitcnt_vscnt null, 0x0
	s_barrier
	buffer_gl0_inv
	v_cmpx_gt_u32_e32 17, v0
	s_cbranch_execz .LBB56_724
; %bb.715:
	v_cmp_ne_u32_e32 vcc_lo, 1, v23
	s_cbranch_vccnz .LBB56_717
; %bb.716:
	scratch_load_b64 v[19:20], v22, off
	ds_load_b64 v[24:25], v21
	s_waitcnt vmcnt(0) lgkmcnt(0)
	v_mul_f64 v[19:20], v[19:20], v[24:25]
	s_cbranch_execz .LBB56_718
	s_branch .LBB56_719
.LBB56_717:
                                        ; implicit-def: $vgpr19_vgpr20
.LBB56_718:
	ds_load_b64 v[19:20], v21
.LBB56_719:
	s_mov_b32 s1, exec_lo
	v_cmpx_ne_u32_e32 16, v0
	s_cbranch_execz .LBB56_723
; %bb.720:
	v_add_nc_u32_e32 v24, 0x1d8, v149
	v_add3_u32 v25, 0, v149, 8
	v_mov_b32_e32 v26, v0
	s_mov_b32 s2, 0
.LBB56_721:                             ; =>This Inner Loop Header: Depth=1
	scratch_load_b64 v[27:28], v25, off
	ds_load_b64 v[29:30], v24
	v_add_nc_u32_e32 v26, 1, v26
	v_add_nc_u32_e32 v24, 8, v24
	v_add_nc_u32_e32 v25, 8, v25
	s_delay_alu instid0(VALU_DEP_3)
	v_cmp_lt_u32_e32 vcc_lo, 15, v26
	s_or_b32 s2, vcc_lo, s2
	s_waitcnt vmcnt(0) lgkmcnt(0)
	v_fma_f64 v[19:20], v[27:28], v[29:30], v[19:20]
	s_and_not1_b32 exec_lo, exec_lo, s2
	s_cbranch_execnz .LBB56_721
; %bb.722:
	s_or_b32 exec_lo, exec_lo, s2
.LBB56_723:
	s_delay_alu instid0(SALU_CYCLE_1)
	s_or_b32 exec_lo, exec_lo, s1
	v_mov_b32_e32 v24, 0
	ds_load_b64 v[24:25], v24 offset:136
	s_waitcnt lgkmcnt(0)
	v_mul_f64 v[19:20], v[19:20], v[24:25]
	scratch_store_b64 off, v[19:20], off offset:136
.LBB56_724:
	s_or_b32 exec_lo, exec_lo, s0
	scratch_load_b64 v[19:20], off, off offset:144
	s_mov_b32 s0, exec_lo
	s_waitcnt vmcnt(0)
	ds_store_b64 v21, v[19:20]
	s_waitcnt lgkmcnt(0)
	s_waitcnt_vscnt null, 0x0
	s_barrier
	buffer_gl0_inv
	v_cmpx_gt_u32_e32 18, v0
	s_cbranch_execz .LBB56_734
; %bb.725:
	v_cmp_ne_u32_e32 vcc_lo, 1, v23
	s_cbranch_vccnz .LBB56_727
; %bb.726:
	scratch_load_b64 v[19:20], v22, off
	ds_load_b64 v[24:25], v21
	s_waitcnt vmcnt(0) lgkmcnt(0)
	v_mul_f64 v[19:20], v[19:20], v[24:25]
	s_cbranch_execz .LBB56_728
	s_branch .LBB56_729
.LBB56_727:
                                        ; implicit-def: $vgpr19_vgpr20
.LBB56_728:
	ds_load_b64 v[19:20], v21
.LBB56_729:
	s_mov_b32 s1, exec_lo
	v_cmpx_ne_u32_e32 17, v0
	s_cbranch_execz .LBB56_733
; %bb.730:
	v_add_nc_u32_e32 v24, 0x1d8, v149
	v_add3_u32 v25, 0, v149, 8
	v_mov_b32_e32 v26, v0
	s_mov_b32 s2, 0
.LBB56_731:                             ; =>This Inner Loop Header: Depth=1
	scratch_load_b64 v[27:28], v25, off
	ds_load_b64 v[29:30], v24
	v_add_nc_u32_e32 v26, 1, v26
	v_add_nc_u32_e32 v24, 8, v24
	v_add_nc_u32_e32 v25, 8, v25
	s_delay_alu instid0(VALU_DEP_3)
	v_cmp_lt_u32_e32 vcc_lo, 16, v26
	s_or_b32 s2, vcc_lo, s2
	s_waitcnt vmcnt(0) lgkmcnt(0)
	v_fma_f64 v[19:20], v[27:28], v[29:30], v[19:20]
	s_and_not1_b32 exec_lo, exec_lo, s2
	s_cbranch_execnz .LBB56_731
; %bb.732:
	s_or_b32 exec_lo, exec_lo, s2
.LBB56_733:
	s_delay_alu instid0(SALU_CYCLE_1)
	s_or_b32 exec_lo, exec_lo, s1
	v_mov_b32_e32 v24, 0
	ds_load_b64 v[24:25], v24 offset:144
	s_waitcnt lgkmcnt(0)
	v_mul_f64 v[19:20], v[19:20], v[24:25]
	scratch_store_b64 off, v[19:20], off offset:144
.LBB56_734:
	s_or_b32 exec_lo, exec_lo, s0
	scratch_load_b64 v[19:20], off, off offset:152
	s_mov_b32 s0, exec_lo
	s_waitcnt vmcnt(0)
	ds_store_b64 v21, v[19:20]
	s_waitcnt lgkmcnt(0)
	s_waitcnt_vscnt null, 0x0
	s_barrier
	buffer_gl0_inv
	v_cmpx_gt_u32_e32 19, v0
	s_cbranch_execz .LBB56_744
; %bb.735:
	v_cmp_ne_u32_e32 vcc_lo, 1, v23
	s_cbranch_vccnz .LBB56_737
; %bb.736:
	scratch_load_b64 v[19:20], v22, off
	ds_load_b64 v[24:25], v21
	s_waitcnt vmcnt(0) lgkmcnt(0)
	v_mul_f64 v[19:20], v[19:20], v[24:25]
	s_cbranch_execz .LBB56_738
	s_branch .LBB56_739
.LBB56_737:
                                        ; implicit-def: $vgpr19_vgpr20
.LBB56_738:
	ds_load_b64 v[19:20], v21
.LBB56_739:
	s_mov_b32 s1, exec_lo
	v_cmpx_ne_u32_e32 18, v0
	s_cbranch_execz .LBB56_743
; %bb.740:
	v_add_nc_u32_e32 v24, 0x1d8, v149
	v_add3_u32 v25, 0, v149, 8
	v_mov_b32_e32 v26, v0
	s_mov_b32 s2, 0
.LBB56_741:                             ; =>This Inner Loop Header: Depth=1
	scratch_load_b64 v[27:28], v25, off
	ds_load_b64 v[29:30], v24
	v_add_nc_u32_e32 v26, 1, v26
	v_add_nc_u32_e32 v24, 8, v24
	v_add_nc_u32_e32 v25, 8, v25
	s_delay_alu instid0(VALU_DEP_3)
	v_cmp_lt_u32_e32 vcc_lo, 17, v26
	s_or_b32 s2, vcc_lo, s2
	s_waitcnt vmcnt(0) lgkmcnt(0)
	v_fma_f64 v[19:20], v[27:28], v[29:30], v[19:20]
	s_and_not1_b32 exec_lo, exec_lo, s2
	s_cbranch_execnz .LBB56_741
; %bb.742:
	s_or_b32 exec_lo, exec_lo, s2
.LBB56_743:
	s_delay_alu instid0(SALU_CYCLE_1)
	s_or_b32 exec_lo, exec_lo, s1
	v_mov_b32_e32 v24, 0
	ds_load_b64 v[24:25], v24 offset:152
	s_waitcnt lgkmcnt(0)
	v_mul_f64 v[19:20], v[19:20], v[24:25]
	scratch_store_b64 off, v[19:20], off offset:152
.LBB56_744:
	s_or_b32 exec_lo, exec_lo, s0
	scratch_load_b64 v[19:20], off, off offset:160
	s_mov_b32 s0, exec_lo
	s_waitcnt vmcnt(0)
	ds_store_b64 v21, v[19:20]
	s_waitcnt lgkmcnt(0)
	s_waitcnt_vscnt null, 0x0
	s_barrier
	buffer_gl0_inv
	v_cmpx_gt_u32_e32 20, v0
	s_cbranch_execz .LBB56_754
; %bb.745:
	v_cmp_ne_u32_e32 vcc_lo, 1, v23
	s_cbranch_vccnz .LBB56_747
; %bb.746:
	scratch_load_b64 v[19:20], v22, off
	ds_load_b64 v[24:25], v21
	s_waitcnt vmcnt(0) lgkmcnt(0)
	v_mul_f64 v[19:20], v[19:20], v[24:25]
	s_cbranch_execz .LBB56_748
	s_branch .LBB56_749
.LBB56_747:
                                        ; implicit-def: $vgpr19_vgpr20
.LBB56_748:
	ds_load_b64 v[19:20], v21
.LBB56_749:
	s_mov_b32 s1, exec_lo
	v_cmpx_ne_u32_e32 19, v0
	s_cbranch_execz .LBB56_753
; %bb.750:
	v_add_nc_u32_e32 v24, 0x1d8, v149
	v_add3_u32 v25, 0, v149, 8
	v_mov_b32_e32 v26, v0
	s_mov_b32 s2, 0
.LBB56_751:                             ; =>This Inner Loop Header: Depth=1
	scratch_load_b64 v[27:28], v25, off
	ds_load_b64 v[29:30], v24
	v_add_nc_u32_e32 v26, 1, v26
	v_add_nc_u32_e32 v24, 8, v24
	v_add_nc_u32_e32 v25, 8, v25
	s_delay_alu instid0(VALU_DEP_3)
	v_cmp_lt_u32_e32 vcc_lo, 18, v26
	s_or_b32 s2, vcc_lo, s2
	s_waitcnt vmcnt(0) lgkmcnt(0)
	v_fma_f64 v[19:20], v[27:28], v[29:30], v[19:20]
	s_and_not1_b32 exec_lo, exec_lo, s2
	s_cbranch_execnz .LBB56_751
; %bb.752:
	s_or_b32 exec_lo, exec_lo, s2
.LBB56_753:
	s_delay_alu instid0(SALU_CYCLE_1)
	s_or_b32 exec_lo, exec_lo, s1
	v_mov_b32_e32 v24, 0
	ds_load_b64 v[24:25], v24 offset:160
	s_waitcnt lgkmcnt(0)
	v_mul_f64 v[19:20], v[19:20], v[24:25]
	scratch_store_b64 off, v[19:20], off offset:160
.LBB56_754:
	s_or_b32 exec_lo, exec_lo, s0
	scratch_load_b64 v[19:20], off, off offset:168
	s_mov_b32 s0, exec_lo
	s_waitcnt vmcnt(0)
	ds_store_b64 v21, v[19:20]
	s_waitcnt lgkmcnt(0)
	s_waitcnt_vscnt null, 0x0
	s_barrier
	buffer_gl0_inv
	v_cmpx_gt_u32_e32 21, v0
	s_cbranch_execz .LBB56_764
; %bb.755:
	v_cmp_ne_u32_e32 vcc_lo, 1, v23
	s_cbranch_vccnz .LBB56_757
; %bb.756:
	scratch_load_b64 v[19:20], v22, off
	ds_load_b64 v[24:25], v21
	s_waitcnt vmcnt(0) lgkmcnt(0)
	v_mul_f64 v[19:20], v[19:20], v[24:25]
	s_cbranch_execz .LBB56_758
	s_branch .LBB56_759
.LBB56_757:
                                        ; implicit-def: $vgpr19_vgpr20
.LBB56_758:
	ds_load_b64 v[19:20], v21
.LBB56_759:
	s_mov_b32 s1, exec_lo
	v_cmpx_ne_u32_e32 20, v0
	s_cbranch_execz .LBB56_763
; %bb.760:
	v_add_nc_u32_e32 v24, 0x1d8, v149
	v_add3_u32 v25, 0, v149, 8
	v_mov_b32_e32 v26, v0
	s_mov_b32 s2, 0
.LBB56_761:                             ; =>This Inner Loop Header: Depth=1
	scratch_load_b64 v[27:28], v25, off
	ds_load_b64 v[29:30], v24
	v_add_nc_u32_e32 v26, 1, v26
	v_add_nc_u32_e32 v24, 8, v24
	v_add_nc_u32_e32 v25, 8, v25
	s_delay_alu instid0(VALU_DEP_3)
	v_cmp_lt_u32_e32 vcc_lo, 19, v26
	s_or_b32 s2, vcc_lo, s2
	s_waitcnt vmcnt(0) lgkmcnt(0)
	v_fma_f64 v[19:20], v[27:28], v[29:30], v[19:20]
	s_and_not1_b32 exec_lo, exec_lo, s2
	s_cbranch_execnz .LBB56_761
; %bb.762:
	s_or_b32 exec_lo, exec_lo, s2
.LBB56_763:
	s_delay_alu instid0(SALU_CYCLE_1)
	s_or_b32 exec_lo, exec_lo, s1
	v_mov_b32_e32 v24, 0
	ds_load_b64 v[24:25], v24 offset:168
	s_waitcnt lgkmcnt(0)
	v_mul_f64 v[19:20], v[19:20], v[24:25]
	scratch_store_b64 off, v[19:20], off offset:168
.LBB56_764:
	s_or_b32 exec_lo, exec_lo, s0
	scratch_load_b64 v[19:20], off, off offset:176
	s_mov_b32 s0, exec_lo
	s_waitcnt vmcnt(0)
	ds_store_b64 v21, v[19:20]
	s_waitcnt lgkmcnt(0)
	s_waitcnt_vscnt null, 0x0
	s_barrier
	buffer_gl0_inv
	v_cmpx_gt_u32_e32 22, v0
	s_cbranch_execz .LBB56_774
; %bb.765:
	v_cmp_ne_u32_e32 vcc_lo, 1, v23
	s_cbranch_vccnz .LBB56_767
; %bb.766:
	scratch_load_b64 v[19:20], v22, off
	ds_load_b64 v[24:25], v21
	s_waitcnt vmcnt(0) lgkmcnt(0)
	v_mul_f64 v[19:20], v[19:20], v[24:25]
	s_cbranch_execz .LBB56_768
	s_branch .LBB56_769
.LBB56_767:
                                        ; implicit-def: $vgpr19_vgpr20
.LBB56_768:
	ds_load_b64 v[19:20], v21
.LBB56_769:
	s_mov_b32 s1, exec_lo
	v_cmpx_ne_u32_e32 21, v0
	s_cbranch_execz .LBB56_773
; %bb.770:
	v_add_nc_u32_e32 v24, 0x1d8, v149
	v_add3_u32 v25, 0, v149, 8
	v_mov_b32_e32 v26, v0
	s_mov_b32 s2, 0
.LBB56_771:                             ; =>This Inner Loop Header: Depth=1
	scratch_load_b64 v[27:28], v25, off
	ds_load_b64 v[29:30], v24
	v_add_nc_u32_e32 v26, 1, v26
	v_add_nc_u32_e32 v24, 8, v24
	v_add_nc_u32_e32 v25, 8, v25
	s_delay_alu instid0(VALU_DEP_3)
	v_cmp_lt_u32_e32 vcc_lo, 20, v26
	s_or_b32 s2, vcc_lo, s2
	s_waitcnt vmcnt(0) lgkmcnt(0)
	v_fma_f64 v[19:20], v[27:28], v[29:30], v[19:20]
	s_and_not1_b32 exec_lo, exec_lo, s2
	s_cbranch_execnz .LBB56_771
; %bb.772:
	s_or_b32 exec_lo, exec_lo, s2
.LBB56_773:
	s_delay_alu instid0(SALU_CYCLE_1)
	s_or_b32 exec_lo, exec_lo, s1
	v_mov_b32_e32 v24, 0
	ds_load_b64 v[24:25], v24 offset:176
	s_waitcnt lgkmcnt(0)
	v_mul_f64 v[19:20], v[19:20], v[24:25]
	scratch_store_b64 off, v[19:20], off offset:176
.LBB56_774:
	s_or_b32 exec_lo, exec_lo, s0
	scratch_load_b64 v[19:20], off, off offset:184
	s_mov_b32 s0, exec_lo
	s_waitcnt vmcnt(0)
	ds_store_b64 v21, v[19:20]
	s_waitcnt lgkmcnt(0)
	s_waitcnt_vscnt null, 0x0
	s_barrier
	buffer_gl0_inv
	v_cmpx_gt_u32_e32 23, v0
	s_cbranch_execz .LBB56_784
; %bb.775:
	v_cmp_ne_u32_e32 vcc_lo, 1, v23
	s_cbranch_vccnz .LBB56_777
; %bb.776:
	scratch_load_b64 v[19:20], v22, off
	ds_load_b64 v[24:25], v21
	s_waitcnt vmcnt(0) lgkmcnt(0)
	v_mul_f64 v[19:20], v[19:20], v[24:25]
	s_cbranch_execz .LBB56_778
	s_branch .LBB56_779
.LBB56_777:
                                        ; implicit-def: $vgpr19_vgpr20
.LBB56_778:
	ds_load_b64 v[19:20], v21
.LBB56_779:
	s_mov_b32 s1, exec_lo
	v_cmpx_ne_u32_e32 22, v0
	s_cbranch_execz .LBB56_783
; %bb.780:
	v_add_nc_u32_e32 v24, 0x1d8, v149
	v_add3_u32 v25, 0, v149, 8
	v_mov_b32_e32 v26, v0
	s_mov_b32 s2, 0
.LBB56_781:                             ; =>This Inner Loop Header: Depth=1
	scratch_load_b64 v[27:28], v25, off
	ds_load_b64 v[29:30], v24
	v_add_nc_u32_e32 v26, 1, v26
	v_add_nc_u32_e32 v24, 8, v24
	v_add_nc_u32_e32 v25, 8, v25
	s_delay_alu instid0(VALU_DEP_3)
	v_cmp_lt_u32_e32 vcc_lo, 21, v26
	s_or_b32 s2, vcc_lo, s2
	s_waitcnt vmcnt(0) lgkmcnt(0)
	v_fma_f64 v[19:20], v[27:28], v[29:30], v[19:20]
	s_and_not1_b32 exec_lo, exec_lo, s2
	s_cbranch_execnz .LBB56_781
; %bb.782:
	s_or_b32 exec_lo, exec_lo, s2
.LBB56_783:
	s_delay_alu instid0(SALU_CYCLE_1)
	s_or_b32 exec_lo, exec_lo, s1
	v_mov_b32_e32 v24, 0
	ds_load_b64 v[24:25], v24 offset:184
	s_waitcnt lgkmcnt(0)
	v_mul_f64 v[19:20], v[19:20], v[24:25]
	scratch_store_b64 off, v[19:20], off offset:184
.LBB56_784:
	s_or_b32 exec_lo, exec_lo, s0
	scratch_load_b64 v[19:20], off, off offset:192
	s_mov_b32 s0, exec_lo
	s_waitcnt vmcnt(0)
	ds_store_b64 v21, v[19:20]
	s_waitcnt lgkmcnt(0)
	s_waitcnt_vscnt null, 0x0
	s_barrier
	buffer_gl0_inv
	v_cmpx_gt_u32_e32 24, v0
	s_cbranch_execz .LBB56_794
; %bb.785:
	v_cmp_ne_u32_e32 vcc_lo, 1, v23
	s_cbranch_vccnz .LBB56_787
; %bb.786:
	scratch_load_b64 v[19:20], v22, off
	ds_load_b64 v[24:25], v21
	s_waitcnt vmcnt(0) lgkmcnt(0)
	v_mul_f64 v[19:20], v[19:20], v[24:25]
	s_cbranch_execz .LBB56_788
	s_branch .LBB56_789
.LBB56_787:
                                        ; implicit-def: $vgpr19_vgpr20
.LBB56_788:
	ds_load_b64 v[19:20], v21
.LBB56_789:
	s_mov_b32 s1, exec_lo
	v_cmpx_ne_u32_e32 23, v0
	s_cbranch_execz .LBB56_793
; %bb.790:
	v_add_nc_u32_e32 v24, 0x1d8, v149
	v_add3_u32 v25, 0, v149, 8
	v_mov_b32_e32 v26, v0
	s_mov_b32 s2, 0
.LBB56_791:                             ; =>This Inner Loop Header: Depth=1
	scratch_load_b64 v[27:28], v25, off
	ds_load_b64 v[29:30], v24
	v_add_nc_u32_e32 v26, 1, v26
	v_add_nc_u32_e32 v24, 8, v24
	v_add_nc_u32_e32 v25, 8, v25
	s_delay_alu instid0(VALU_DEP_3)
	v_cmp_lt_u32_e32 vcc_lo, 22, v26
	s_or_b32 s2, vcc_lo, s2
	s_waitcnt vmcnt(0) lgkmcnt(0)
	v_fma_f64 v[19:20], v[27:28], v[29:30], v[19:20]
	s_and_not1_b32 exec_lo, exec_lo, s2
	s_cbranch_execnz .LBB56_791
; %bb.792:
	s_or_b32 exec_lo, exec_lo, s2
.LBB56_793:
	s_delay_alu instid0(SALU_CYCLE_1)
	s_or_b32 exec_lo, exec_lo, s1
	v_mov_b32_e32 v24, 0
	ds_load_b64 v[24:25], v24 offset:192
	s_waitcnt lgkmcnt(0)
	v_mul_f64 v[19:20], v[19:20], v[24:25]
	scratch_store_b64 off, v[19:20], off offset:192
.LBB56_794:
	s_or_b32 exec_lo, exec_lo, s0
	scratch_load_b64 v[19:20], off, off offset:200
	s_mov_b32 s0, exec_lo
	s_waitcnt vmcnt(0)
	ds_store_b64 v21, v[19:20]
	s_waitcnt lgkmcnt(0)
	s_waitcnt_vscnt null, 0x0
	s_barrier
	buffer_gl0_inv
	v_cmpx_gt_u32_e32 25, v0
	s_cbranch_execz .LBB56_804
; %bb.795:
	v_cmp_ne_u32_e32 vcc_lo, 1, v23
	s_cbranch_vccnz .LBB56_797
; %bb.796:
	scratch_load_b64 v[19:20], v22, off
	ds_load_b64 v[24:25], v21
	s_waitcnt vmcnt(0) lgkmcnt(0)
	v_mul_f64 v[19:20], v[19:20], v[24:25]
	s_cbranch_execz .LBB56_798
	s_branch .LBB56_799
.LBB56_797:
                                        ; implicit-def: $vgpr19_vgpr20
.LBB56_798:
	ds_load_b64 v[19:20], v21
.LBB56_799:
	s_mov_b32 s1, exec_lo
	v_cmpx_ne_u32_e32 24, v0
	s_cbranch_execz .LBB56_803
; %bb.800:
	v_add_nc_u32_e32 v24, 0x1d8, v149
	v_add3_u32 v25, 0, v149, 8
	v_mov_b32_e32 v26, v0
	s_mov_b32 s2, 0
.LBB56_801:                             ; =>This Inner Loop Header: Depth=1
	scratch_load_b64 v[27:28], v25, off
	ds_load_b64 v[29:30], v24
	v_add_nc_u32_e32 v26, 1, v26
	v_add_nc_u32_e32 v24, 8, v24
	v_add_nc_u32_e32 v25, 8, v25
	s_delay_alu instid0(VALU_DEP_3)
	v_cmp_lt_u32_e32 vcc_lo, 23, v26
	s_or_b32 s2, vcc_lo, s2
	s_waitcnt vmcnt(0) lgkmcnt(0)
	v_fma_f64 v[19:20], v[27:28], v[29:30], v[19:20]
	s_and_not1_b32 exec_lo, exec_lo, s2
	s_cbranch_execnz .LBB56_801
; %bb.802:
	s_or_b32 exec_lo, exec_lo, s2
.LBB56_803:
	s_delay_alu instid0(SALU_CYCLE_1)
	s_or_b32 exec_lo, exec_lo, s1
	v_mov_b32_e32 v24, 0
	ds_load_b64 v[24:25], v24 offset:200
	s_waitcnt lgkmcnt(0)
	v_mul_f64 v[19:20], v[19:20], v[24:25]
	scratch_store_b64 off, v[19:20], off offset:200
.LBB56_804:
	s_or_b32 exec_lo, exec_lo, s0
	scratch_load_b64 v[19:20], off, off offset:208
	s_mov_b32 s0, exec_lo
	s_waitcnt vmcnt(0)
	ds_store_b64 v21, v[19:20]
	s_waitcnt lgkmcnt(0)
	s_waitcnt_vscnt null, 0x0
	s_barrier
	buffer_gl0_inv
	v_cmpx_gt_u32_e32 26, v0
	s_cbranch_execz .LBB56_814
; %bb.805:
	v_cmp_ne_u32_e32 vcc_lo, 1, v23
	s_cbranch_vccnz .LBB56_807
; %bb.806:
	scratch_load_b64 v[19:20], v22, off
	ds_load_b64 v[24:25], v21
	s_waitcnt vmcnt(0) lgkmcnt(0)
	v_mul_f64 v[19:20], v[19:20], v[24:25]
	s_cbranch_execz .LBB56_808
	s_branch .LBB56_809
.LBB56_807:
                                        ; implicit-def: $vgpr19_vgpr20
.LBB56_808:
	ds_load_b64 v[19:20], v21
.LBB56_809:
	s_mov_b32 s1, exec_lo
	v_cmpx_ne_u32_e32 25, v0
	s_cbranch_execz .LBB56_813
; %bb.810:
	v_add_nc_u32_e32 v24, 0x1d8, v149
	v_add3_u32 v25, 0, v149, 8
	v_mov_b32_e32 v26, v0
	s_mov_b32 s2, 0
.LBB56_811:                             ; =>This Inner Loop Header: Depth=1
	scratch_load_b64 v[27:28], v25, off
	ds_load_b64 v[29:30], v24
	v_add_nc_u32_e32 v26, 1, v26
	v_add_nc_u32_e32 v24, 8, v24
	v_add_nc_u32_e32 v25, 8, v25
	s_delay_alu instid0(VALU_DEP_3)
	v_cmp_lt_u32_e32 vcc_lo, 24, v26
	s_or_b32 s2, vcc_lo, s2
	s_waitcnt vmcnt(0) lgkmcnt(0)
	v_fma_f64 v[19:20], v[27:28], v[29:30], v[19:20]
	s_and_not1_b32 exec_lo, exec_lo, s2
	s_cbranch_execnz .LBB56_811
; %bb.812:
	s_or_b32 exec_lo, exec_lo, s2
.LBB56_813:
	s_delay_alu instid0(SALU_CYCLE_1)
	s_or_b32 exec_lo, exec_lo, s1
	v_mov_b32_e32 v24, 0
	ds_load_b64 v[24:25], v24 offset:208
	s_waitcnt lgkmcnt(0)
	v_mul_f64 v[19:20], v[19:20], v[24:25]
	scratch_store_b64 off, v[19:20], off offset:208
.LBB56_814:
	s_or_b32 exec_lo, exec_lo, s0
	scratch_load_b64 v[19:20], off, off offset:216
	s_mov_b32 s0, exec_lo
	s_waitcnt vmcnt(0)
	ds_store_b64 v21, v[19:20]
	s_waitcnt lgkmcnt(0)
	s_waitcnt_vscnt null, 0x0
	s_barrier
	buffer_gl0_inv
	v_cmpx_gt_u32_e32 27, v0
	s_cbranch_execz .LBB56_824
; %bb.815:
	v_cmp_ne_u32_e32 vcc_lo, 1, v23
	s_cbranch_vccnz .LBB56_817
; %bb.816:
	scratch_load_b64 v[19:20], v22, off
	ds_load_b64 v[24:25], v21
	s_waitcnt vmcnt(0) lgkmcnt(0)
	v_mul_f64 v[19:20], v[19:20], v[24:25]
	s_cbranch_execz .LBB56_818
	s_branch .LBB56_819
.LBB56_817:
                                        ; implicit-def: $vgpr19_vgpr20
.LBB56_818:
	ds_load_b64 v[19:20], v21
.LBB56_819:
	s_mov_b32 s1, exec_lo
	v_cmpx_ne_u32_e32 26, v0
	s_cbranch_execz .LBB56_823
; %bb.820:
	v_add_nc_u32_e32 v24, 0x1d8, v149
	v_add3_u32 v25, 0, v149, 8
	v_mov_b32_e32 v26, v0
	s_mov_b32 s2, 0
.LBB56_821:                             ; =>This Inner Loop Header: Depth=1
	scratch_load_b64 v[27:28], v25, off
	ds_load_b64 v[29:30], v24
	v_add_nc_u32_e32 v26, 1, v26
	v_add_nc_u32_e32 v24, 8, v24
	v_add_nc_u32_e32 v25, 8, v25
	s_delay_alu instid0(VALU_DEP_3)
	v_cmp_lt_u32_e32 vcc_lo, 25, v26
	s_or_b32 s2, vcc_lo, s2
	s_waitcnt vmcnt(0) lgkmcnt(0)
	v_fma_f64 v[19:20], v[27:28], v[29:30], v[19:20]
	s_and_not1_b32 exec_lo, exec_lo, s2
	s_cbranch_execnz .LBB56_821
; %bb.822:
	s_or_b32 exec_lo, exec_lo, s2
.LBB56_823:
	s_delay_alu instid0(SALU_CYCLE_1)
	s_or_b32 exec_lo, exec_lo, s1
	v_mov_b32_e32 v24, 0
	ds_load_b64 v[24:25], v24 offset:216
	s_waitcnt lgkmcnt(0)
	v_mul_f64 v[19:20], v[19:20], v[24:25]
	scratch_store_b64 off, v[19:20], off offset:216
.LBB56_824:
	s_or_b32 exec_lo, exec_lo, s0
	scratch_load_b64 v[19:20], off, off offset:224
	s_mov_b32 s0, exec_lo
	s_waitcnt vmcnt(0)
	ds_store_b64 v21, v[19:20]
	s_waitcnt lgkmcnt(0)
	s_waitcnt_vscnt null, 0x0
	s_barrier
	buffer_gl0_inv
	v_cmpx_gt_u32_e32 28, v0
	s_cbranch_execz .LBB56_834
; %bb.825:
	v_cmp_ne_u32_e32 vcc_lo, 1, v23
	s_cbranch_vccnz .LBB56_827
; %bb.826:
	scratch_load_b64 v[19:20], v22, off
	ds_load_b64 v[24:25], v21
	s_waitcnt vmcnt(0) lgkmcnt(0)
	v_mul_f64 v[19:20], v[19:20], v[24:25]
	s_cbranch_execz .LBB56_828
	s_branch .LBB56_829
.LBB56_827:
                                        ; implicit-def: $vgpr19_vgpr20
.LBB56_828:
	ds_load_b64 v[19:20], v21
.LBB56_829:
	s_mov_b32 s1, exec_lo
	v_cmpx_ne_u32_e32 27, v0
	s_cbranch_execz .LBB56_833
; %bb.830:
	v_add_nc_u32_e32 v24, 0x1d8, v149
	v_add3_u32 v25, 0, v149, 8
	v_mov_b32_e32 v26, v0
	s_mov_b32 s2, 0
.LBB56_831:                             ; =>This Inner Loop Header: Depth=1
	scratch_load_b64 v[27:28], v25, off
	ds_load_b64 v[29:30], v24
	v_add_nc_u32_e32 v26, 1, v26
	v_add_nc_u32_e32 v24, 8, v24
	v_add_nc_u32_e32 v25, 8, v25
	s_delay_alu instid0(VALU_DEP_3)
	v_cmp_lt_u32_e32 vcc_lo, 26, v26
	s_or_b32 s2, vcc_lo, s2
	s_waitcnt vmcnt(0) lgkmcnt(0)
	v_fma_f64 v[19:20], v[27:28], v[29:30], v[19:20]
	s_and_not1_b32 exec_lo, exec_lo, s2
	s_cbranch_execnz .LBB56_831
; %bb.832:
	s_or_b32 exec_lo, exec_lo, s2
.LBB56_833:
	s_delay_alu instid0(SALU_CYCLE_1)
	s_or_b32 exec_lo, exec_lo, s1
	v_mov_b32_e32 v24, 0
	ds_load_b64 v[24:25], v24 offset:224
	s_waitcnt lgkmcnt(0)
	v_mul_f64 v[19:20], v[19:20], v[24:25]
	scratch_store_b64 off, v[19:20], off offset:224
.LBB56_834:
	s_or_b32 exec_lo, exec_lo, s0
	scratch_load_b64 v[19:20], off, off offset:232
	s_mov_b32 s0, exec_lo
	s_waitcnt vmcnt(0)
	ds_store_b64 v21, v[19:20]
	s_waitcnt lgkmcnt(0)
	s_waitcnt_vscnt null, 0x0
	s_barrier
	buffer_gl0_inv
	v_cmpx_gt_u32_e32 29, v0
	s_cbranch_execz .LBB56_844
; %bb.835:
	v_cmp_ne_u32_e32 vcc_lo, 1, v23
	s_cbranch_vccnz .LBB56_837
; %bb.836:
	scratch_load_b64 v[19:20], v22, off
	ds_load_b64 v[24:25], v21
	s_waitcnt vmcnt(0) lgkmcnt(0)
	v_mul_f64 v[19:20], v[19:20], v[24:25]
	s_cbranch_execz .LBB56_838
	s_branch .LBB56_839
.LBB56_837:
                                        ; implicit-def: $vgpr19_vgpr20
.LBB56_838:
	ds_load_b64 v[19:20], v21
.LBB56_839:
	s_mov_b32 s1, exec_lo
	v_cmpx_ne_u32_e32 28, v0
	s_cbranch_execz .LBB56_843
; %bb.840:
	v_add_nc_u32_e32 v24, 0x1d8, v149
	v_add3_u32 v25, 0, v149, 8
	v_mov_b32_e32 v26, v0
	s_mov_b32 s2, 0
.LBB56_841:                             ; =>This Inner Loop Header: Depth=1
	scratch_load_b64 v[27:28], v25, off
	ds_load_b64 v[29:30], v24
	v_add_nc_u32_e32 v26, 1, v26
	v_add_nc_u32_e32 v24, 8, v24
	v_add_nc_u32_e32 v25, 8, v25
	s_delay_alu instid0(VALU_DEP_3)
	v_cmp_lt_u32_e32 vcc_lo, 27, v26
	s_or_b32 s2, vcc_lo, s2
	s_waitcnt vmcnt(0) lgkmcnt(0)
	v_fma_f64 v[19:20], v[27:28], v[29:30], v[19:20]
	s_and_not1_b32 exec_lo, exec_lo, s2
	s_cbranch_execnz .LBB56_841
; %bb.842:
	s_or_b32 exec_lo, exec_lo, s2
.LBB56_843:
	s_delay_alu instid0(SALU_CYCLE_1)
	s_or_b32 exec_lo, exec_lo, s1
	v_mov_b32_e32 v24, 0
	ds_load_b64 v[24:25], v24 offset:232
	s_waitcnt lgkmcnt(0)
	v_mul_f64 v[19:20], v[19:20], v[24:25]
	scratch_store_b64 off, v[19:20], off offset:232
.LBB56_844:
	s_or_b32 exec_lo, exec_lo, s0
	scratch_load_b64 v[19:20], off, off offset:240
	s_mov_b32 s0, exec_lo
	s_waitcnt vmcnt(0)
	ds_store_b64 v21, v[19:20]
	s_waitcnt lgkmcnt(0)
	s_waitcnt_vscnt null, 0x0
	s_barrier
	buffer_gl0_inv
	v_cmpx_gt_u32_e32 30, v0
	s_cbranch_execz .LBB56_854
; %bb.845:
	v_cmp_ne_u32_e32 vcc_lo, 1, v23
	s_cbranch_vccnz .LBB56_847
; %bb.846:
	scratch_load_b64 v[19:20], v22, off
	ds_load_b64 v[24:25], v21
	s_waitcnt vmcnt(0) lgkmcnt(0)
	v_mul_f64 v[19:20], v[19:20], v[24:25]
	s_cbranch_execz .LBB56_848
	s_branch .LBB56_849
.LBB56_847:
                                        ; implicit-def: $vgpr19_vgpr20
.LBB56_848:
	ds_load_b64 v[19:20], v21
.LBB56_849:
	s_mov_b32 s1, exec_lo
	v_cmpx_ne_u32_e32 29, v0
	s_cbranch_execz .LBB56_853
; %bb.850:
	v_add_nc_u32_e32 v24, 0x1d8, v149
	v_add3_u32 v25, 0, v149, 8
	v_mov_b32_e32 v26, v0
	s_mov_b32 s2, 0
.LBB56_851:                             ; =>This Inner Loop Header: Depth=1
	scratch_load_b64 v[27:28], v25, off
	ds_load_b64 v[29:30], v24
	v_add_nc_u32_e32 v26, 1, v26
	v_add_nc_u32_e32 v24, 8, v24
	v_add_nc_u32_e32 v25, 8, v25
	s_delay_alu instid0(VALU_DEP_3)
	v_cmp_lt_u32_e32 vcc_lo, 28, v26
	s_or_b32 s2, vcc_lo, s2
	s_waitcnt vmcnt(0) lgkmcnt(0)
	v_fma_f64 v[19:20], v[27:28], v[29:30], v[19:20]
	s_and_not1_b32 exec_lo, exec_lo, s2
	s_cbranch_execnz .LBB56_851
; %bb.852:
	s_or_b32 exec_lo, exec_lo, s2
.LBB56_853:
	s_delay_alu instid0(SALU_CYCLE_1)
	s_or_b32 exec_lo, exec_lo, s1
	v_mov_b32_e32 v24, 0
	ds_load_b64 v[24:25], v24 offset:240
	s_waitcnt lgkmcnt(0)
	v_mul_f64 v[19:20], v[19:20], v[24:25]
	scratch_store_b64 off, v[19:20], off offset:240
.LBB56_854:
	s_or_b32 exec_lo, exec_lo, s0
	scratch_load_b64 v[19:20], off, off offset:248
	s_mov_b32 s0, exec_lo
	s_waitcnt vmcnt(0)
	ds_store_b64 v21, v[19:20]
	s_waitcnt lgkmcnt(0)
	s_waitcnt_vscnt null, 0x0
	s_barrier
	buffer_gl0_inv
	v_cmpx_gt_u32_e32 31, v0
	s_cbranch_execz .LBB56_864
; %bb.855:
	v_cmp_ne_u32_e32 vcc_lo, 1, v23
	s_cbranch_vccnz .LBB56_857
; %bb.856:
	scratch_load_b64 v[19:20], v22, off
	ds_load_b64 v[24:25], v21
	s_waitcnt vmcnt(0) lgkmcnt(0)
	v_mul_f64 v[19:20], v[19:20], v[24:25]
	s_cbranch_execz .LBB56_858
	s_branch .LBB56_859
.LBB56_857:
                                        ; implicit-def: $vgpr19_vgpr20
.LBB56_858:
	ds_load_b64 v[19:20], v21
.LBB56_859:
	s_mov_b32 s1, exec_lo
	v_cmpx_ne_u32_e32 30, v0
	s_cbranch_execz .LBB56_863
; %bb.860:
	v_add_nc_u32_e32 v24, 0x1d8, v149
	v_add3_u32 v25, 0, v149, 8
	v_mov_b32_e32 v26, v0
	s_mov_b32 s2, 0
.LBB56_861:                             ; =>This Inner Loop Header: Depth=1
	scratch_load_b64 v[27:28], v25, off
	ds_load_b64 v[29:30], v24
	v_add_nc_u32_e32 v26, 1, v26
	v_add_nc_u32_e32 v24, 8, v24
	v_add_nc_u32_e32 v25, 8, v25
	s_delay_alu instid0(VALU_DEP_3)
	v_cmp_lt_u32_e32 vcc_lo, 29, v26
	s_or_b32 s2, vcc_lo, s2
	s_waitcnt vmcnt(0) lgkmcnt(0)
	v_fma_f64 v[19:20], v[27:28], v[29:30], v[19:20]
	s_and_not1_b32 exec_lo, exec_lo, s2
	s_cbranch_execnz .LBB56_861
; %bb.862:
	s_or_b32 exec_lo, exec_lo, s2
.LBB56_863:
	s_delay_alu instid0(SALU_CYCLE_1)
	s_or_b32 exec_lo, exec_lo, s1
	v_mov_b32_e32 v24, 0
	ds_load_b64 v[24:25], v24 offset:248
	s_waitcnt lgkmcnt(0)
	v_mul_f64 v[19:20], v[19:20], v[24:25]
	scratch_store_b64 off, v[19:20], off offset:248
.LBB56_864:
	s_or_b32 exec_lo, exec_lo, s0
	scratch_load_b64 v[19:20], off, off offset:256
	s_mov_b32 s0, exec_lo
	s_waitcnt vmcnt(0)
	ds_store_b64 v21, v[19:20]
	s_waitcnt lgkmcnt(0)
	s_waitcnt_vscnt null, 0x0
	s_barrier
	buffer_gl0_inv
	v_cmpx_gt_u32_e32 32, v0
	s_cbranch_execz .LBB56_874
; %bb.865:
	v_cmp_ne_u32_e32 vcc_lo, 1, v23
	s_cbranch_vccnz .LBB56_867
; %bb.866:
	scratch_load_b64 v[19:20], v22, off
	ds_load_b64 v[24:25], v21
	s_waitcnt vmcnt(0) lgkmcnt(0)
	v_mul_f64 v[19:20], v[19:20], v[24:25]
	s_cbranch_execz .LBB56_868
	s_branch .LBB56_869
.LBB56_867:
                                        ; implicit-def: $vgpr19_vgpr20
.LBB56_868:
	ds_load_b64 v[19:20], v21
.LBB56_869:
	s_mov_b32 s1, exec_lo
	v_cmpx_ne_u32_e32 31, v0
	s_cbranch_execz .LBB56_873
; %bb.870:
	v_add_nc_u32_e32 v24, 0x1d8, v149
	v_add3_u32 v25, 0, v149, 8
	v_mov_b32_e32 v26, v0
	s_mov_b32 s2, 0
.LBB56_871:                             ; =>This Inner Loop Header: Depth=1
	scratch_load_b64 v[27:28], v25, off
	ds_load_b64 v[29:30], v24
	v_add_nc_u32_e32 v26, 1, v26
	v_add_nc_u32_e32 v24, 8, v24
	v_add_nc_u32_e32 v25, 8, v25
	s_delay_alu instid0(VALU_DEP_3)
	v_cmp_lt_u32_e32 vcc_lo, 30, v26
	s_or_b32 s2, vcc_lo, s2
	s_waitcnt vmcnt(0) lgkmcnt(0)
	v_fma_f64 v[19:20], v[27:28], v[29:30], v[19:20]
	s_and_not1_b32 exec_lo, exec_lo, s2
	s_cbranch_execnz .LBB56_871
; %bb.872:
	s_or_b32 exec_lo, exec_lo, s2
.LBB56_873:
	s_delay_alu instid0(SALU_CYCLE_1)
	s_or_b32 exec_lo, exec_lo, s1
	v_mov_b32_e32 v24, 0
	ds_load_b64 v[24:25], v24 offset:256
	s_waitcnt lgkmcnt(0)
	v_mul_f64 v[19:20], v[19:20], v[24:25]
	scratch_store_b64 off, v[19:20], off offset:256
.LBB56_874:
	s_or_b32 exec_lo, exec_lo, s0
	scratch_load_b64 v[19:20], off, off offset:264
	s_mov_b32 s0, exec_lo
	s_waitcnt vmcnt(0)
	ds_store_b64 v21, v[19:20]
	s_waitcnt lgkmcnt(0)
	s_waitcnt_vscnt null, 0x0
	s_barrier
	buffer_gl0_inv
	v_cmpx_gt_u32_e32 33, v0
	s_cbranch_execz .LBB56_884
; %bb.875:
	v_cmp_ne_u32_e32 vcc_lo, 1, v23
	s_cbranch_vccnz .LBB56_877
; %bb.876:
	scratch_load_b64 v[19:20], v22, off
	ds_load_b64 v[24:25], v21
	s_waitcnt vmcnt(0) lgkmcnt(0)
	v_mul_f64 v[19:20], v[19:20], v[24:25]
	s_cbranch_execz .LBB56_878
	s_branch .LBB56_879
.LBB56_877:
                                        ; implicit-def: $vgpr19_vgpr20
.LBB56_878:
	ds_load_b64 v[19:20], v21
.LBB56_879:
	s_mov_b32 s1, exec_lo
	v_cmpx_ne_u32_e32 32, v0
	s_cbranch_execz .LBB56_883
; %bb.880:
	v_add_nc_u32_e32 v24, 0x1d8, v149
	v_add3_u32 v25, 0, v149, 8
	v_mov_b32_e32 v26, v0
	s_mov_b32 s2, 0
.LBB56_881:                             ; =>This Inner Loop Header: Depth=1
	scratch_load_b64 v[27:28], v25, off
	ds_load_b64 v[29:30], v24
	v_add_nc_u32_e32 v26, 1, v26
	v_add_nc_u32_e32 v24, 8, v24
	v_add_nc_u32_e32 v25, 8, v25
	s_delay_alu instid0(VALU_DEP_3)
	v_cmp_lt_u32_e32 vcc_lo, 31, v26
	s_or_b32 s2, vcc_lo, s2
	s_waitcnt vmcnt(0) lgkmcnt(0)
	v_fma_f64 v[19:20], v[27:28], v[29:30], v[19:20]
	s_and_not1_b32 exec_lo, exec_lo, s2
	s_cbranch_execnz .LBB56_881
; %bb.882:
	s_or_b32 exec_lo, exec_lo, s2
.LBB56_883:
	s_delay_alu instid0(SALU_CYCLE_1)
	s_or_b32 exec_lo, exec_lo, s1
	v_mov_b32_e32 v24, 0
	ds_load_b64 v[24:25], v24 offset:264
	s_waitcnt lgkmcnt(0)
	v_mul_f64 v[19:20], v[19:20], v[24:25]
	scratch_store_b64 off, v[19:20], off offset:264
.LBB56_884:
	s_or_b32 exec_lo, exec_lo, s0
	scratch_load_b64 v[19:20], off, off offset:272
	s_mov_b32 s0, exec_lo
	s_waitcnt vmcnt(0)
	ds_store_b64 v21, v[19:20]
	s_waitcnt lgkmcnt(0)
	s_waitcnt_vscnt null, 0x0
	s_barrier
	buffer_gl0_inv
	v_cmpx_gt_u32_e32 34, v0
	s_cbranch_execz .LBB56_894
; %bb.885:
	v_cmp_ne_u32_e32 vcc_lo, 1, v23
	s_cbranch_vccnz .LBB56_887
; %bb.886:
	scratch_load_b64 v[19:20], v22, off
	ds_load_b64 v[24:25], v21
	s_waitcnt vmcnt(0) lgkmcnt(0)
	v_mul_f64 v[19:20], v[19:20], v[24:25]
	s_cbranch_execz .LBB56_888
	s_branch .LBB56_889
.LBB56_887:
                                        ; implicit-def: $vgpr19_vgpr20
.LBB56_888:
	ds_load_b64 v[19:20], v21
.LBB56_889:
	s_mov_b32 s1, exec_lo
	v_cmpx_ne_u32_e32 33, v0
	s_cbranch_execz .LBB56_893
; %bb.890:
	v_add_nc_u32_e32 v24, 0x1d8, v149
	v_add3_u32 v25, 0, v149, 8
	v_mov_b32_e32 v26, v0
	s_mov_b32 s2, 0
.LBB56_891:                             ; =>This Inner Loop Header: Depth=1
	scratch_load_b64 v[27:28], v25, off
	ds_load_b64 v[29:30], v24
	v_add_nc_u32_e32 v26, 1, v26
	v_add_nc_u32_e32 v24, 8, v24
	v_add_nc_u32_e32 v25, 8, v25
	s_delay_alu instid0(VALU_DEP_3)
	v_cmp_lt_u32_e32 vcc_lo, 32, v26
	s_or_b32 s2, vcc_lo, s2
	s_waitcnt vmcnt(0) lgkmcnt(0)
	v_fma_f64 v[19:20], v[27:28], v[29:30], v[19:20]
	s_and_not1_b32 exec_lo, exec_lo, s2
	s_cbranch_execnz .LBB56_891
; %bb.892:
	s_or_b32 exec_lo, exec_lo, s2
.LBB56_893:
	s_delay_alu instid0(SALU_CYCLE_1)
	s_or_b32 exec_lo, exec_lo, s1
	v_mov_b32_e32 v24, 0
	ds_load_b64 v[24:25], v24 offset:272
	s_waitcnt lgkmcnt(0)
	v_mul_f64 v[19:20], v[19:20], v[24:25]
	scratch_store_b64 off, v[19:20], off offset:272
.LBB56_894:
	s_or_b32 exec_lo, exec_lo, s0
	scratch_load_b64 v[19:20], off, off offset:280
	s_mov_b32 s0, exec_lo
	s_waitcnt vmcnt(0)
	ds_store_b64 v21, v[19:20]
	s_waitcnt lgkmcnt(0)
	s_waitcnt_vscnt null, 0x0
	s_barrier
	buffer_gl0_inv
	v_cmpx_gt_u32_e32 35, v0
	s_cbranch_execz .LBB56_904
; %bb.895:
	v_cmp_ne_u32_e32 vcc_lo, 1, v23
	s_cbranch_vccnz .LBB56_897
; %bb.896:
	scratch_load_b64 v[19:20], v22, off
	ds_load_b64 v[24:25], v21
	s_waitcnt vmcnt(0) lgkmcnt(0)
	v_mul_f64 v[19:20], v[19:20], v[24:25]
	s_cbranch_execz .LBB56_898
	s_branch .LBB56_899
.LBB56_897:
                                        ; implicit-def: $vgpr19_vgpr20
.LBB56_898:
	ds_load_b64 v[19:20], v21
.LBB56_899:
	s_mov_b32 s1, exec_lo
	v_cmpx_ne_u32_e32 34, v0
	s_cbranch_execz .LBB56_903
; %bb.900:
	v_add_nc_u32_e32 v24, 0x1d8, v149
	v_add3_u32 v25, 0, v149, 8
	v_mov_b32_e32 v26, v0
	s_mov_b32 s2, 0
.LBB56_901:                             ; =>This Inner Loop Header: Depth=1
	scratch_load_b64 v[27:28], v25, off
	ds_load_b64 v[29:30], v24
	v_add_nc_u32_e32 v26, 1, v26
	v_add_nc_u32_e32 v24, 8, v24
	v_add_nc_u32_e32 v25, 8, v25
	s_delay_alu instid0(VALU_DEP_3)
	v_cmp_lt_u32_e32 vcc_lo, 33, v26
	s_or_b32 s2, vcc_lo, s2
	s_waitcnt vmcnt(0) lgkmcnt(0)
	v_fma_f64 v[19:20], v[27:28], v[29:30], v[19:20]
	s_and_not1_b32 exec_lo, exec_lo, s2
	s_cbranch_execnz .LBB56_901
; %bb.902:
	s_or_b32 exec_lo, exec_lo, s2
.LBB56_903:
	s_delay_alu instid0(SALU_CYCLE_1)
	s_or_b32 exec_lo, exec_lo, s1
	v_mov_b32_e32 v24, 0
	ds_load_b64 v[24:25], v24 offset:280
	s_waitcnt lgkmcnt(0)
	v_mul_f64 v[19:20], v[19:20], v[24:25]
	scratch_store_b64 off, v[19:20], off offset:280
.LBB56_904:
	s_or_b32 exec_lo, exec_lo, s0
	scratch_load_b64 v[19:20], off, off offset:288
	s_mov_b32 s0, exec_lo
	s_waitcnt vmcnt(0)
	ds_store_b64 v21, v[19:20]
	s_waitcnt lgkmcnt(0)
	s_waitcnt_vscnt null, 0x0
	s_barrier
	buffer_gl0_inv
	v_cmpx_gt_u32_e32 36, v0
	s_cbranch_execz .LBB56_914
; %bb.905:
	v_cmp_ne_u32_e32 vcc_lo, 1, v23
	s_cbranch_vccnz .LBB56_907
; %bb.906:
	scratch_load_b64 v[19:20], v22, off
	ds_load_b64 v[24:25], v21
	s_waitcnt vmcnt(0) lgkmcnt(0)
	v_mul_f64 v[19:20], v[19:20], v[24:25]
	s_cbranch_execz .LBB56_908
	s_branch .LBB56_909
.LBB56_907:
                                        ; implicit-def: $vgpr19_vgpr20
.LBB56_908:
	ds_load_b64 v[19:20], v21
.LBB56_909:
	s_mov_b32 s1, exec_lo
	v_cmpx_ne_u32_e32 35, v0
	s_cbranch_execz .LBB56_913
; %bb.910:
	v_add_nc_u32_e32 v24, 0x1d8, v149
	v_add3_u32 v25, 0, v149, 8
	v_mov_b32_e32 v26, v0
	s_mov_b32 s2, 0
.LBB56_911:                             ; =>This Inner Loop Header: Depth=1
	scratch_load_b64 v[27:28], v25, off
	ds_load_b64 v[29:30], v24
	v_add_nc_u32_e32 v26, 1, v26
	v_add_nc_u32_e32 v24, 8, v24
	v_add_nc_u32_e32 v25, 8, v25
	s_delay_alu instid0(VALU_DEP_3)
	v_cmp_lt_u32_e32 vcc_lo, 34, v26
	s_or_b32 s2, vcc_lo, s2
	s_waitcnt vmcnt(0) lgkmcnt(0)
	v_fma_f64 v[19:20], v[27:28], v[29:30], v[19:20]
	s_and_not1_b32 exec_lo, exec_lo, s2
	s_cbranch_execnz .LBB56_911
; %bb.912:
	s_or_b32 exec_lo, exec_lo, s2
.LBB56_913:
	s_delay_alu instid0(SALU_CYCLE_1)
	s_or_b32 exec_lo, exec_lo, s1
	v_mov_b32_e32 v24, 0
	ds_load_b64 v[24:25], v24 offset:288
	s_waitcnt lgkmcnt(0)
	v_mul_f64 v[19:20], v[19:20], v[24:25]
	scratch_store_b64 off, v[19:20], off offset:288
.LBB56_914:
	s_or_b32 exec_lo, exec_lo, s0
	scratch_load_b64 v[19:20], off, off offset:296
	s_mov_b32 s0, exec_lo
	s_waitcnt vmcnt(0)
	ds_store_b64 v21, v[19:20]
	s_waitcnt lgkmcnt(0)
	s_waitcnt_vscnt null, 0x0
	s_barrier
	buffer_gl0_inv
	v_cmpx_gt_u32_e32 37, v0
	s_cbranch_execz .LBB56_924
; %bb.915:
	v_cmp_ne_u32_e32 vcc_lo, 1, v23
	s_cbranch_vccnz .LBB56_917
; %bb.916:
	scratch_load_b64 v[19:20], v22, off
	ds_load_b64 v[24:25], v21
	s_waitcnt vmcnt(0) lgkmcnt(0)
	v_mul_f64 v[19:20], v[19:20], v[24:25]
	s_cbranch_execz .LBB56_918
	s_branch .LBB56_919
.LBB56_917:
                                        ; implicit-def: $vgpr19_vgpr20
.LBB56_918:
	ds_load_b64 v[19:20], v21
.LBB56_919:
	s_mov_b32 s1, exec_lo
	v_cmpx_ne_u32_e32 36, v0
	s_cbranch_execz .LBB56_923
; %bb.920:
	v_add_nc_u32_e32 v24, 0x1d8, v149
	v_add3_u32 v25, 0, v149, 8
	v_mov_b32_e32 v26, v0
	s_mov_b32 s2, 0
.LBB56_921:                             ; =>This Inner Loop Header: Depth=1
	scratch_load_b64 v[27:28], v25, off
	ds_load_b64 v[29:30], v24
	v_add_nc_u32_e32 v26, 1, v26
	v_add_nc_u32_e32 v24, 8, v24
	v_add_nc_u32_e32 v25, 8, v25
	s_delay_alu instid0(VALU_DEP_3)
	v_cmp_lt_u32_e32 vcc_lo, 35, v26
	s_or_b32 s2, vcc_lo, s2
	s_waitcnt vmcnt(0) lgkmcnt(0)
	v_fma_f64 v[19:20], v[27:28], v[29:30], v[19:20]
	s_and_not1_b32 exec_lo, exec_lo, s2
	s_cbranch_execnz .LBB56_921
; %bb.922:
	s_or_b32 exec_lo, exec_lo, s2
.LBB56_923:
	s_delay_alu instid0(SALU_CYCLE_1)
	s_or_b32 exec_lo, exec_lo, s1
	v_mov_b32_e32 v24, 0
	ds_load_b64 v[24:25], v24 offset:296
	s_waitcnt lgkmcnt(0)
	v_mul_f64 v[19:20], v[19:20], v[24:25]
	scratch_store_b64 off, v[19:20], off offset:296
.LBB56_924:
	s_or_b32 exec_lo, exec_lo, s0
	scratch_load_b64 v[19:20], off, off offset:304
	s_mov_b32 s0, exec_lo
	s_waitcnt vmcnt(0)
	ds_store_b64 v21, v[19:20]
	s_waitcnt lgkmcnt(0)
	s_waitcnt_vscnt null, 0x0
	s_barrier
	buffer_gl0_inv
	v_cmpx_gt_u32_e32 38, v0
	s_cbranch_execz .LBB56_934
; %bb.925:
	v_cmp_ne_u32_e32 vcc_lo, 1, v23
	s_cbranch_vccnz .LBB56_927
; %bb.926:
	scratch_load_b64 v[19:20], v22, off
	ds_load_b64 v[24:25], v21
	s_waitcnt vmcnt(0) lgkmcnt(0)
	v_mul_f64 v[19:20], v[19:20], v[24:25]
	s_cbranch_execz .LBB56_928
	s_branch .LBB56_929
.LBB56_927:
                                        ; implicit-def: $vgpr19_vgpr20
.LBB56_928:
	ds_load_b64 v[19:20], v21
.LBB56_929:
	s_mov_b32 s1, exec_lo
	v_cmpx_ne_u32_e32 37, v0
	s_cbranch_execz .LBB56_933
; %bb.930:
	v_add_nc_u32_e32 v24, 0x1d8, v149
	v_add3_u32 v25, 0, v149, 8
	v_mov_b32_e32 v26, v0
	s_mov_b32 s2, 0
.LBB56_931:                             ; =>This Inner Loop Header: Depth=1
	scratch_load_b64 v[27:28], v25, off
	ds_load_b64 v[29:30], v24
	v_add_nc_u32_e32 v26, 1, v26
	v_add_nc_u32_e32 v24, 8, v24
	v_add_nc_u32_e32 v25, 8, v25
	s_delay_alu instid0(VALU_DEP_3)
	v_cmp_lt_u32_e32 vcc_lo, 36, v26
	s_or_b32 s2, vcc_lo, s2
	s_waitcnt vmcnt(0) lgkmcnt(0)
	v_fma_f64 v[19:20], v[27:28], v[29:30], v[19:20]
	s_and_not1_b32 exec_lo, exec_lo, s2
	s_cbranch_execnz .LBB56_931
; %bb.932:
	s_or_b32 exec_lo, exec_lo, s2
.LBB56_933:
	s_delay_alu instid0(SALU_CYCLE_1)
	s_or_b32 exec_lo, exec_lo, s1
	v_mov_b32_e32 v24, 0
	ds_load_b64 v[24:25], v24 offset:304
	s_waitcnt lgkmcnt(0)
	v_mul_f64 v[19:20], v[19:20], v[24:25]
	scratch_store_b64 off, v[19:20], off offset:304
.LBB56_934:
	s_or_b32 exec_lo, exec_lo, s0
	scratch_load_b64 v[19:20], off, off offset:312
	s_mov_b32 s0, exec_lo
	s_waitcnt vmcnt(0)
	ds_store_b64 v21, v[19:20]
	s_waitcnt lgkmcnt(0)
	s_waitcnt_vscnt null, 0x0
	s_barrier
	buffer_gl0_inv
	v_cmpx_gt_u32_e32 39, v0
	s_cbranch_execz .LBB56_944
; %bb.935:
	v_cmp_ne_u32_e32 vcc_lo, 1, v23
	s_cbranch_vccnz .LBB56_937
; %bb.936:
	scratch_load_b64 v[19:20], v22, off
	ds_load_b64 v[24:25], v21
	s_waitcnt vmcnt(0) lgkmcnt(0)
	v_mul_f64 v[19:20], v[19:20], v[24:25]
	s_cbranch_execz .LBB56_938
	s_branch .LBB56_939
.LBB56_937:
                                        ; implicit-def: $vgpr19_vgpr20
.LBB56_938:
	ds_load_b64 v[19:20], v21
.LBB56_939:
	s_mov_b32 s1, exec_lo
	v_cmpx_ne_u32_e32 38, v0
	s_cbranch_execz .LBB56_943
; %bb.940:
	v_add_nc_u32_e32 v24, 0x1d8, v149
	v_add3_u32 v25, 0, v149, 8
	v_mov_b32_e32 v26, v0
	s_mov_b32 s2, 0
.LBB56_941:                             ; =>This Inner Loop Header: Depth=1
	scratch_load_b64 v[27:28], v25, off
	ds_load_b64 v[29:30], v24
	v_add_nc_u32_e32 v26, 1, v26
	v_add_nc_u32_e32 v24, 8, v24
	v_add_nc_u32_e32 v25, 8, v25
	s_delay_alu instid0(VALU_DEP_3)
	v_cmp_lt_u32_e32 vcc_lo, 37, v26
	s_or_b32 s2, vcc_lo, s2
	s_waitcnt vmcnt(0) lgkmcnt(0)
	v_fma_f64 v[19:20], v[27:28], v[29:30], v[19:20]
	s_and_not1_b32 exec_lo, exec_lo, s2
	s_cbranch_execnz .LBB56_941
; %bb.942:
	s_or_b32 exec_lo, exec_lo, s2
.LBB56_943:
	s_delay_alu instid0(SALU_CYCLE_1)
	s_or_b32 exec_lo, exec_lo, s1
	v_mov_b32_e32 v24, 0
	ds_load_b64 v[24:25], v24 offset:312
	s_waitcnt lgkmcnt(0)
	v_mul_f64 v[19:20], v[19:20], v[24:25]
	scratch_store_b64 off, v[19:20], off offset:312
.LBB56_944:
	s_or_b32 exec_lo, exec_lo, s0
	scratch_load_b64 v[19:20], off, off offset:320
	s_mov_b32 s0, exec_lo
	s_waitcnt vmcnt(0)
	ds_store_b64 v21, v[19:20]
	s_waitcnt lgkmcnt(0)
	s_waitcnt_vscnt null, 0x0
	s_barrier
	buffer_gl0_inv
	v_cmpx_gt_u32_e32 40, v0
	s_cbranch_execz .LBB56_954
; %bb.945:
	v_cmp_ne_u32_e32 vcc_lo, 1, v23
	s_cbranch_vccnz .LBB56_947
; %bb.946:
	scratch_load_b64 v[19:20], v22, off
	ds_load_b64 v[24:25], v21
	s_waitcnt vmcnt(0) lgkmcnt(0)
	v_mul_f64 v[19:20], v[19:20], v[24:25]
	s_cbranch_execz .LBB56_948
	s_branch .LBB56_949
.LBB56_947:
                                        ; implicit-def: $vgpr19_vgpr20
.LBB56_948:
	ds_load_b64 v[19:20], v21
.LBB56_949:
	s_mov_b32 s1, exec_lo
	v_cmpx_ne_u32_e32 39, v0
	s_cbranch_execz .LBB56_953
; %bb.950:
	v_add_nc_u32_e32 v24, 0x1d8, v149
	v_add3_u32 v25, 0, v149, 8
	v_mov_b32_e32 v26, v0
	s_mov_b32 s2, 0
.LBB56_951:                             ; =>This Inner Loop Header: Depth=1
	scratch_load_b64 v[27:28], v25, off
	ds_load_b64 v[29:30], v24
	v_add_nc_u32_e32 v26, 1, v26
	v_add_nc_u32_e32 v24, 8, v24
	v_add_nc_u32_e32 v25, 8, v25
	s_delay_alu instid0(VALU_DEP_3)
	v_cmp_lt_u32_e32 vcc_lo, 38, v26
	s_or_b32 s2, vcc_lo, s2
	s_waitcnt vmcnt(0) lgkmcnt(0)
	v_fma_f64 v[19:20], v[27:28], v[29:30], v[19:20]
	s_and_not1_b32 exec_lo, exec_lo, s2
	s_cbranch_execnz .LBB56_951
; %bb.952:
	s_or_b32 exec_lo, exec_lo, s2
.LBB56_953:
	s_delay_alu instid0(SALU_CYCLE_1)
	s_or_b32 exec_lo, exec_lo, s1
	v_mov_b32_e32 v24, 0
	ds_load_b64 v[24:25], v24 offset:320
	s_waitcnt lgkmcnt(0)
	v_mul_f64 v[19:20], v[19:20], v[24:25]
	scratch_store_b64 off, v[19:20], off offset:320
.LBB56_954:
	s_or_b32 exec_lo, exec_lo, s0
	scratch_load_b64 v[19:20], off, off offset:328
	s_mov_b32 s0, exec_lo
	s_waitcnt vmcnt(0)
	ds_store_b64 v21, v[19:20]
	s_waitcnt lgkmcnt(0)
	s_waitcnt_vscnt null, 0x0
	s_barrier
	buffer_gl0_inv
	v_cmpx_gt_u32_e32 41, v0
	s_cbranch_execz .LBB56_964
; %bb.955:
	v_cmp_ne_u32_e32 vcc_lo, 1, v23
	s_cbranch_vccnz .LBB56_957
; %bb.956:
	scratch_load_b64 v[19:20], v22, off
	ds_load_b64 v[24:25], v21
	s_waitcnt vmcnt(0) lgkmcnt(0)
	v_mul_f64 v[19:20], v[19:20], v[24:25]
	s_cbranch_execz .LBB56_958
	s_branch .LBB56_959
.LBB56_957:
                                        ; implicit-def: $vgpr19_vgpr20
.LBB56_958:
	ds_load_b64 v[19:20], v21
.LBB56_959:
	s_mov_b32 s1, exec_lo
	v_cmpx_ne_u32_e32 40, v0
	s_cbranch_execz .LBB56_963
; %bb.960:
	v_add_nc_u32_e32 v24, 0x1d8, v149
	v_add3_u32 v25, 0, v149, 8
	v_mov_b32_e32 v26, v0
	s_mov_b32 s2, 0
.LBB56_961:                             ; =>This Inner Loop Header: Depth=1
	scratch_load_b64 v[27:28], v25, off
	ds_load_b64 v[29:30], v24
	v_add_nc_u32_e32 v26, 1, v26
	v_add_nc_u32_e32 v24, 8, v24
	v_add_nc_u32_e32 v25, 8, v25
	s_delay_alu instid0(VALU_DEP_3)
	v_cmp_lt_u32_e32 vcc_lo, 39, v26
	s_or_b32 s2, vcc_lo, s2
	s_waitcnt vmcnt(0) lgkmcnt(0)
	v_fma_f64 v[19:20], v[27:28], v[29:30], v[19:20]
	s_and_not1_b32 exec_lo, exec_lo, s2
	s_cbranch_execnz .LBB56_961
; %bb.962:
	s_or_b32 exec_lo, exec_lo, s2
.LBB56_963:
	s_delay_alu instid0(SALU_CYCLE_1)
	s_or_b32 exec_lo, exec_lo, s1
	v_mov_b32_e32 v24, 0
	ds_load_b64 v[24:25], v24 offset:328
	s_waitcnt lgkmcnt(0)
	v_mul_f64 v[19:20], v[19:20], v[24:25]
	scratch_store_b64 off, v[19:20], off offset:328
.LBB56_964:
	s_or_b32 exec_lo, exec_lo, s0
	scratch_load_b64 v[19:20], off, off offset:336
	s_mov_b32 s0, exec_lo
	s_waitcnt vmcnt(0)
	ds_store_b64 v21, v[19:20]
	s_waitcnt lgkmcnt(0)
	s_waitcnt_vscnt null, 0x0
	s_barrier
	buffer_gl0_inv
	v_cmpx_gt_u32_e32 42, v0
	s_cbranch_execz .LBB56_974
; %bb.965:
	v_cmp_ne_u32_e32 vcc_lo, 1, v23
	s_cbranch_vccnz .LBB56_967
; %bb.966:
	scratch_load_b64 v[19:20], v22, off
	ds_load_b64 v[24:25], v21
	s_waitcnt vmcnt(0) lgkmcnt(0)
	v_mul_f64 v[19:20], v[19:20], v[24:25]
	s_cbranch_execz .LBB56_968
	s_branch .LBB56_969
.LBB56_967:
                                        ; implicit-def: $vgpr19_vgpr20
.LBB56_968:
	ds_load_b64 v[19:20], v21
.LBB56_969:
	s_mov_b32 s1, exec_lo
	v_cmpx_ne_u32_e32 41, v0
	s_cbranch_execz .LBB56_973
; %bb.970:
	v_add_nc_u32_e32 v24, 0x1d8, v149
	v_add3_u32 v25, 0, v149, 8
	v_mov_b32_e32 v26, v0
	s_mov_b32 s2, 0
.LBB56_971:                             ; =>This Inner Loop Header: Depth=1
	scratch_load_b64 v[27:28], v25, off
	ds_load_b64 v[29:30], v24
	v_add_nc_u32_e32 v26, 1, v26
	v_add_nc_u32_e32 v24, 8, v24
	v_add_nc_u32_e32 v25, 8, v25
	s_delay_alu instid0(VALU_DEP_3)
	v_cmp_lt_u32_e32 vcc_lo, 40, v26
	s_or_b32 s2, vcc_lo, s2
	s_waitcnt vmcnt(0) lgkmcnt(0)
	v_fma_f64 v[19:20], v[27:28], v[29:30], v[19:20]
	s_and_not1_b32 exec_lo, exec_lo, s2
	s_cbranch_execnz .LBB56_971
; %bb.972:
	s_or_b32 exec_lo, exec_lo, s2
.LBB56_973:
	s_delay_alu instid0(SALU_CYCLE_1)
	s_or_b32 exec_lo, exec_lo, s1
	v_mov_b32_e32 v24, 0
	ds_load_b64 v[24:25], v24 offset:336
	s_waitcnt lgkmcnt(0)
	v_mul_f64 v[19:20], v[19:20], v[24:25]
	scratch_store_b64 off, v[19:20], off offset:336
.LBB56_974:
	s_or_b32 exec_lo, exec_lo, s0
	scratch_load_b64 v[19:20], off, off offset:344
	s_mov_b32 s0, exec_lo
	s_waitcnt vmcnt(0)
	ds_store_b64 v21, v[19:20]
	s_waitcnt lgkmcnt(0)
	s_waitcnt_vscnt null, 0x0
	s_barrier
	buffer_gl0_inv
	v_cmpx_gt_u32_e32 43, v0
	s_cbranch_execz .LBB56_984
; %bb.975:
	v_cmp_ne_u32_e32 vcc_lo, 1, v23
	s_cbranch_vccnz .LBB56_977
; %bb.976:
	scratch_load_b64 v[19:20], v22, off
	ds_load_b64 v[24:25], v21
	s_waitcnt vmcnt(0) lgkmcnt(0)
	v_mul_f64 v[19:20], v[19:20], v[24:25]
	s_cbranch_execz .LBB56_978
	s_branch .LBB56_979
.LBB56_977:
                                        ; implicit-def: $vgpr19_vgpr20
.LBB56_978:
	ds_load_b64 v[19:20], v21
.LBB56_979:
	s_mov_b32 s1, exec_lo
	v_cmpx_ne_u32_e32 42, v0
	s_cbranch_execz .LBB56_983
; %bb.980:
	v_add_nc_u32_e32 v24, 0x1d8, v149
	v_add3_u32 v25, 0, v149, 8
	v_mov_b32_e32 v26, v0
	s_mov_b32 s2, 0
.LBB56_981:                             ; =>This Inner Loop Header: Depth=1
	scratch_load_b64 v[27:28], v25, off
	ds_load_b64 v[29:30], v24
	v_add_nc_u32_e32 v26, 1, v26
	v_add_nc_u32_e32 v24, 8, v24
	v_add_nc_u32_e32 v25, 8, v25
	s_delay_alu instid0(VALU_DEP_3)
	v_cmp_lt_u32_e32 vcc_lo, 41, v26
	s_or_b32 s2, vcc_lo, s2
	s_waitcnt vmcnt(0) lgkmcnt(0)
	v_fma_f64 v[19:20], v[27:28], v[29:30], v[19:20]
	s_and_not1_b32 exec_lo, exec_lo, s2
	s_cbranch_execnz .LBB56_981
; %bb.982:
	s_or_b32 exec_lo, exec_lo, s2
.LBB56_983:
	s_delay_alu instid0(SALU_CYCLE_1)
	s_or_b32 exec_lo, exec_lo, s1
	v_mov_b32_e32 v24, 0
	ds_load_b64 v[24:25], v24 offset:344
	s_waitcnt lgkmcnt(0)
	v_mul_f64 v[19:20], v[19:20], v[24:25]
	scratch_store_b64 off, v[19:20], off offset:344
.LBB56_984:
	s_or_b32 exec_lo, exec_lo, s0
	scratch_load_b64 v[19:20], off, off offset:352
	s_mov_b32 s0, exec_lo
	s_waitcnt vmcnt(0)
	ds_store_b64 v21, v[19:20]
	s_waitcnt lgkmcnt(0)
	s_waitcnt_vscnt null, 0x0
	s_barrier
	buffer_gl0_inv
	v_cmpx_gt_u32_e32 44, v0
	s_cbranch_execz .LBB56_994
; %bb.985:
	v_cmp_ne_u32_e32 vcc_lo, 1, v23
	s_cbranch_vccnz .LBB56_987
; %bb.986:
	scratch_load_b64 v[19:20], v22, off
	ds_load_b64 v[24:25], v21
	s_waitcnt vmcnt(0) lgkmcnt(0)
	v_mul_f64 v[19:20], v[19:20], v[24:25]
	s_cbranch_execz .LBB56_988
	s_branch .LBB56_989
.LBB56_987:
                                        ; implicit-def: $vgpr19_vgpr20
.LBB56_988:
	ds_load_b64 v[19:20], v21
.LBB56_989:
	s_mov_b32 s1, exec_lo
	v_cmpx_ne_u32_e32 43, v0
	s_cbranch_execz .LBB56_993
; %bb.990:
	v_add_nc_u32_e32 v24, 0x1d8, v149
	v_add3_u32 v25, 0, v149, 8
	v_mov_b32_e32 v26, v0
	s_mov_b32 s2, 0
.LBB56_991:                             ; =>This Inner Loop Header: Depth=1
	scratch_load_b64 v[27:28], v25, off
	ds_load_b64 v[29:30], v24
	v_add_nc_u32_e32 v26, 1, v26
	v_add_nc_u32_e32 v24, 8, v24
	v_add_nc_u32_e32 v25, 8, v25
	s_delay_alu instid0(VALU_DEP_3)
	v_cmp_lt_u32_e32 vcc_lo, 42, v26
	s_or_b32 s2, vcc_lo, s2
	s_waitcnt vmcnt(0) lgkmcnt(0)
	v_fma_f64 v[19:20], v[27:28], v[29:30], v[19:20]
	s_and_not1_b32 exec_lo, exec_lo, s2
	s_cbranch_execnz .LBB56_991
; %bb.992:
	s_or_b32 exec_lo, exec_lo, s2
.LBB56_993:
	s_delay_alu instid0(SALU_CYCLE_1)
	s_or_b32 exec_lo, exec_lo, s1
	v_mov_b32_e32 v24, 0
	ds_load_b64 v[24:25], v24 offset:352
	s_waitcnt lgkmcnt(0)
	v_mul_f64 v[19:20], v[19:20], v[24:25]
	scratch_store_b64 off, v[19:20], off offset:352
.LBB56_994:
	s_or_b32 exec_lo, exec_lo, s0
	scratch_load_b64 v[19:20], off, off offset:360
	s_mov_b32 s0, exec_lo
	s_waitcnt vmcnt(0)
	ds_store_b64 v21, v[19:20]
	s_waitcnt lgkmcnt(0)
	s_waitcnt_vscnt null, 0x0
	s_barrier
	buffer_gl0_inv
	v_cmpx_gt_u32_e32 45, v0
	s_cbranch_execz .LBB56_1004
; %bb.995:
	v_cmp_ne_u32_e32 vcc_lo, 1, v23
	s_cbranch_vccnz .LBB56_997
; %bb.996:
	scratch_load_b64 v[19:20], v22, off
	ds_load_b64 v[24:25], v21
	s_waitcnt vmcnt(0) lgkmcnt(0)
	v_mul_f64 v[19:20], v[19:20], v[24:25]
	s_cbranch_execz .LBB56_998
	s_branch .LBB56_999
.LBB56_997:
                                        ; implicit-def: $vgpr19_vgpr20
.LBB56_998:
	ds_load_b64 v[19:20], v21
.LBB56_999:
	s_mov_b32 s1, exec_lo
	v_cmpx_ne_u32_e32 44, v0
	s_cbranch_execz .LBB56_1003
; %bb.1000:
	v_add_nc_u32_e32 v24, 0x1d8, v149
	v_add3_u32 v25, 0, v149, 8
	v_mov_b32_e32 v26, v0
	s_mov_b32 s2, 0
.LBB56_1001:                            ; =>This Inner Loop Header: Depth=1
	scratch_load_b64 v[27:28], v25, off
	ds_load_b64 v[29:30], v24
	v_add_nc_u32_e32 v26, 1, v26
	v_add_nc_u32_e32 v24, 8, v24
	v_add_nc_u32_e32 v25, 8, v25
	s_delay_alu instid0(VALU_DEP_3)
	v_cmp_lt_u32_e32 vcc_lo, 43, v26
	s_or_b32 s2, vcc_lo, s2
	s_waitcnt vmcnt(0) lgkmcnt(0)
	v_fma_f64 v[19:20], v[27:28], v[29:30], v[19:20]
	s_and_not1_b32 exec_lo, exec_lo, s2
	s_cbranch_execnz .LBB56_1001
; %bb.1002:
	s_or_b32 exec_lo, exec_lo, s2
.LBB56_1003:
	s_delay_alu instid0(SALU_CYCLE_1)
	s_or_b32 exec_lo, exec_lo, s1
	v_mov_b32_e32 v24, 0
	ds_load_b64 v[24:25], v24 offset:360
	s_waitcnt lgkmcnt(0)
	v_mul_f64 v[19:20], v[19:20], v[24:25]
	scratch_store_b64 off, v[19:20], off offset:360
.LBB56_1004:
	s_or_b32 exec_lo, exec_lo, s0
	scratch_load_b64 v[19:20], off, off offset:368
	s_mov_b32 s0, exec_lo
	s_waitcnt vmcnt(0)
	ds_store_b64 v21, v[19:20]
	s_waitcnt lgkmcnt(0)
	s_waitcnt_vscnt null, 0x0
	s_barrier
	buffer_gl0_inv
	v_cmpx_gt_u32_e32 46, v0
	s_cbranch_execz .LBB56_1014
; %bb.1005:
	v_cmp_ne_u32_e32 vcc_lo, 1, v23
	s_cbranch_vccnz .LBB56_1007
; %bb.1006:
	scratch_load_b64 v[19:20], v22, off
	ds_load_b64 v[24:25], v21
	s_waitcnt vmcnt(0) lgkmcnt(0)
	v_mul_f64 v[19:20], v[19:20], v[24:25]
	s_cbranch_execz .LBB56_1008
	s_branch .LBB56_1009
.LBB56_1007:
                                        ; implicit-def: $vgpr19_vgpr20
.LBB56_1008:
	ds_load_b64 v[19:20], v21
.LBB56_1009:
	s_mov_b32 s1, exec_lo
	v_cmpx_ne_u32_e32 45, v0
	s_cbranch_execz .LBB56_1013
; %bb.1010:
	v_add_nc_u32_e32 v24, 0x1d8, v149
	v_add3_u32 v25, 0, v149, 8
	v_mov_b32_e32 v26, v0
	s_mov_b32 s2, 0
.LBB56_1011:                            ; =>This Inner Loop Header: Depth=1
	scratch_load_b64 v[27:28], v25, off
	ds_load_b64 v[29:30], v24
	v_add_nc_u32_e32 v26, 1, v26
	v_add_nc_u32_e32 v24, 8, v24
	v_add_nc_u32_e32 v25, 8, v25
	s_delay_alu instid0(VALU_DEP_3)
	v_cmp_lt_u32_e32 vcc_lo, 44, v26
	s_or_b32 s2, vcc_lo, s2
	s_waitcnt vmcnt(0) lgkmcnt(0)
	v_fma_f64 v[19:20], v[27:28], v[29:30], v[19:20]
	s_and_not1_b32 exec_lo, exec_lo, s2
	s_cbranch_execnz .LBB56_1011
; %bb.1012:
	s_or_b32 exec_lo, exec_lo, s2
.LBB56_1013:
	s_delay_alu instid0(SALU_CYCLE_1)
	s_or_b32 exec_lo, exec_lo, s1
	v_mov_b32_e32 v24, 0
	ds_load_b64 v[24:25], v24 offset:368
	s_waitcnt lgkmcnt(0)
	v_mul_f64 v[19:20], v[19:20], v[24:25]
	scratch_store_b64 off, v[19:20], off offset:368
.LBB56_1014:
	;; [unrolled: 58-line block ×10, first 2 shown]
	s_or_b32 exec_lo, exec_lo, s0
	scratch_load_b64 v[19:20], off, off offset:440
	v_cmp_gt_u32_e64 s0, 55, v0
	s_waitcnt vmcnt(0)
	ds_store_b64 v21, v[19:20]
	s_waitcnt lgkmcnt(0)
	s_waitcnt_vscnt null, 0x0
	s_barrier
	buffer_gl0_inv
	s_and_saveexec_b32 s1, s0
	s_cbranch_execz .LBB56_1104
; %bb.1095:
	v_cmp_ne_u32_e32 vcc_lo, 1, v23
	s_cbranch_vccnz .LBB56_1097
; %bb.1096:
	scratch_load_b64 v[19:20], v22, off
	ds_load_b64 v[24:25], v21
	s_waitcnt vmcnt(0) lgkmcnt(0)
	v_mul_f64 v[19:20], v[19:20], v[24:25]
	s_cbranch_execz .LBB56_1098
	s_branch .LBB56_1099
.LBB56_1097:
                                        ; implicit-def: $vgpr19_vgpr20
.LBB56_1098:
	ds_load_b64 v[19:20], v21
.LBB56_1099:
	s_mov_b32 s2, exec_lo
	v_cmpx_ne_u32_e32 54, v0
	s_cbranch_execz .LBB56_1103
; %bb.1100:
	v_add_nc_u32_e32 v24, 0x1d8, v149
	v_add3_u32 v25, 0, v149, 8
	v_mov_b32_e32 v26, v0
	s_mov_b32 s3, 0
.LBB56_1101:                            ; =>This Inner Loop Header: Depth=1
	scratch_load_b64 v[27:28], v25, off
	ds_load_b64 v[29:30], v24
	v_add_nc_u32_e32 v26, 1, v26
	v_add_nc_u32_e32 v24, 8, v24
	;; [unrolled: 1-line block ×3, first 2 shown]
	s_delay_alu instid0(VALU_DEP_3)
	v_cmp_lt_u32_e32 vcc_lo, 53, v26
	s_or_b32 s3, vcc_lo, s3
	s_waitcnt vmcnt(0) lgkmcnt(0)
	v_fma_f64 v[19:20], v[27:28], v[29:30], v[19:20]
	s_and_not1_b32 exec_lo, exec_lo, s3
	s_cbranch_execnz .LBB56_1101
; %bb.1102:
	s_or_b32 exec_lo, exec_lo, s3
.LBB56_1103:
	s_delay_alu instid0(SALU_CYCLE_1)
	s_or_b32 exec_lo, exec_lo, s2
	v_mov_b32_e32 v24, 0
	ds_load_b64 v[24:25], v24 offset:440
	s_waitcnt lgkmcnt(0)
	v_mul_f64 v[19:20], v[19:20], v[24:25]
	scratch_store_b64 off, v[19:20], off offset:440
.LBB56_1104:
	s_or_b32 exec_lo, exec_lo, s1
	scratch_load_b64 v[19:20], off, off offset:448
	s_mov_b32 s1, exec_lo
	s_waitcnt vmcnt(0)
	ds_store_b64 v21, v[19:20]
	s_waitcnt lgkmcnt(0)
	s_waitcnt_vscnt null, 0x0
	s_barrier
	buffer_gl0_inv
	v_cmpx_ne_u32_e32 56, v0
	s_cbranch_execz .LBB56_1114
; %bb.1105:
	v_cmp_ne_u32_e32 vcc_lo, 1, v23
	s_cbranch_vccnz .LBB56_1107
; %bb.1106:
	scratch_load_b64 v[19:20], v22, off
	ds_load_b64 v[22:23], v21
	s_waitcnt vmcnt(0) lgkmcnt(0)
	v_mul_f64 v[19:20], v[19:20], v[22:23]
	s_cbranch_execz .LBB56_1108
	s_branch .LBB56_1109
.LBB56_1107:
                                        ; implicit-def: $vgpr19_vgpr20
.LBB56_1108:
	ds_load_b64 v[19:20], v21
.LBB56_1109:
	s_and_saveexec_b32 s2, s0
	s_cbranch_execz .LBB56_1113
; %bb.1110:
	v_add_nc_u32_e32 v21, 0x1d8, v149
	v_add3_u32 v22, 0, v149, 8
	s_mov_b32 s0, 0
.LBB56_1111:                            ; =>This Inner Loop Header: Depth=1
	scratch_load_b64 v[23:24], v22, off
	ds_load_b64 v[25:26], v21
	v_add_nc_u32_e32 v0, 1, v0
	v_add_nc_u32_e32 v21, 8, v21
	;; [unrolled: 1-line block ×3, first 2 shown]
	s_delay_alu instid0(VALU_DEP_3)
	v_cmp_lt_u32_e32 vcc_lo, 54, v0
	s_or_b32 s0, vcc_lo, s0
	s_waitcnt vmcnt(0) lgkmcnt(0)
	v_fma_f64 v[19:20], v[23:24], v[25:26], v[19:20]
	s_and_not1_b32 exec_lo, exec_lo, s0
	s_cbranch_execnz .LBB56_1111
; %bb.1112:
	s_or_b32 exec_lo, exec_lo, s0
.LBB56_1113:
	s_delay_alu instid0(SALU_CYCLE_1)
	s_or_b32 exec_lo, exec_lo, s2
	v_mov_b32_e32 v0, 0
	ds_load_b64 v[21:22], v0 offset:448
	s_waitcnt lgkmcnt(0)
	v_mul_f64 v[19:20], v[19:20], v[21:22]
	scratch_store_b64 off, v[19:20], off offset:448
.LBB56_1114:
	s_or_b32 exec_lo, exec_lo, s1
.LBB56_1115:
	s_clause 0xc
	scratch_load_b128 v[19:22], off, off
	scratch_load_b128 v[23:26], off, off offset:16
	scratch_load_b128 v[27:30], off, off offset:32
	;; [unrolled: 1-line block ×12, first 2 shown]
	s_waitcnt vmcnt(12)
	s_clause 0x1
	global_store_b64 v[59:60], v[19:20], off
	global_store_b64 v[57:58], v[21:22], off
	scratch_load_b128 v[19:22], off, off offset:208
	s_waitcnt vmcnt(12)
	s_clause 0x1
	global_store_b64 v[53:54], v[23:24], off
	global_store_b64 v[55:56], v[25:26], off
	s_waitcnt vmcnt(11)
	s_clause 0x1
	global_store_b64 v[61:62], v[27:28], off
	global_store_b64 v[67:68], v[29:30], off
	;; [unrolled: 4-line block ×7, first 2 shown]
	s_clause 0xe
	scratch_load_b128 v[51:54], off, off offset:224
	scratch_load_b128 v[23:26], off, off offset:240
	;; [unrolled: 1-line block ×14, first 2 shown]
	scratch_load_b64 v[63:64], off, off offset:448
	s_waitcnt vmcnt(20)
	s_clause 0x1
	global_store_b64 v[83:84], v[149:150], off
	global_store_b64 v[87:88], v[151:152], off
	s_waitcnt vmcnt(19)
	s_clause 0x1
	global_store_b64 v[89:90], v[153:154], off
	global_store_b64 v[91:92], v[155:156], off
	;; [unrolled: 4-line block ×20, first 2 shown]
	s_waitcnt vmcnt(0)
	global_store_b64 v[17:18], v[63:64], off
.LBB56_1116:
	s_endpgm
	.section	.rodata,"a",@progbits
	.p2align	6, 0x0
	.amdhsa_kernel _ZN9rocsolver6v33100L18trti2_kernel_smallILi57EdPdEEv13rocblas_fill_17rocblas_diagonal_T1_iil
		.amdhsa_group_segment_fixed_size 920
		.amdhsa_private_segment_fixed_size 464
		.amdhsa_kernarg_size 32
		.amdhsa_user_sgpr_count 15
		.amdhsa_user_sgpr_dispatch_ptr 0
		.amdhsa_user_sgpr_queue_ptr 0
		.amdhsa_user_sgpr_kernarg_segment_ptr 1
		.amdhsa_user_sgpr_dispatch_id 0
		.amdhsa_user_sgpr_private_segment_size 0
		.amdhsa_wavefront_size32 1
		.amdhsa_uses_dynamic_stack 0
		.amdhsa_enable_private_segment 1
		.amdhsa_system_sgpr_workgroup_id_x 1
		.amdhsa_system_sgpr_workgroup_id_y 0
		.amdhsa_system_sgpr_workgroup_id_z 0
		.amdhsa_system_sgpr_workgroup_info 0
		.amdhsa_system_vgpr_workitem_id 0
		.amdhsa_next_free_vgpr 169
		.amdhsa_next_free_sgpr 26
		.amdhsa_reserve_vcc 1
		.amdhsa_float_round_mode_32 0
		.amdhsa_float_round_mode_16_64 0
		.amdhsa_float_denorm_mode_32 3
		.amdhsa_float_denorm_mode_16_64 3
		.amdhsa_dx10_clamp 1
		.amdhsa_ieee_mode 1
		.amdhsa_fp16_overflow 0
		.amdhsa_workgroup_processor_mode 1
		.amdhsa_memory_ordered 1
		.amdhsa_forward_progress 0
		.amdhsa_shared_vgpr_count 0
		.amdhsa_exception_fp_ieee_invalid_op 0
		.amdhsa_exception_fp_denorm_src 0
		.amdhsa_exception_fp_ieee_div_zero 0
		.amdhsa_exception_fp_ieee_overflow 0
		.amdhsa_exception_fp_ieee_underflow 0
		.amdhsa_exception_fp_ieee_inexact 0
		.amdhsa_exception_int_div_zero 0
	.end_amdhsa_kernel
	.section	.text._ZN9rocsolver6v33100L18trti2_kernel_smallILi57EdPdEEv13rocblas_fill_17rocblas_diagonal_T1_iil,"axG",@progbits,_ZN9rocsolver6v33100L18trti2_kernel_smallILi57EdPdEEv13rocblas_fill_17rocblas_diagonal_T1_iil,comdat
.Lfunc_end56:
	.size	_ZN9rocsolver6v33100L18trti2_kernel_smallILi57EdPdEEv13rocblas_fill_17rocblas_diagonal_T1_iil, .Lfunc_end56-_ZN9rocsolver6v33100L18trti2_kernel_smallILi57EdPdEEv13rocblas_fill_17rocblas_diagonal_T1_iil
                                        ; -- End function
	.section	.AMDGPU.csdata,"",@progbits
; Kernel info:
; codeLenInByte = 31252
; NumSgprs: 28
; NumVgprs: 169
; ScratchSize: 464
; MemoryBound: 0
; FloatMode: 240
; IeeeMode: 1
; LDSByteSize: 920 bytes/workgroup (compile time only)
; SGPRBlocks: 3
; VGPRBlocks: 21
; NumSGPRsForWavesPerEU: 28
; NumVGPRsForWavesPerEU: 169
; Occupancy: 8
; WaveLimiterHint : 0
; COMPUTE_PGM_RSRC2:SCRATCH_EN: 1
; COMPUTE_PGM_RSRC2:USER_SGPR: 15
; COMPUTE_PGM_RSRC2:TRAP_HANDLER: 0
; COMPUTE_PGM_RSRC2:TGID_X_EN: 1
; COMPUTE_PGM_RSRC2:TGID_Y_EN: 0
; COMPUTE_PGM_RSRC2:TGID_Z_EN: 0
; COMPUTE_PGM_RSRC2:TIDIG_COMP_CNT: 0
	.section	.text._ZN9rocsolver6v33100L18trti2_kernel_smallILi58EdPdEEv13rocblas_fill_17rocblas_diagonal_T1_iil,"axG",@progbits,_ZN9rocsolver6v33100L18trti2_kernel_smallILi58EdPdEEv13rocblas_fill_17rocblas_diagonal_T1_iil,comdat
	.globl	_ZN9rocsolver6v33100L18trti2_kernel_smallILi58EdPdEEv13rocblas_fill_17rocblas_diagonal_T1_iil ; -- Begin function _ZN9rocsolver6v33100L18trti2_kernel_smallILi58EdPdEEv13rocblas_fill_17rocblas_diagonal_T1_iil
	.p2align	8
	.type	_ZN9rocsolver6v33100L18trti2_kernel_smallILi58EdPdEEv13rocblas_fill_17rocblas_diagonal_T1_iil,@function
_ZN9rocsolver6v33100L18trti2_kernel_smallILi58EdPdEEv13rocblas_fill_17rocblas_diagonal_T1_iil: ; @_ZN9rocsolver6v33100L18trti2_kernel_smallILi58EdPdEEv13rocblas_fill_17rocblas_diagonal_T1_iil
; %bb.0:
	s_mov_b32 s2, exec_lo
	v_cmpx_gt_u32_e32 58, v0
	s_cbranch_execz .LBB57_1136
; %bb.1:
	s_load_b256 s[0:7], s[0:1], 0x0
	s_ashr_i32 s8, s15, 31
	v_lshlrev_b32_e32 v119, 3, v0
	s_waitcnt lgkmcnt(0)
	s_mul_i32 s7, s15, s7
	s_mul_hi_u32 s10, s15, s6
	v_add3_u32 v1, s5, s5, v0
	s_ashr_i32 s9, s4, 31
	s_mul_i32 s11, s8, s6
	s_mov_b32 s8, s4
	s_add_i32 s4, s10, s7
	s_mul_i32 s6, s15, s6
	s_add_i32 s7, s4, s11
	v_add_nc_u32_e32 v3, s5, v1
	s_lshl_b64 s[6:7], s[6:7], 3
	v_ashrrev_i32_e32 v2, 31, v1
	s_add_u32 s4, s2, s6
	s_addc_u32 s6, s3, s7
	s_lshl_b64 s[2:3], s[8:9], 3
	v_add_nc_u32_e32 v5, s5, v3
	s_add_u32 s2, s4, s2
	s_addc_u32 s3, s6, s3
	v_add_co_u32 v35, s4, s2, v119
	s_mov_b32 s10, s5
	s_ashr_i32 s11, s5, 31
	v_ashrrev_i32_e32 v4, 31, v3
	v_lshlrev_b64 v[1:2], 3, v[1:2]
	v_add_co_ci_u32_e64 v36, null, s3, 0, s4
	s_lshl_b64 s[6:7], s[10:11], 3
	v_add_nc_u32_e32 v7, s5, v5
	v_add_co_u32 v37, vcc_lo, v35, s6
	s_delay_alu instid0(VALU_DEP_3)
	v_add_co_ci_u32_e32 v38, vcc_lo, s7, v36, vcc_lo
	v_lshlrev_b64 v[3:4], 3, v[3:4]
	v_ashrrev_i32_e32 v6, 31, v5
	v_add_co_u32 v23, vcc_lo, s2, v1
	v_add_nc_u32_e32 v1, s5, v7
	v_add_co_ci_u32_e32 v24, vcc_lo, s3, v2, vcc_lo
	s_delay_alu instid0(VALU_DEP_4) | instskip(SKIP_4) | instid1(VALU_DEP_4)
	v_lshlrev_b64 v[5:6], 3, v[5:6]
	v_ashrrev_i32_e32 v8, 31, v7
	v_add_co_u32 v33, vcc_lo, s2, v3
	v_add_nc_u32_e32 v3, s5, v1
	v_add_co_ci_u32_e32 v34, vcc_lo, s3, v4, vcc_lo
	v_lshlrev_b64 v[7:8], 3, v[7:8]
	v_ashrrev_i32_e32 v2, 31, v1
	v_add_co_u32 v21, vcc_lo, s2, v5
	v_add_nc_u32_e32 v5, s5, v3
	v_add_co_ci_u32_e32 v22, vcc_lo, s3, v6, vcc_lo
	s_delay_alu instid0(VALU_DEP_4)
	v_lshlrev_b64 v[1:2], 3, v[1:2]
	v_ashrrev_i32_e32 v4, 31, v3
	v_add_co_u32 v25, vcc_lo, s2, v7
	v_add_nc_u32_e32 v7, s5, v5
	s_clause 0x1
	global_load_b64 v[47:48], v119, s[2:3]
	global_load_b64 v[49:50], v[37:38], off
	v_add_co_ci_u32_e32 v26, vcc_lo, s3, v8, vcc_lo
	v_lshlrev_b64 v[3:4], 3, v[3:4]
	v_ashrrev_i32_e32 v6, 31, v5
	v_add_co_u32 v17, vcc_lo, s2, v1
	v_add_nc_u32_e32 v1, s5, v7
	v_add_co_ci_u32_e32 v18, vcc_lo, s3, v2, vcc_lo
	s_delay_alu instid0(VALU_DEP_4) | instskip(SKIP_4) | instid1(VALU_DEP_4)
	v_lshlrev_b64 v[5:6], 3, v[5:6]
	v_ashrrev_i32_e32 v8, 31, v7
	v_add_co_u32 v27, vcc_lo, s2, v3
	v_add_nc_u32_e32 v3, s5, v1
	v_add_co_ci_u32_e32 v28, vcc_lo, s3, v4, vcc_lo
	v_lshlrev_b64 v[7:8], 3, v[7:8]
	v_ashrrev_i32_e32 v2, 31, v1
	s_clause 0x2
	global_load_b64 v[55:56], v[23:24], off
	global_load_b64 v[57:58], v[33:34], off
	;; [unrolled: 1-line block ×3, first 2 shown]
	v_add_co_u32 v11, vcc_lo, s2, v5
	v_add_nc_u32_e32 v5, s5, v3
	global_load_b64 v[61:62], v[25:26], off
	v_ashrrev_i32_e32 v4, 31, v3
	v_add_co_ci_u32_e32 v12, vcc_lo, s3, v6, vcc_lo
	v_lshlrev_b64 v[1:2], 3, v[1:2]
	v_add_co_u32 v13, vcc_lo, s2, v7
	v_add_nc_u32_e32 v7, s5, v5
	v_add_co_ci_u32_e32 v14, vcc_lo, s3, v8, vcc_lo
	v_lshlrev_b64 v[3:4], 3, v[3:4]
	v_ashrrev_i32_e32 v6, 31, v5
	s_clause 0x3
	global_load_b64 v[63:64], v[17:18], off
	global_load_b64 v[65:66], v[27:28], off
	global_load_b64 v[67:68], v[11:12], off
	global_load_b64 v[69:70], v[13:14], off
	v_add_co_u32 v9, vcc_lo, s2, v1
	v_ashrrev_i32_e32 v8, 31, v7
	v_add_co_ci_u32_e32 v10, vcc_lo, s3, v2, vcc_lo
	v_add_nc_u32_e32 v15, s5, v7
	v_lshlrev_b64 v[1:2], 3, v[5:6]
	v_add_co_u32 v19, vcc_lo, s2, v3
	v_add_co_ci_u32_e32 v20, vcc_lo, s3, v4, vcc_lo
	v_lshlrev_b64 v[3:4], 3, v[7:8]
	v_add_nc_u32_e32 v5, s5, v15
	v_add_co_u32 v1, vcc_lo, s2, v1
	v_ashrrev_i32_e32 v16, 31, v15
	v_add_co_ci_u32_e32 v2, vcc_lo, s3, v2, vcc_lo
	v_add_co_u32 v3, vcc_lo, s2, v3
	v_ashrrev_i32_e32 v6, 31, v5
	v_add_co_ci_u32_e32 v4, vcc_lo, s3, v4, vcc_lo
	v_lshlrev_b64 v[7:8], 3, v[15:16]
	s_clause 0x3
	global_load_b64 v[71:72], v[9:10], off
	global_load_b64 v[73:74], v[19:20], off
	;; [unrolled: 1-line block ×4, first 2 shown]
	v_lshlrev_b64 v[15:16], 3, v[5:6]
	v_add_nc_u32_e32 v29, s5, v5
	s_cmpk_lg_i32 s1, 0x84
	v_add_co_u32 v5, vcc_lo, s2, v7
	v_add_co_ci_u32_e32 v6, vcc_lo, s3, v8, vcc_lo
	s_delay_alu instid0(VALU_DEP_4)
	v_add_co_u32 v7, vcc_lo, s2, v15
	v_add_co_ci_u32_e32 v8, vcc_lo, s3, v16, vcc_lo
	s_clause 0x1
	global_load_b64 v[79:80], v[5:6], off
	global_load_b64 v[81:82], v[7:8], off
	v_add_nc_u32_e32 v31, s5, v29
	v_ashrrev_i32_e32 v30, 31, v29
	s_delay_alu instid0(VALU_DEP_2) | instskip(SKIP_1) | instid1(VALU_DEP_3)
	v_add_nc_u32_e32 v39, s5, v31
	v_ashrrev_i32_e32 v32, 31, v31
	v_lshlrev_b64 v[29:30], 3, v[29:30]
	s_delay_alu instid0(VALU_DEP_3) | instskip(SKIP_1) | instid1(VALU_DEP_4)
	v_add_nc_u32_e32 v41, s5, v39
	v_ashrrev_i32_e32 v40, 31, v39
	v_lshlrev_b64 v[31:32], 3, v[31:32]
	s_delay_alu instid0(VALU_DEP_4) | instskip(NEXT) | instid1(VALU_DEP_4)
	v_add_co_u32 v29, vcc_lo, s2, v29
	v_add_nc_u32_e32 v43, s5, v41
	v_ashrrev_i32_e32 v42, 31, v41
	v_lshlrev_b64 v[85:86], 3, v[39:40]
	v_add_co_ci_u32_e32 v30, vcc_lo, s3, v30, vcc_lo
	s_delay_alu instid0(VALU_DEP_4) | instskip(SKIP_3) | instid1(VALU_DEP_4)
	v_add_nc_u32_e32 v45, s5, v43
	v_ashrrev_i32_e32 v44, 31, v43
	v_add_co_u32 v39, vcc_lo, s2, v31
	v_lshlrev_b64 v[41:42], 3, v[41:42]
	v_add_nc_u32_e32 v15, s5, v45
	v_add_co_ci_u32_e32 v40, vcc_lo, s3, v32, vcc_lo
	v_add_co_u32 v31, vcc_lo, s2, v85
	s_delay_alu instid0(VALU_DEP_3) | instskip(SKIP_3) | instid1(VALU_DEP_4)
	v_add_nc_u32_e32 v51, s5, v15
	v_lshlrev_b64 v[43:44], 3, v[43:44]
	v_ashrrev_i32_e32 v46, 31, v45
	v_add_co_ci_u32_e32 v32, vcc_lo, s3, v86, vcc_lo
	v_add_nc_u32_e32 v53, s5, v51
	v_add_co_u32 v41, vcc_lo, s2, v41
	v_ashrrev_i32_e32 v16, 31, v15
	v_add_co_ci_u32_e32 v42, vcc_lo, s3, v42, vcc_lo
	s_delay_alu instid0(VALU_DEP_4) | instskip(SKIP_3) | instid1(VALU_DEP_4)
	v_add_nc_u32_e32 v95, s5, v53
	v_lshlrev_b64 v[45:46], 3, v[45:46]
	v_add_co_u32 v43, vcc_lo, s2, v43
	v_ashrrev_i32_e32 v52, 31, v51
	v_add_nc_u32_e32 v97, s5, v95
	v_add_co_ci_u32_e32 v44, vcc_lo, s3, v44, vcc_lo
	s_clause 0x1
	global_load_b64 v[83:84], v[29:30], off
	global_load_b64 v[85:86], v[39:40], off
	v_add_nc_u32_e32 v103, s5, v97
	v_lshlrev_b64 v[98:99], 3, v[15:16]
	v_ashrrev_i32_e32 v54, 31, v53
	v_ashrrev_i32_e32 v96, 31, v95
	s_delay_alu instid0(VALU_DEP_4) | instskip(SKIP_1) | instid1(VALU_DEP_2)
	v_add_nc_u32_e32 v105, s5, v103
	v_ashrrev_i32_e32 v104, 31, v103
	v_add_nc_u32_e32 v107, s5, v105
	v_ashrrev_i32_e32 v106, 31, v105
	s_delay_alu instid0(VALU_DEP_2) | instskip(NEXT) | instid1(VALU_DEP_1)
	v_add_nc_u32_e32 v111, s5, v107
	v_add_nc_u32_e32 v113, s5, v111
	v_ashrrev_i32_e32 v112, 31, v111
	s_delay_alu instid0(VALU_DEP_2) | instskip(SKIP_1) | instid1(VALU_DEP_2)
	v_add_nc_u32_e32 v115, s5, v113
	v_ashrrev_i32_e32 v114, 31, v113
	v_add_nc_u32_e32 v117, s5, v115
	v_ashrrev_i32_e32 v116, 31, v115
	s_delay_alu instid0(VALU_DEP_2) | instskip(SKIP_1) | instid1(VALU_DEP_2)
	v_add_nc_u32_e32 v120, s5, v117
	v_ashrrev_i32_e32 v118, 31, v117
	;; [unrolled: 5-line block ×13, first 2 shown]
	v_add_nc_u32_e32 v87, s5, v168
	v_ashrrev_i32_e32 v169, 31, v168
	s_delay_alu instid0(VALU_DEP_2) | instskip(NEXT) | instid1(VALU_DEP_1)
	v_ashrrev_i32_e32 v88, 31, v87
	v_lshlrev_b64 v[87:88], 3, v[87:88]
	s_delay_alu instid0(VALU_DEP_1) | instskip(NEXT) | instid1(VALU_DEP_2)
	v_add_co_u32 v15, vcc_lo, s2, v87
	v_add_co_ci_u32_e32 v16, vcc_lo, s3, v88, vcc_lo
	v_add_co_u32 v45, vcc_lo, s2, v45
	v_add_co_ci_u32_e32 v46, vcc_lo, s3, v46, vcc_lo
	global_load_b64 v[122:123], v[15:16], off
	s_waitcnt vmcnt(17)
	scratch_store_b128 off, v[47:50], off
	v_lshlrev_b64 v[49:50], 3, v[51:52]
	v_add_co_u32 v47, vcc_lo, s2, v98
	v_lshlrev_b64 v[51:52], 3, v[53:54]
	v_ashrrev_i32_e32 v98, 31, v97
	v_add_co_ci_u32_e32 v48, vcc_lo, s3, v99, vcc_lo
	s_clause 0x3
	global_load_b64 v[87:88], v[31:32], off
	global_load_b64 v[89:90], v[41:42], off
	;; [unrolled: 1-line block ×4, first 2 shown]
	v_add_co_u32 v49, vcc_lo, s2, v49
	v_lshlrev_b64 v[53:54], 3, v[95:96]
	v_add_co_ci_u32_e32 v50, vcc_lo, s3, v50, vcc_lo
	v_add_co_u32 v51, vcc_lo, s2, v51
	v_lshlrev_b64 v[108:109], 3, v[97:98]
	v_add_co_ci_u32_e32 v52, vcc_lo, s3, v52, vcc_lo
	v_add_co_u32 v53, vcc_lo, s2, v53
	v_add_co_ci_u32_e32 v54, vcc_lo, s3, v54, vcc_lo
	s_waitcnt vmcnt(19)
	scratch_store_b128 off, v[55:58], off offset:16
	s_waitcnt vmcnt(17)
	scratch_store_b128 off, v[59:62], off offset:32
	v_lshlrev_b64 v[57:58], 3, v[103:104]
	v_add_co_u32 v55, vcc_lo, s2, v108
	v_ashrrev_i32_e32 v108, 31, v107
	v_lshlrev_b64 v[59:60], 3, v[105:106]
	s_clause 0x3
	global_load_b64 v[95:96], v[47:48], off
	global_load_b64 v[97:98], v[49:50], off
	;; [unrolled: 1-line block ×4, first 2 shown]
	v_add_co_ci_u32_e32 v56, vcc_lo, s3, v109, vcc_lo
	v_add_co_u32 v57, vcc_lo, s2, v57
	v_lshlrev_b64 v[61:62], 3, v[107:108]
	v_add_co_ci_u32_e32 v58, vcc_lo, s3, v58, vcc_lo
	v_add_co_u32 v59, vcc_lo, s2, v59
	s_waitcnt vmcnt(19)
	scratch_store_b128 off, v[63:66], off offset:48
	s_waitcnt vmcnt(17)
	scratch_store_b128 off, v[67:70], off offset:64
	v_lshlrev_b64 v[63:64], 3, v[111:112]
	v_add_co_ci_u32_e32 v60, vcc_lo, s3, v60, vcc_lo
	v_add_co_u32 v61, vcc_lo, s2, v61
	v_lshlrev_b64 v[65:66], 3, v[113:114]
	v_add_co_ci_u32_e32 v62, vcc_lo, s3, v62, vcc_lo
	v_add_co_u32 v63, vcc_lo, s2, v63
	v_lshlrev_b64 v[67:68], 3, v[115:116]
	s_clause 0x3
	global_load_b64 v[103:104], v[55:56], off
	global_load_b64 v[105:106], v[57:58], off
	;; [unrolled: 1-line block ×4, first 2 shown]
	v_add_co_ci_u32_e32 v64, vcc_lo, s3, v64, vcc_lo
	v_add_co_u32 v65, vcc_lo, s2, v65
	v_lshlrev_b64 v[69:70], 3, v[117:118]
	v_add_co_ci_u32_e32 v66, vcc_lo, s3, v66, vcc_lo
	v_add_co_u32 v67, vcc_lo, s2, v67
	v_add_co_ci_u32_e32 v68, vcc_lo, s3, v68, vcc_lo
	s_delay_alu instid0(VALU_DEP_4)
	v_add_co_u32 v69, vcc_lo, s2, v69
	s_waitcnt vmcnt(19)
	scratch_store_b128 off, v[71:74], off offset:80
	s_waitcnt vmcnt(17)
	scratch_store_b128 off, v[75:78], off offset:96
	v_lshlrev_b64 v[71:72], 3, v[120:121]
	v_add_co_ci_u32_e32 v70, vcc_lo, s3, v70, vcc_lo
	s_clause 0x3
	global_load_b64 v[111:112], v[63:64], off
	global_load_b64 v[113:114], v[65:66], off
	;; [unrolled: 1-line block ×4, first 2 shown]
	v_lshlrev_b64 v[73:74], 3, v[124:125]
	v_lshlrev_b64 v[75:76], 3, v[128:129]
	v_add_co_u32 v71, vcc_lo, s2, v71
	v_add_co_ci_u32_e32 v72, vcc_lo, s3, v72, vcc_lo
	s_delay_alu instid0(VALU_DEP_4)
	v_add_co_u32 v73, vcc_lo, s2, v73
	v_add_co_ci_u32_e32 v74, vcc_lo, s3, v74, vcc_lo
	s_waitcnt vmcnt(19)
	scratch_store_b128 off, v[79:82], off offset:112
	s_clause 0x1
	global_load_b64 v[124:125], v[71:72], off
	global_load_b64 v[126:127], v[73:74], off
	v_lshlrev_b64 v[77:78], 3, v[130:131]
	v_add_co_u32 v75, vcc_lo, s2, v75
	v_lshlrev_b64 v[79:80], 3, v[132:133]
	v_add_co_ci_u32_e32 v76, vcc_lo, s3, v76, vcc_lo
	s_delay_alu instid0(VALU_DEP_4) | instskip(SKIP_4) | instid1(VALU_DEP_4)
	v_add_co_u32 v77, vcc_lo, s2, v77
	v_lshlrev_b64 v[81:82], 3, v[134:135]
	v_add_co_ci_u32_e32 v78, vcc_lo, s3, v78, vcc_lo
	v_add_co_u32 v79, vcc_lo, s2, v79
	v_add_co_ci_u32_e32 v80, vcc_lo, s3, v80, vcc_lo
	v_add_co_u32 v81, vcc_lo, s2, v81
	v_add_co_ci_u32_e32 v82, vcc_lo, s3, v82, vcc_lo
	v_lshlrev_b64 v[120:121], 3, v[140:141]
	global_load_b64 v[128:129], v[75:76], off
	s_waitcnt vmcnt(20)
	scratch_store_b128 off, v[83:86], off offset:128
	v_lshlrev_b64 v[83:84], 3, v[136:137]
	v_lshlrev_b64 v[85:86], 3, v[138:139]
	s_waitcnt vmcnt(17)
	scratch_store_b128 off, v[87:90], off offset:144
	s_waitcnt vmcnt(15)
	scratch_store_b128 off, v[91:94], off offset:160
	v_add_co_u32 v83, vcc_lo, s2, v83
	v_add_co_ci_u32_e32 v84, vcc_lo, s3, v84, vcc_lo
	v_add_co_u32 v85, vcc_lo, s2, v85
	v_lshlrev_b64 v[89:90], 3, v[142:143]
	v_add_co_ci_u32_e32 v86, vcc_lo, s3, v86, vcc_lo
	v_add_co_u32 v87, vcc_lo, s2, v120
	v_lshlrev_b64 v[91:92], 3, v[144:145]
	v_add_co_ci_u32_e32 v88, vcc_lo, s3, v121, vcc_lo
	v_add_co_u32 v89, vcc_lo, s2, v89
	v_lshlrev_b64 v[93:94], 3, v[146:147]
	v_add_co_ci_u32_e32 v90, vcc_lo, s3, v90, vcc_lo
	v_add_co_u32 v91, vcc_lo, s2, v91
	v_lshlrev_b64 v[120:121], 3, v[148:149]
	v_add_co_ci_u32_e32 v92, vcc_lo, s3, v92, vcc_lo
	s_clause 0x3
	global_load_b64 v[130:131], v[77:78], off
	global_load_b64 v[132:133], v[79:80], off
	;; [unrolled: 1-line block ×4, first 2 shown]
	s_waitcnt vmcnt(17)
	scratch_store_b128 off, v[95:98], off offset:176
	s_waitcnt vmcnt(15)
	scratch_store_b128 off, v[99:102], off offset:192
	v_add_co_u32 v93, vcc_lo, s2, v93
	v_lshlrev_b64 v[97:98], 3, v[150:151]
	v_add_co_ci_u32_e32 v94, vcc_lo, s3, v94, vcc_lo
	v_add_co_u32 v95, vcc_lo, s2, v120
	v_lshlrev_b64 v[99:100], 3, v[152:153]
	v_add_co_ci_u32_e32 v96, vcc_lo, s3, v121, vcc_lo
	;; [unrolled: 3-line block ×4, first 2 shown]
	s_clause 0x3
	global_load_b64 v[138:139], v[85:86], off
	global_load_b64 v[140:141], v[87:88], off
	;; [unrolled: 1-line block ×4, first 2 shown]
	s_waitcnt vmcnt(17)
	scratch_store_b128 off, v[103:106], off offset:208
	s_waitcnt vmcnt(15)
	scratch_store_b128 off, v[107:110], off offset:224
	v_add_co_u32 v101, vcc_lo, s2, v101
	v_lshlrev_b64 v[105:106], 3, v[158:159]
	v_add_co_ci_u32_e32 v102, vcc_lo, s3, v102, vcc_lo
	v_add_co_u32 v103, vcc_lo, s2, v120
	v_lshlrev_b64 v[107:108], 3, v[160:161]
	v_add_co_ci_u32_e32 v104, vcc_lo, s3, v121, vcc_lo
	;; [unrolled: 3-line block ×4, first 2 shown]
	s_clause 0x3
	global_load_b64 v[146:147], v[93:94], off
	global_load_b64 v[148:149], v[95:96], off
	;; [unrolled: 1-line block ×4, first 2 shown]
	s_waitcnt vmcnt(17)
	scratch_store_b128 off, v[111:114], off offset:240
	s_waitcnt vmcnt(15)
	scratch_store_b128 off, v[115:118], off offset:256
	v_add_co_u32 v109, vcc_lo, s2, v109
	v_lshlrev_b64 v[111:112], 3, v[166:167]
	v_add_co_ci_u32_e32 v110, vcc_lo, s3, v110, vcc_lo
	v_add_co_u32 v113, vcc_lo, s2, v120
	v_lshlrev_b64 v[117:118], 3, v[168:169]
	v_add_co_ci_u32_e32 v114, vcc_lo, s3, v121, vcc_lo
	v_add_co_u32 v115, vcc_lo, s2, v111
	v_add_co_ci_u32_e32 v116, vcc_lo, s3, v112, vcc_lo
	s_delay_alu instid0(VALU_DEP_4)
	v_add_co_u32 v111, vcc_lo, s2, v117
	v_add_co_ci_u32_e32 v112, vcc_lo, s3, v118, vcc_lo
	v_mov_b32_e32 v117, 0
	s_clause 0x3
	global_load_b64 v[154:155], v[101:102], off
	global_load_b64 v[156:157], v[103:104], off
	;; [unrolled: 1-line block ×4, first 2 shown]
	s_waitcnt vmcnt(17)
	scratch_store_b128 off, v[124:127], off offset:272
	s_clause 0x3
	global_load_b64 v[162:163], v[109:110], off
	global_load_b64 v[124:125], v[113:114], off
	global_load_b64 v[126:127], v[115:116], off
	global_load_b64 v[120:121], v[111:112], off
	v_mov_b32_e32 v118, 0xbff00000
	s_cselect_b32 s2, -1, 0
	s_cmpk_eq_i32 s1, 0x84
	s_waitcnt vmcnt(19)
	scratch_store_b128 off, v[128:131], off offset:288
	s_waitcnt vmcnt(17)
	scratch_store_b128 off, v[132:135], off offset:304
	;; [unrolled: 2-line block ×11, first 2 shown]
	s_cbranch_scc1 .LBB57_3
; %bb.2:
	scratch_load_b64 v[117:118], v119, off
	s_waitcnt vmcnt(0)
	v_div_scale_f64 v[120:121], null, v[117:118], v[117:118], 1.0
	v_div_scale_f64 v[126:127], vcc_lo, 1.0, v[117:118], 1.0
	s_delay_alu instid0(VALU_DEP_2) | instskip(SKIP_2) | instid1(VALU_DEP_1)
	v_rcp_f64_e32 v[122:123], v[120:121]
	s_waitcnt_depctr 0xfff
	v_fma_f64 v[124:125], -v[120:121], v[122:123], 1.0
	v_fma_f64 v[122:123], v[122:123], v[124:125], v[122:123]
	s_delay_alu instid0(VALU_DEP_1) | instskip(NEXT) | instid1(VALU_DEP_1)
	v_fma_f64 v[124:125], -v[120:121], v[122:123], 1.0
	v_fma_f64 v[122:123], v[122:123], v[124:125], v[122:123]
	s_delay_alu instid0(VALU_DEP_1) | instskip(NEXT) | instid1(VALU_DEP_1)
	v_mul_f64 v[124:125], v[126:127], v[122:123]
	v_fma_f64 v[120:121], -v[120:121], v[124:125], v[126:127]
	s_delay_alu instid0(VALU_DEP_1) | instskip(NEXT) | instid1(VALU_DEP_1)
	v_div_fmas_f64 v[120:121], v[120:121], v[122:123], v[124:125]
	v_div_fixup_f64 v[117:118], v[120:121], v[117:118], 1.0
	scratch_store_b64 v119, v[117:118], off
	v_xor_b32_e32 v118, 0x80000000, v118
.LBB57_3:
	v_add_nc_u32_e32 v120, 0x1d0, v119
	v_add_nc_u32_e32 v121, 0, v119
	s_cmpk_eq_i32 s0, 0x79
	s_mov_b32 s0, -1
	ds_store_b64 v119, v[117:118]
	s_cbranch_scc1 .LBB57_569
; %bb.4:
	scratch_load_b64 v[117:118], off, off offset:448
	v_cmp_eq_u32_e64 s0, 57, v0
	s_movk_i32 s1, 0x50
	s_movk_i32 s3, 0x60
	s_movk_i32 s4, 0x70
	s_movk_i32 s5, 0x80
	s_movk_i32 s6, 0x90
	s_movk_i32 s7, 0xa0
	s_movk_i32 s8, 0xb0
	s_movk_i32 s9, 0xc0
	s_movk_i32 s10, 0xd0
	s_movk_i32 s11, 0xe0
	s_movk_i32 s12, 0xf0
	s_movk_i32 s13, 0x100
	s_movk_i32 s14, 0x110
	s_movk_i32 s15, 0x120
	s_movk_i32 s16, 0x130
	s_movk_i32 s17, 0x140
	s_movk_i32 s18, 0x150
	s_movk_i32 s19, 0x160
	s_movk_i32 s20, 0x170
	s_movk_i32 s21, 0x180
	s_movk_i32 s22, 0x190
	s_movk_i32 s23, 0x1a0
	s_movk_i32 s24, 0x1b0
	s_waitcnt vmcnt(0)
	ds_store_b64 v120, v[117:118]
	s_waitcnt lgkmcnt(0)
	s_waitcnt_vscnt null, 0x0
	s_barrier
	buffer_gl0_inv
	s_and_saveexec_b32 s25, s0
	s_cbranch_execz .LBB57_10
; %bb.5:
	s_and_b32 vcc_lo, exec_lo, s2
	s_cbranch_vccz .LBB57_7
; %bb.6:
	scratch_load_b64 v[117:118], v121, off
	ds_load_b64 v[122:123], v120
	s_waitcnt vmcnt(0) lgkmcnt(0)
	v_mul_f64 v[117:118], v[117:118], v[122:123]
	s_cbranch_execz .LBB57_8
	s_branch .LBB57_9
.LBB57_7:
                                        ; implicit-def: $vgpr117_vgpr118
.LBB57_8:
	ds_load_b64 v[117:118], v120
.LBB57_9:
	v_mov_b32_e32 v122, 0
	ds_load_b64 v[122:123], v122 offset:448
	s_waitcnt lgkmcnt(0)
	v_mul_f64 v[117:118], v[117:118], v[122:123]
	scratch_store_b64 off, v[117:118], off offset:448
.LBB57_10:
	s_or_b32 exec_lo, exec_lo, s25
	scratch_load_b64 v[117:118], off, off offset:440
	v_add_nc_u32_e64 v122, 0, 16
	v_add_nc_u32_e64 v123, 0, 32
	v_add_nc_u32_e64 v124, 0, 48
	v_add_nc_u32_e64 v125, 0, 64
	v_add_nc_u32_e64 v126, s1, 0
	v_add_nc_u32_e64 v127, s3, 0
	v_add_nc_u32_e64 v128, s4, 0
	v_add_nc_u32_e64 v129, s5, 0
	v_add_nc_u32_e64 v130, s6, 0
	v_add_nc_u32_e64 v131, s7, 0
	v_add_nc_u32_e64 v132, s8, 0
	v_add_nc_u32_e64 v133, s9, 0
	v_add_nc_u32_e64 v134, s10, 0
	v_add_nc_u32_e64 v135, s11, 0
	v_add_nc_u32_e64 v136, s12, 0
	v_add_nc_u32_e64 v137, s13, 0
	v_add_nc_u32_e64 v138, s14, 0
	v_add_nc_u32_e64 v139, s15, 0
	v_add_nc_u32_e64 v140, s16, 0
	v_add_nc_u32_e64 v141, s17, 0
	v_add_nc_u32_e64 v142, s18, 0
	v_add_nc_u32_e64 v143, s19, 0
	v_add_nc_u32_e64 v144, s20, 0
	v_add_nc_u32_e64 v145, s21, 0
	v_add_nc_u32_e64 v146, s22, 0
	v_add_nc_u32_e64 v147, s23, 0
	v_add_nc_u32_e64 v148, s24, 0
	v_cmp_lt_u32_e64 s1, 55, v0
	s_waitcnt vmcnt(0)
	ds_store_b64 v120, v[117:118]
	s_waitcnt lgkmcnt(0)
	s_waitcnt_vscnt null, 0x0
	s_barrier
	buffer_gl0_inv
	s_and_saveexec_b32 s3, s1
	s_cbranch_execz .LBB57_18
; %bb.11:
	s_and_not1_b32 vcc_lo, exec_lo, s2
	s_cbranch_vccnz .LBB57_13
; %bb.12:
	scratch_load_b64 v[117:118], v121, off
	ds_load_b64 v[149:150], v120
	s_waitcnt vmcnt(0) lgkmcnt(0)
	v_mul_f64 v[117:118], v[117:118], v[149:150]
	s_cbranch_execz .LBB57_14
	s_branch .LBB57_15
.LBB57_13:
                                        ; implicit-def: $vgpr117_vgpr118
.LBB57_14:
	ds_load_b64 v[117:118], v120
.LBB57_15:
	s_and_saveexec_b32 s4, s0
	s_cbranch_execz .LBB57_17
; %bb.16:
	scratch_load_b64 v[149:150], off, off offset:448
	v_mov_b32_e32 v151, 0
	ds_load_b64 v[151:152], v151 offset:912
	s_waitcnt vmcnt(0) lgkmcnt(0)
	v_fma_f64 v[117:118], v[149:150], v[151:152], v[117:118]
.LBB57_17:
	s_or_b32 exec_lo, exec_lo, s4
	v_mov_b32_e32 v149, 0
	ds_load_b64 v[149:150], v149 offset:440
	s_waitcnt lgkmcnt(0)
	v_mul_f64 v[117:118], v[117:118], v[149:150]
	scratch_store_b64 off, v[117:118], off offset:440
.LBB57_18:
	s_or_b32 exec_lo, exec_lo, s3
	scratch_load_b64 v[117:118], off, off offset:432
	v_cmp_lt_u32_e64 s0, 54, v0
	s_waitcnt vmcnt(0)
	ds_store_b64 v120, v[117:118]
	s_waitcnt lgkmcnt(0)
	s_waitcnt_vscnt null, 0x0
	s_barrier
	buffer_gl0_inv
	s_and_saveexec_b32 s3, s0
	s_cbranch_execz .LBB57_28
; %bb.19:
	s_and_not1_b32 vcc_lo, exec_lo, s2
	s_cbranch_vccnz .LBB57_21
; %bb.20:
	scratch_load_b64 v[117:118], v121, off
	ds_load_b64 v[149:150], v120
	s_waitcnt vmcnt(0) lgkmcnt(0)
	v_mul_f64 v[117:118], v[117:118], v[149:150]
	s_cbranch_execz .LBB57_22
	s_branch .LBB57_23
.LBB57_21:
                                        ; implicit-def: $vgpr117_vgpr118
.LBB57_22:
	ds_load_b64 v[117:118], v120
.LBB57_23:
	s_and_saveexec_b32 s4, s1
	s_cbranch_execz .LBB57_27
; %bb.24:
	v_mov_b32_e32 v149, 0
	v_subrev_nc_u32_e32 v150, 55, v0
	s_movk_i32 s5, 0x388
	s_mov_b32 s1, 0
	s_delay_alu instid0(VALU_DEP_2)
	v_add_nc_u32_e32 v149, 0x1b8, v149
.LBB57_25:                              ; =>This Inner Loop Header: Depth=1
	scratch_load_b64 v[151:152], v149, off
	v_dual_mov_b32 v153, s5 :: v_dual_add_nc_u32 v150, -1, v150
	v_add_nc_u32_e32 v149, 8, v149
	s_add_i32 s5, s5, 8
	ds_load_b64 v[153:154], v153
	v_cmp_eq_u32_e32 vcc_lo, 0, v150
	s_or_b32 s1, vcc_lo, s1
	s_waitcnt vmcnt(0) lgkmcnt(0)
	v_fma_f64 v[117:118], v[151:152], v[153:154], v[117:118]
	s_and_not1_b32 exec_lo, exec_lo, s1
	s_cbranch_execnz .LBB57_25
; %bb.26:
	s_or_b32 exec_lo, exec_lo, s1
.LBB57_27:
	s_delay_alu instid0(SALU_CYCLE_1)
	s_or_b32 exec_lo, exec_lo, s4
	v_mov_b32_e32 v149, 0
	ds_load_b64 v[149:150], v149 offset:432
	s_waitcnt lgkmcnt(0)
	v_mul_f64 v[117:118], v[117:118], v[149:150]
	scratch_store_b64 off, v[117:118], off offset:432
.LBB57_28:
	s_or_b32 exec_lo, exec_lo, s3
	scratch_load_b64 v[117:118], off, off offset:424
	v_cmp_lt_u32_e64 s1, 53, v0
	s_waitcnt vmcnt(0)
	ds_store_b64 v120, v[117:118]
	s_waitcnt lgkmcnt(0)
	s_waitcnt_vscnt null, 0x0
	s_barrier
	buffer_gl0_inv
	s_and_saveexec_b32 s3, s1
	s_cbranch_execz .LBB57_38
; %bb.29:
	s_and_not1_b32 vcc_lo, exec_lo, s2
	s_cbranch_vccnz .LBB57_31
; %bb.30:
	scratch_load_b64 v[117:118], v121, off
	ds_load_b64 v[149:150], v120
	s_waitcnt vmcnt(0) lgkmcnt(0)
	v_mul_f64 v[117:118], v[117:118], v[149:150]
	s_cbranch_execz .LBB57_32
	s_branch .LBB57_33
.LBB57_31:
                                        ; implicit-def: $vgpr117_vgpr118
.LBB57_32:
	ds_load_b64 v[117:118], v120
.LBB57_33:
	s_and_saveexec_b32 s4, s0
	s_cbranch_execz .LBB57_37
; %bb.34:
	v_subrev_nc_u32_e32 v149, 54, v0
	s_movk_i32 s5, 0x380
	s_mov_b32 s0, 0
.LBB57_35:                              ; =>This Inner Loop Header: Depth=1
	scratch_load_b64 v[150:151], v148, off
	v_dual_mov_b32 v152, s5 :: v_dual_add_nc_u32 v149, -1, v149
	v_add_nc_u32_e32 v148, 8, v148
	s_add_i32 s5, s5, 8
	ds_load_b64 v[152:153], v152
	v_cmp_eq_u32_e32 vcc_lo, 0, v149
	s_or_b32 s0, vcc_lo, s0
	s_waitcnt vmcnt(0) lgkmcnt(0)
	v_fma_f64 v[117:118], v[150:151], v[152:153], v[117:118]
	s_and_not1_b32 exec_lo, exec_lo, s0
	s_cbranch_execnz .LBB57_35
; %bb.36:
	s_or_b32 exec_lo, exec_lo, s0
.LBB57_37:
	s_delay_alu instid0(SALU_CYCLE_1)
	s_or_b32 exec_lo, exec_lo, s4
	v_mov_b32_e32 v148, 0
	ds_load_b64 v[148:149], v148 offset:424
	s_waitcnt lgkmcnt(0)
	v_mul_f64 v[117:118], v[117:118], v[148:149]
	scratch_store_b64 off, v[117:118], off offset:424
.LBB57_38:
	s_or_b32 exec_lo, exec_lo, s3
	scratch_load_b64 v[117:118], off, off offset:416
	v_cmp_lt_u32_e64 s0, 52, v0
	s_waitcnt vmcnt(0)
	ds_store_b64 v120, v[117:118]
	s_waitcnt lgkmcnt(0)
	s_waitcnt_vscnt null, 0x0
	s_barrier
	buffer_gl0_inv
	s_and_saveexec_b32 s3, s0
	s_cbranch_execz .LBB57_48
; %bb.39:
	s_and_not1_b32 vcc_lo, exec_lo, s2
	s_cbranch_vccnz .LBB57_41
; %bb.40:
	scratch_load_b64 v[117:118], v121, off
	ds_load_b64 v[148:149], v120
	s_waitcnt vmcnt(0) lgkmcnt(0)
	v_mul_f64 v[117:118], v[117:118], v[148:149]
	s_cbranch_execz .LBB57_42
	s_branch .LBB57_43
.LBB57_41:
                                        ; implicit-def: $vgpr117_vgpr118
.LBB57_42:
	ds_load_b64 v[117:118], v120
.LBB57_43:
	s_and_saveexec_b32 s4, s1
	s_cbranch_execz .LBB57_47
; %bb.44:
	v_mov_b32_e32 v148, 0
	v_subrev_nc_u32_e32 v149, 53, v0
	s_movk_i32 s5, 0x378
	s_mov_b32 s1, 0
	s_delay_alu instid0(VALU_DEP_2)
	v_add_nc_u32_e32 v148, 0x1a8, v148
.LBB57_45:                              ; =>This Inner Loop Header: Depth=1
	scratch_load_b64 v[150:151], v148, off
	v_dual_mov_b32 v152, s5 :: v_dual_add_nc_u32 v149, -1, v149
	v_add_nc_u32_e32 v148, 8, v148
	s_add_i32 s5, s5, 8
	ds_load_b64 v[152:153], v152
	v_cmp_eq_u32_e32 vcc_lo, 0, v149
	s_or_b32 s1, vcc_lo, s1
	s_waitcnt vmcnt(0) lgkmcnt(0)
	v_fma_f64 v[117:118], v[150:151], v[152:153], v[117:118]
	s_and_not1_b32 exec_lo, exec_lo, s1
	s_cbranch_execnz .LBB57_45
; %bb.46:
	s_or_b32 exec_lo, exec_lo, s1
.LBB57_47:
	s_delay_alu instid0(SALU_CYCLE_1)
	s_or_b32 exec_lo, exec_lo, s4
	v_mov_b32_e32 v148, 0
	ds_load_b64 v[148:149], v148 offset:416
	s_waitcnt lgkmcnt(0)
	v_mul_f64 v[117:118], v[117:118], v[148:149]
	scratch_store_b64 off, v[117:118], off offset:416
.LBB57_48:
	s_or_b32 exec_lo, exec_lo, s3
	scratch_load_b64 v[117:118], off, off offset:408
	v_cmp_lt_u32_e64 s1, 51, v0
	s_waitcnt vmcnt(0)
	ds_store_b64 v120, v[117:118]
	s_waitcnt lgkmcnt(0)
	s_waitcnt_vscnt null, 0x0
	s_barrier
	buffer_gl0_inv
	s_and_saveexec_b32 s3, s1
	s_cbranch_execz .LBB57_58
; %bb.49:
	s_and_not1_b32 vcc_lo, exec_lo, s2
	s_cbranch_vccnz .LBB57_51
; %bb.50:
	scratch_load_b64 v[117:118], v121, off
	ds_load_b64 v[148:149], v120
	s_waitcnt vmcnt(0) lgkmcnt(0)
	v_mul_f64 v[117:118], v[117:118], v[148:149]
	s_cbranch_execz .LBB57_52
	s_branch .LBB57_53
.LBB57_51:
                                        ; implicit-def: $vgpr117_vgpr118
.LBB57_52:
	ds_load_b64 v[117:118], v120
.LBB57_53:
	s_and_saveexec_b32 s4, s0
	s_cbranch_execz .LBB57_57
; %bb.54:
	v_subrev_nc_u32_e32 v148, 52, v0
	s_movk_i32 s5, 0x370
	s_mov_b32 s0, 0
.LBB57_55:                              ; =>This Inner Loop Header: Depth=1
	scratch_load_b64 v[149:150], v147, off
	v_dual_mov_b32 v151, s5 :: v_dual_add_nc_u32 v148, -1, v148
	v_add_nc_u32_e32 v147, 8, v147
	s_add_i32 s5, s5, 8
	ds_load_b64 v[151:152], v151
	v_cmp_eq_u32_e32 vcc_lo, 0, v148
	s_or_b32 s0, vcc_lo, s0
	s_waitcnt vmcnt(0) lgkmcnt(0)
	v_fma_f64 v[117:118], v[149:150], v[151:152], v[117:118]
	s_and_not1_b32 exec_lo, exec_lo, s0
	s_cbranch_execnz .LBB57_55
; %bb.56:
	s_or_b32 exec_lo, exec_lo, s0
.LBB57_57:
	s_delay_alu instid0(SALU_CYCLE_1)
	s_or_b32 exec_lo, exec_lo, s4
	v_mov_b32_e32 v147, 0
	ds_load_b64 v[147:148], v147 offset:408
	s_waitcnt lgkmcnt(0)
	v_mul_f64 v[117:118], v[117:118], v[147:148]
	scratch_store_b64 off, v[117:118], off offset:408
.LBB57_58:
	s_or_b32 exec_lo, exec_lo, s3
	scratch_load_b64 v[117:118], off, off offset:400
	v_cmp_lt_u32_e64 s0, 50, v0
	s_waitcnt vmcnt(0)
	ds_store_b64 v120, v[117:118]
	s_waitcnt lgkmcnt(0)
	s_waitcnt_vscnt null, 0x0
	s_barrier
	buffer_gl0_inv
	s_and_saveexec_b32 s3, s0
	s_cbranch_execz .LBB57_68
; %bb.59:
	s_and_not1_b32 vcc_lo, exec_lo, s2
	s_cbranch_vccnz .LBB57_61
; %bb.60:
	scratch_load_b64 v[117:118], v121, off
	ds_load_b64 v[147:148], v120
	s_waitcnt vmcnt(0) lgkmcnt(0)
	v_mul_f64 v[117:118], v[117:118], v[147:148]
	s_cbranch_execz .LBB57_62
	s_branch .LBB57_63
.LBB57_61:
                                        ; implicit-def: $vgpr117_vgpr118
.LBB57_62:
	ds_load_b64 v[117:118], v120
.LBB57_63:
	s_and_saveexec_b32 s4, s1
	s_cbranch_execz .LBB57_67
; %bb.64:
	v_mov_b32_e32 v147, 0
	v_subrev_nc_u32_e32 v148, 51, v0
	s_movk_i32 s5, 0x368
	s_mov_b32 s1, 0
	s_delay_alu instid0(VALU_DEP_2)
	v_add_nc_u32_e32 v147, 0x198, v147
.LBB57_65:                              ; =>This Inner Loop Header: Depth=1
	scratch_load_b64 v[149:150], v147, off
	v_dual_mov_b32 v151, s5 :: v_dual_add_nc_u32 v148, -1, v148
	v_add_nc_u32_e32 v147, 8, v147
	s_add_i32 s5, s5, 8
	ds_load_b64 v[151:152], v151
	v_cmp_eq_u32_e32 vcc_lo, 0, v148
	s_or_b32 s1, vcc_lo, s1
	s_waitcnt vmcnt(0) lgkmcnt(0)
	v_fma_f64 v[117:118], v[149:150], v[151:152], v[117:118]
	s_and_not1_b32 exec_lo, exec_lo, s1
	s_cbranch_execnz .LBB57_65
; %bb.66:
	s_or_b32 exec_lo, exec_lo, s1
.LBB57_67:
	s_delay_alu instid0(SALU_CYCLE_1)
	s_or_b32 exec_lo, exec_lo, s4
	v_mov_b32_e32 v147, 0
	ds_load_b64 v[147:148], v147 offset:400
	s_waitcnt lgkmcnt(0)
	v_mul_f64 v[117:118], v[117:118], v[147:148]
	scratch_store_b64 off, v[117:118], off offset:400
.LBB57_68:
	s_or_b32 exec_lo, exec_lo, s3
	scratch_load_b64 v[117:118], off, off offset:392
	v_cmp_lt_u32_e64 s1, 49, v0
	s_waitcnt vmcnt(0)
	ds_store_b64 v120, v[117:118]
	s_waitcnt lgkmcnt(0)
	s_waitcnt_vscnt null, 0x0
	s_barrier
	buffer_gl0_inv
	s_and_saveexec_b32 s3, s1
	s_cbranch_execz .LBB57_78
; %bb.69:
	s_and_not1_b32 vcc_lo, exec_lo, s2
	s_cbranch_vccnz .LBB57_71
; %bb.70:
	scratch_load_b64 v[117:118], v121, off
	ds_load_b64 v[147:148], v120
	s_waitcnt vmcnt(0) lgkmcnt(0)
	v_mul_f64 v[117:118], v[117:118], v[147:148]
	s_cbranch_execz .LBB57_72
	s_branch .LBB57_73
.LBB57_71:
                                        ; implicit-def: $vgpr117_vgpr118
.LBB57_72:
	ds_load_b64 v[117:118], v120
.LBB57_73:
	s_and_saveexec_b32 s4, s0
	s_cbranch_execz .LBB57_77
; %bb.74:
	v_subrev_nc_u32_e32 v147, 50, v0
	s_movk_i32 s5, 0x360
	s_mov_b32 s0, 0
.LBB57_75:                              ; =>This Inner Loop Header: Depth=1
	scratch_load_b64 v[148:149], v146, off
	v_dual_mov_b32 v150, s5 :: v_dual_add_nc_u32 v147, -1, v147
	v_add_nc_u32_e32 v146, 8, v146
	s_add_i32 s5, s5, 8
	ds_load_b64 v[150:151], v150
	v_cmp_eq_u32_e32 vcc_lo, 0, v147
	s_or_b32 s0, vcc_lo, s0
	s_waitcnt vmcnt(0) lgkmcnt(0)
	v_fma_f64 v[117:118], v[148:149], v[150:151], v[117:118]
	s_and_not1_b32 exec_lo, exec_lo, s0
	s_cbranch_execnz .LBB57_75
; %bb.76:
	s_or_b32 exec_lo, exec_lo, s0
.LBB57_77:
	s_delay_alu instid0(SALU_CYCLE_1)
	s_or_b32 exec_lo, exec_lo, s4
	v_mov_b32_e32 v146, 0
	ds_load_b64 v[146:147], v146 offset:392
	s_waitcnt lgkmcnt(0)
	v_mul_f64 v[117:118], v[117:118], v[146:147]
	scratch_store_b64 off, v[117:118], off offset:392
.LBB57_78:
	s_or_b32 exec_lo, exec_lo, s3
	scratch_load_b64 v[117:118], off, off offset:384
	v_cmp_lt_u32_e64 s0, 48, v0
	s_waitcnt vmcnt(0)
	ds_store_b64 v120, v[117:118]
	s_waitcnt lgkmcnt(0)
	s_waitcnt_vscnt null, 0x0
	s_barrier
	buffer_gl0_inv
	s_and_saveexec_b32 s3, s0
	s_cbranch_execz .LBB57_88
; %bb.79:
	s_and_not1_b32 vcc_lo, exec_lo, s2
	s_cbranch_vccnz .LBB57_81
; %bb.80:
	scratch_load_b64 v[117:118], v121, off
	ds_load_b64 v[146:147], v120
	s_waitcnt vmcnt(0) lgkmcnt(0)
	v_mul_f64 v[117:118], v[117:118], v[146:147]
	s_cbranch_execz .LBB57_82
	s_branch .LBB57_83
.LBB57_81:
                                        ; implicit-def: $vgpr117_vgpr118
.LBB57_82:
	ds_load_b64 v[117:118], v120
.LBB57_83:
	s_and_saveexec_b32 s4, s1
	s_cbranch_execz .LBB57_87
; %bb.84:
	v_mov_b32_e32 v146, 0
	v_subrev_nc_u32_e32 v147, 49, v0
	s_movk_i32 s5, 0x358
	s_mov_b32 s1, 0
	s_delay_alu instid0(VALU_DEP_2)
	v_add_nc_u32_e32 v146, 0x188, v146
.LBB57_85:                              ; =>This Inner Loop Header: Depth=1
	scratch_load_b64 v[148:149], v146, off
	v_dual_mov_b32 v150, s5 :: v_dual_add_nc_u32 v147, -1, v147
	v_add_nc_u32_e32 v146, 8, v146
	s_add_i32 s5, s5, 8
	ds_load_b64 v[150:151], v150
	v_cmp_eq_u32_e32 vcc_lo, 0, v147
	s_or_b32 s1, vcc_lo, s1
	s_waitcnt vmcnt(0) lgkmcnt(0)
	v_fma_f64 v[117:118], v[148:149], v[150:151], v[117:118]
	s_and_not1_b32 exec_lo, exec_lo, s1
	s_cbranch_execnz .LBB57_85
; %bb.86:
	s_or_b32 exec_lo, exec_lo, s1
.LBB57_87:
	s_delay_alu instid0(SALU_CYCLE_1)
	s_or_b32 exec_lo, exec_lo, s4
	v_mov_b32_e32 v146, 0
	ds_load_b64 v[146:147], v146 offset:384
	s_waitcnt lgkmcnt(0)
	v_mul_f64 v[117:118], v[117:118], v[146:147]
	scratch_store_b64 off, v[117:118], off offset:384
.LBB57_88:
	s_or_b32 exec_lo, exec_lo, s3
	scratch_load_b64 v[117:118], off, off offset:376
	v_cmp_lt_u32_e64 s1, 47, v0
	s_waitcnt vmcnt(0)
	ds_store_b64 v120, v[117:118]
	s_waitcnt lgkmcnt(0)
	s_waitcnt_vscnt null, 0x0
	s_barrier
	buffer_gl0_inv
	s_and_saveexec_b32 s3, s1
	s_cbranch_execz .LBB57_98
; %bb.89:
	s_and_not1_b32 vcc_lo, exec_lo, s2
	s_cbranch_vccnz .LBB57_91
; %bb.90:
	scratch_load_b64 v[117:118], v121, off
	ds_load_b64 v[146:147], v120
	s_waitcnt vmcnt(0) lgkmcnt(0)
	v_mul_f64 v[117:118], v[117:118], v[146:147]
	s_cbranch_execz .LBB57_92
	s_branch .LBB57_93
.LBB57_91:
                                        ; implicit-def: $vgpr117_vgpr118
.LBB57_92:
	ds_load_b64 v[117:118], v120
.LBB57_93:
	s_and_saveexec_b32 s4, s0
	s_cbranch_execz .LBB57_97
; %bb.94:
	v_subrev_nc_u32_e32 v146, 48, v0
	s_movk_i32 s5, 0x350
	s_mov_b32 s0, 0
.LBB57_95:                              ; =>This Inner Loop Header: Depth=1
	scratch_load_b64 v[147:148], v145, off
	v_dual_mov_b32 v149, s5 :: v_dual_add_nc_u32 v146, -1, v146
	v_add_nc_u32_e32 v145, 8, v145
	s_add_i32 s5, s5, 8
	ds_load_b64 v[149:150], v149
	v_cmp_eq_u32_e32 vcc_lo, 0, v146
	s_or_b32 s0, vcc_lo, s0
	s_waitcnt vmcnt(0) lgkmcnt(0)
	v_fma_f64 v[117:118], v[147:148], v[149:150], v[117:118]
	s_and_not1_b32 exec_lo, exec_lo, s0
	s_cbranch_execnz .LBB57_95
; %bb.96:
	s_or_b32 exec_lo, exec_lo, s0
.LBB57_97:
	s_delay_alu instid0(SALU_CYCLE_1)
	s_or_b32 exec_lo, exec_lo, s4
	v_mov_b32_e32 v145, 0
	ds_load_b64 v[145:146], v145 offset:376
	s_waitcnt lgkmcnt(0)
	v_mul_f64 v[117:118], v[117:118], v[145:146]
	scratch_store_b64 off, v[117:118], off offset:376
.LBB57_98:
	s_or_b32 exec_lo, exec_lo, s3
	scratch_load_b64 v[117:118], off, off offset:368
	v_cmp_lt_u32_e64 s0, 46, v0
	s_waitcnt vmcnt(0)
	ds_store_b64 v120, v[117:118]
	s_waitcnt lgkmcnt(0)
	s_waitcnt_vscnt null, 0x0
	s_barrier
	buffer_gl0_inv
	s_and_saveexec_b32 s3, s0
	s_cbranch_execz .LBB57_108
; %bb.99:
	s_and_not1_b32 vcc_lo, exec_lo, s2
	s_cbranch_vccnz .LBB57_101
; %bb.100:
	scratch_load_b64 v[117:118], v121, off
	ds_load_b64 v[145:146], v120
	s_waitcnt vmcnt(0) lgkmcnt(0)
	v_mul_f64 v[117:118], v[117:118], v[145:146]
	s_cbranch_execz .LBB57_102
	s_branch .LBB57_103
.LBB57_101:
                                        ; implicit-def: $vgpr117_vgpr118
.LBB57_102:
	ds_load_b64 v[117:118], v120
.LBB57_103:
	s_and_saveexec_b32 s4, s1
	s_cbranch_execz .LBB57_107
; %bb.104:
	v_mov_b32_e32 v145, 0
	v_subrev_nc_u32_e32 v146, 47, v0
	s_movk_i32 s5, 0x348
	s_mov_b32 s1, 0
	s_delay_alu instid0(VALU_DEP_2)
	v_add_nc_u32_e32 v145, 0x178, v145
.LBB57_105:                             ; =>This Inner Loop Header: Depth=1
	scratch_load_b64 v[147:148], v145, off
	v_dual_mov_b32 v149, s5 :: v_dual_add_nc_u32 v146, -1, v146
	v_add_nc_u32_e32 v145, 8, v145
	s_add_i32 s5, s5, 8
	ds_load_b64 v[149:150], v149
	v_cmp_eq_u32_e32 vcc_lo, 0, v146
	s_or_b32 s1, vcc_lo, s1
	s_waitcnt vmcnt(0) lgkmcnt(0)
	v_fma_f64 v[117:118], v[147:148], v[149:150], v[117:118]
	s_and_not1_b32 exec_lo, exec_lo, s1
	s_cbranch_execnz .LBB57_105
; %bb.106:
	s_or_b32 exec_lo, exec_lo, s1
.LBB57_107:
	s_delay_alu instid0(SALU_CYCLE_1)
	s_or_b32 exec_lo, exec_lo, s4
	v_mov_b32_e32 v145, 0
	ds_load_b64 v[145:146], v145 offset:368
	s_waitcnt lgkmcnt(0)
	v_mul_f64 v[117:118], v[117:118], v[145:146]
	scratch_store_b64 off, v[117:118], off offset:368
.LBB57_108:
	s_or_b32 exec_lo, exec_lo, s3
	scratch_load_b64 v[117:118], off, off offset:360
	v_cmp_lt_u32_e64 s1, 45, v0
	s_waitcnt vmcnt(0)
	ds_store_b64 v120, v[117:118]
	s_waitcnt lgkmcnt(0)
	s_waitcnt_vscnt null, 0x0
	s_barrier
	buffer_gl0_inv
	s_and_saveexec_b32 s3, s1
	s_cbranch_execz .LBB57_118
; %bb.109:
	s_and_not1_b32 vcc_lo, exec_lo, s2
	s_cbranch_vccnz .LBB57_111
; %bb.110:
	scratch_load_b64 v[117:118], v121, off
	ds_load_b64 v[145:146], v120
	s_waitcnt vmcnt(0) lgkmcnt(0)
	v_mul_f64 v[117:118], v[117:118], v[145:146]
	s_cbranch_execz .LBB57_112
	s_branch .LBB57_113
.LBB57_111:
                                        ; implicit-def: $vgpr117_vgpr118
.LBB57_112:
	ds_load_b64 v[117:118], v120
.LBB57_113:
	s_and_saveexec_b32 s4, s0
	s_cbranch_execz .LBB57_117
; %bb.114:
	v_subrev_nc_u32_e32 v145, 46, v0
	s_movk_i32 s5, 0x340
	s_mov_b32 s0, 0
.LBB57_115:                             ; =>This Inner Loop Header: Depth=1
	scratch_load_b64 v[146:147], v144, off
	v_dual_mov_b32 v148, s5 :: v_dual_add_nc_u32 v145, -1, v145
	v_add_nc_u32_e32 v144, 8, v144
	s_add_i32 s5, s5, 8
	ds_load_b64 v[148:149], v148
	v_cmp_eq_u32_e32 vcc_lo, 0, v145
	s_or_b32 s0, vcc_lo, s0
	s_waitcnt vmcnt(0) lgkmcnt(0)
	v_fma_f64 v[117:118], v[146:147], v[148:149], v[117:118]
	s_and_not1_b32 exec_lo, exec_lo, s0
	s_cbranch_execnz .LBB57_115
; %bb.116:
	s_or_b32 exec_lo, exec_lo, s0
.LBB57_117:
	s_delay_alu instid0(SALU_CYCLE_1)
	s_or_b32 exec_lo, exec_lo, s4
	v_mov_b32_e32 v144, 0
	ds_load_b64 v[144:145], v144 offset:360
	s_waitcnt lgkmcnt(0)
	v_mul_f64 v[117:118], v[117:118], v[144:145]
	scratch_store_b64 off, v[117:118], off offset:360
.LBB57_118:
	s_or_b32 exec_lo, exec_lo, s3
	scratch_load_b64 v[117:118], off, off offset:352
	v_cmp_lt_u32_e64 s0, 44, v0
	s_waitcnt vmcnt(0)
	ds_store_b64 v120, v[117:118]
	s_waitcnt lgkmcnt(0)
	s_waitcnt_vscnt null, 0x0
	s_barrier
	buffer_gl0_inv
	s_and_saveexec_b32 s3, s0
	s_cbranch_execz .LBB57_128
; %bb.119:
	s_and_not1_b32 vcc_lo, exec_lo, s2
	s_cbranch_vccnz .LBB57_121
; %bb.120:
	scratch_load_b64 v[117:118], v121, off
	ds_load_b64 v[144:145], v120
	s_waitcnt vmcnt(0) lgkmcnt(0)
	v_mul_f64 v[117:118], v[117:118], v[144:145]
	s_cbranch_execz .LBB57_122
	s_branch .LBB57_123
.LBB57_121:
                                        ; implicit-def: $vgpr117_vgpr118
.LBB57_122:
	ds_load_b64 v[117:118], v120
.LBB57_123:
	s_and_saveexec_b32 s4, s1
	s_cbranch_execz .LBB57_127
; %bb.124:
	v_mov_b32_e32 v144, 0
	v_subrev_nc_u32_e32 v145, 45, v0
	s_movk_i32 s5, 0x338
	s_mov_b32 s1, 0
	s_delay_alu instid0(VALU_DEP_2)
	v_add_nc_u32_e32 v144, 0x168, v144
.LBB57_125:                             ; =>This Inner Loop Header: Depth=1
	scratch_load_b64 v[146:147], v144, off
	v_dual_mov_b32 v148, s5 :: v_dual_add_nc_u32 v145, -1, v145
	v_add_nc_u32_e32 v144, 8, v144
	s_add_i32 s5, s5, 8
	ds_load_b64 v[148:149], v148
	v_cmp_eq_u32_e32 vcc_lo, 0, v145
	s_or_b32 s1, vcc_lo, s1
	s_waitcnt vmcnt(0) lgkmcnt(0)
	v_fma_f64 v[117:118], v[146:147], v[148:149], v[117:118]
	s_and_not1_b32 exec_lo, exec_lo, s1
	s_cbranch_execnz .LBB57_125
; %bb.126:
	s_or_b32 exec_lo, exec_lo, s1
.LBB57_127:
	s_delay_alu instid0(SALU_CYCLE_1)
	s_or_b32 exec_lo, exec_lo, s4
	v_mov_b32_e32 v144, 0
	ds_load_b64 v[144:145], v144 offset:352
	s_waitcnt lgkmcnt(0)
	v_mul_f64 v[117:118], v[117:118], v[144:145]
	scratch_store_b64 off, v[117:118], off offset:352
.LBB57_128:
	s_or_b32 exec_lo, exec_lo, s3
	scratch_load_b64 v[117:118], off, off offset:344
	v_cmp_lt_u32_e64 s1, 43, v0
	s_waitcnt vmcnt(0)
	ds_store_b64 v120, v[117:118]
	s_waitcnt lgkmcnt(0)
	s_waitcnt_vscnt null, 0x0
	s_barrier
	buffer_gl0_inv
	s_and_saveexec_b32 s3, s1
	s_cbranch_execz .LBB57_138
; %bb.129:
	s_and_not1_b32 vcc_lo, exec_lo, s2
	s_cbranch_vccnz .LBB57_131
; %bb.130:
	scratch_load_b64 v[117:118], v121, off
	ds_load_b64 v[144:145], v120
	s_waitcnt vmcnt(0) lgkmcnt(0)
	v_mul_f64 v[117:118], v[117:118], v[144:145]
	s_cbranch_execz .LBB57_132
	s_branch .LBB57_133
.LBB57_131:
                                        ; implicit-def: $vgpr117_vgpr118
.LBB57_132:
	ds_load_b64 v[117:118], v120
.LBB57_133:
	s_and_saveexec_b32 s4, s0
	s_cbranch_execz .LBB57_137
; %bb.134:
	v_subrev_nc_u32_e32 v144, 44, v0
	s_movk_i32 s5, 0x330
	s_mov_b32 s0, 0
.LBB57_135:                             ; =>This Inner Loop Header: Depth=1
	scratch_load_b64 v[145:146], v143, off
	v_dual_mov_b32 v147, s5 :: v_dual_add_nc_u32 v144, -1, v144
	v_add_nc_u32_e32 v143, 8, v143
	s_add_i32 s5, s5, 8
	ds_load_b64 v[147:148], v147
	v_cmp_eq_u32_e32 vcc_lo, 0, v144
	s_or_b32 s0, vcc_lo, s0
	s_waitcnt vmcnt(0) lgkmcnt(0)
	v_fma_f64 v[117:118], v[145:146], v[147:148], v[117:118]
	s_and_not1_b32 exec_lo, exec_lo, s0
	s_cbranch_execnz .LBB57_135
; %bb.136:
	s_or_b32 exec_lo, exec_lo, s0
.LBB57_137:
	s_delay_alu instid0(SALU_CYCLE_1)
	s_or_b32 exec_lo, exec_lo, s4
	v_mov_b32_e32 v143, 0
	ds_load_b64 v[143:144], v143 offset:344
	s_waitcnt lgkmcnt(0)
	v_mul_f64 v[117:118], v[117:118], v[143:144]
	scratch_store_b64 off, v[117:118], off offset:344
.LBB57_138:
	s_or_b32 exec_lo, exec_lo, s3
	scratch_load_b64 v[117:118], off, off offset:336
	v_cmp_lt_u32_e64 s0, 42, v0
	s_waitcnt vmcnt(0)
	ds_store_b64 v120, v[117:118]
	s_waitcnt lgkmcnt(0)
	s_waitcnt_vscnt null, 0x0
	s_barrier
	buffer_gl0_inv
	s_and_saveexec_b32 s3, s0
	s_cbranch_execz .LBB57_148
; %bb.139:
	s_and_not1_b32 vcc_lo, exec_lo, s2
	s_cbranch_vccnz .LBB57_141
; %bb.140:
	scratch_load_b64 v[117:118], v121, off
	ds_load_b64 v[143:144], v120
	s_waitcnt vmcnt(0) lgkmcnt(0)
	v_mul_f64 v[117:118], v[117:118], v[143:144]
	s_cbranch_execz .LBB57_142
	s_branch .LBB57_143
.LBB57_141:
                                        ; implicit-def: $vgpr117_vgpr118
.LBB57_142:
	ds_load_b64 v[117:118], v120
.LBB57_143:
	s_and_saveexec_b32 s4, s1
	s_cbranch_execz .LBB57_147
; %bb.144:
	v_mov_b32_e32 v143, 0
	v_subrev_nc_u32_e32 v144, 43, v0
	s_movk_i32 s5, 0x328
	s_mov_b32 s1, 0
	s_delay_alu instid0(VALU_DEP_2)
	v_add_nc_u32_e32 v143, 0x158, v143
.LBB57_145:                             ; =>This Inner Loop Header: Depth=1
	scratch_load_b64 v[145:146], v143, off
	v_dual_mov_b32 v147, s5 :: v_dual_add_nc_u32 v144, -1, v144
	v_add_nc_u32_e32 v143, 8, v143
	s_add_i32 s5, s5, 8
	ds_load_b64 v[147:148], v147
	v_cmp_eq_u32_e32 vcc_lo, 0, v144
	s_or_b32 s1, vcc_lo, s1
	s_waitcnt vmcnt(0) lgkmcnt(0)
	v_fma_f64 v[117:118], v[145:146], v[147:148], v[117:118]
	s_and_not1_b32 exec_lo, exec_lo, s1
	s_cbranch_execnz .LBB57_145
; %bb.146:
	s_or_b32 exec_lo, exec_lo, s1
.LBB57_147:
	s_delay_alu instid0(SALU_CYCLE_1)
	s_or_b32 exec_lo, exec_lo, s4
	v_mov_b32_e32 v143, 0
	ds_load_b64 v[143:144], v143 offset:336
	s_waitcnt lgkmcnt(0)
	v_mul_f64 v[117:118], v[117:118], v[143:144]
	scratch_store_b64 off, v[117:118], off offset:336
.LBB57_148:
	s_or_b32 exec_lo, exec_lo, s3
	scratch_load_b64 v[117:118], off, off offset:328
	v_cmp_lt_u32_e64 s1, 41, v0
	s_waitcnt vmcnt(0)
	ds_store_b64 v120, v[117:118]
	s_waitcnt lgkmcnt(0)
	s_waitcnt_vscnt null, 0x0
	s_barrier
	buffer_gl0_inv
	s_and_saveexec_b32 s3, s1
	s_cbranch_execz .LBB57_158
; %bb.149:
	s_and_not1_b32 vcc_lo, exec_lo, s2
	s_cbranch_vccnz .LBB57_151
; %bb.150:
	scratch_load_b64 v[117:118], v121, off
	ds_load_b64 v[143:144], v120
	s_waitcnt vmcnt(0) lgkmcnt(0)
	v_mul_f64 v[117:118], v[117:118], v[143:144]
	s_cbranch_execz .LBB57_152
	s_branch .LBB57_153
.LBB57_151:
                                        ; implicit-def: $vgpr117_vgpr118
.LBB57_152:
	ds_load_b64 v[117:118], v120
.LBB57_153:
	s_and_saveexec_b32 s4, s0
	s_cbranch_execz .LBB57_157
; %bb.154:
	v_subrev_nc_u32_e32 v143, 42, v0
	s_movk_i32 s5, 0x320
	s_mov_b32 s0, 0
.LBB57_155:                             ; =>This Inner Loop Header: Depth=1
	scratch_load_b64 v[144:145], v142, off
	v_dual_mov_b32 v146, s5 :: v_dual_add_nc_u32 v143, -1, v143
	v_add_nc_u32_e32 v142, 8, v142
	s_add_i32 s5, s5, 8
	ds_load_b64 v[146:147], v146
	v_cmp_eq_u32_e32 vcc_lo, 0, v143
	s_or_b32 s0, vcc_lo, s0
	s_waitcnt vmcnt(0) lgkmcnt(0)
	v_fma_f64 v[117:118], v[144:145], v[146:147], v[117:118]
	s_and_not1_b32 exec_lo, exec_lo, s0
	s_cbranch_execnz .LBB57_155
; %bb.156:
	s_or_b32 exec_lo, exec_lo, s0
.LBB57_157:
	s_delay_alu instid0(SALU_CYCLE_1)
	s_or_b32 exec_lo, exec_lo, s4
	v_mov_b32_e32 v142, 0
	ds_load_b64 v[142:143], v142 offset:328
	s_waitcnt lgkmcnt(0)
	v_mul_f64 v[117:118], v[117:118], v[142:143]
	scratch_store_b64 off, v[117:118], off offset:328
.LBB57_158:
	s_or_b32 exec_lo, exec_lo, s3
	scratch_load_b64 v[117:118], off, off offset:320
	v_cmp_lt_u32_e64 s0, 40, v0
	s_waitcnt vmcnt(0)
	ds_store_b64 v120, v[117:118]
	s_waitcnt lgkmcnt(0)
	s_waitcnt_vscnt null, 0x0
	s_barrier
	buffer_gl0_inv
	s_and_saveexec_b32 s3, s0
	s_cbranch_execz .LBB57_168
; %bb.159:
	s_and_not1_b32 vcc_lo, exec_lo, s2
	s_cbranch_vccnz .LBB57_161
; %bb.160:
	scratch_load_b64 v[117:118], v121, off
	ds_load_b64 v[142:143], v120
	s_waitcnt vmcnt(0) lgkmcnt(0)
	v_mul_f64 v[117:118], v[117:118], v[142:143]
	s_cbranch_execz .LBB57_162
	s_branch .LBB57_163
.LBB57_161:
                                        ; implicit-def: $vgpr117_vgpr118
.LBB57_162:
	ds_load_b64 v[117:118], v120
.LBB57_163:
	s_and_saveexec_b32 s4, s1
	s_cbranch_execz .LBB57_167
; %bb.164:
	v_mov_b32_e32 v142, 0
	v_subrev_nc_u32_e32 v143, 41, v0
	s_movk_i32 s5, 0x318
	s_mov_b32 s1, 0
	s_delay_alu instid0(VALU_DEP_2)
	v_add_nc_u32_e32 v142, 0x148, v142
.LBB57_165:                             ; =>This Inner Loop Header: Depth=1
	scratch_load_b64 v[144:145], v142, off
	v_dual_mov_b32 v146, s5 :: v_dual_add_nc_u32 v143, -1, v143
	v_add_nc_u32_e32 v142, 8, v142
	s_add_i32 s5, s5, 8
	ds_load_b64 v[146:147], v146
	v_cmp_eq_u32_e32 vcc_lo, 0, v143
	s_or_b32 s1, vcc_lo, s1
	s_waitcnt vmcnt(0) lgkmcnt(0)
	v_fma_f64 v[117:118], v[144:145], v[146:147], v[117:118]
	s_and_not1_b32 exec_lo, exec_lo, s1
	s_cbranch_execnz .LBB57_165
; %bb.166:
	s_or_b32 exec_lo, exec_lo, s1
.LBB57_167:
	s_delay_alu instid0(SALU_CYCLE_1)
	s_or_b32 exec_lo, exec_lo, s4
	v_mov_b32_e32 v142, 0
	ds_load_b64 v[142:143], v142 offset:320
	s_waitcnt lgkmcnt(0)
	v_mul_f64 v[117:118], v[117:118], v[142:143]
	scratch_store_b64 off, v[117:118], off offset:320
.LBB57_168:
	s_or_b32 exec_lo, exec_lo, s3
	scratch_load_b64 v[117:118], off, off offset:312
	v_cmp_lt_u32_e64 s1, 39, v0
	s_waitcnt vmcnt(0)
	ds_store_b64 v120, v[117:118]
	s_waitcnt lgkmcnt(0)
	s_waitcnt_vscnt null, 0x0
	s_barrier
	buffer_gl0_inv
	s_and_saveexec_b32 s3, s1
	s_cbranch_execz .LBB57_178
; %bb.169:
	s_and_not1_b32 vcc_lo, exec_lo, s2
	s_cbranch_vccnz .LBB57_171
; %bb.170:
	scratch_load_b64 v[117:118], v121, off
	ds_load_b64 v[142:143], v120
	s_waitcnt vmcnt(0) lgkmcnt(0)
	v_mul_f64 v[117:118], v[117:118], v[142:143]
	s_cbranch_execz .LBB57_172
	s_branch .LBB57_173
.LBB57_171:
                                        ; implicit-def: $vgpr117_vgpr118
.LBB57_172:
	ds_load_b64 v[117:118], v120
.LBB57_173:
	s_and_saveexec_b32 s4, s0
	s_cbranch_execz .LBB57_177
; %bb.174:
	v_subrev_nc_u32_e32 v142, 40, v0
	s_movk_i32 s5, 0x310
	s_mov_b32 s0, 0
.LBB57_175:                             ; =>This Inner Loop Header: Depth=1
	scratch_load_b64 v[143:144], v141, off
	v_dual_mov_b32 v145, s5 :: v_dual_add_nc_u32 v142, -1, v142
	v_add_nc_u32_e32 v141, 8, v141
	s_add_i32 s5, s5, 8
	ds_load_b64 v[145:146], v145
	v_cmp_eq_u32_e32 vcc_lo, 0, v142
	s_or_b32 s0, vcc_lo, s0
	s_waitcnt vmcnt(0) lgkmcnt(0)
	v_fma_f64 v[117:118], v[143:144], v[145:146], v[117:118]
	s_and_not1_b32 exec_lo, exec_lo, s0
	s_cbranch_execnz .LBB57_175
; %bb.176:
	s_or_b32 exec_lo, exec_lo, s0
.LBB57_177:
	s_delay_alu instid0(SALU_CYCLE_1)
	s_or_b32 exec_lo, exec_lo, s4
	v_mov_b32_e32 v141, 0
	ds_load_b64 v[141:142], v141 offset:312
	s_waitcnt lgkmcnt(0)
	v_mul_f64 v[117:118], v[117:118], v[141:142]
	scratch_store_b64 off, v[117:118], off offset:312
.LBB57_178:
	s_or_b32 exec_lo, exec_lo, s3
	scratch_load_b64 v[117:118], off, off offset:304
	v_cmp_lt_u32_e64 s0, 38, v0
	s_waitcnt vmcnt(0)
	ds_store_b64 v120, v[117:118]
	s_waitcnt lgkmcnt(0)
	s_waitcnt_vscnt null, 0x0
	s_barrier
	buffer_gl0_inv
	s_and_saveexec_b32 s3, s0
	s_cbranch_execz .LBB57_188
; %bb.179:
	s_and_not1_b32 vcc_lo, exec_lo, s2
	s_cbranch_vccnz .LBB57_181
; %bb.180:
	scratch_load_b64 v[117:118], v121, off
	ds_load_b64 v[141:142], v120
	s_waitcnt vmcnt(0) lgkmcnt(0)
	v_mul_f64 v[117:118], v[117:118], v[141:142]
	s_cbranch_execz .LBB57_182
	s_branch .LBB57_183
.LBB57_181:
                                        ; implicit-def: $vgpr117_vgpr118
.LBB57_182:
	ds_load_b64 v[117:118], v120
.LBB57_183:
	s_and_saveexec_b32 s4, s1
	s_cbranch_execz .LBB57_187
; %bb.184:
	v_mov_b32_e32 v141, 0
	v_subrev_nc_u32_e32 v142, 39, v0
	s_movk_i32 s5, 0x308
	s_mov_b32 s1, 0
	s_delay_alu instid0(VALU_DEP_2)
	v_add_nc_u32_e32 v141, 0x138, v141
.LBB57_185:                             ; =>This Inner Loop Header: Depth=1
	scratch_load_b64 v[143:144], v141, off
	v_dual_mov_b32 v145, s5 :: v_dual_add_nc_u32 v142, -1, v142
	v_add_nc_u32_e32 v141, 8, v141
	s_add_i32 s5, s5, 8
	ds_load_b64 v[145:146], v145
	v_cmp_eq_u32_e32 vcc_lo, 0, v142
	s_or_b32 s1, vcc_lo, s1
	s_waitcnt vmcnt(0) lgkmcnt(0)
	v_fma_f64 v[117:118], v[143:144], v[145:146], v[117:118]
	s_and_not1_b32 exec_lo, exec_lo, s1
	s_cbranch_execnz .LBB57_185
; %bb.186:
	s_or_b32 exec_lo, exec_lo, s1
.LBB57_187:
	s_delay_alu instid0(SALU_CYCLE_1)
	s_or_b32 exec_lo, exec_lo, s4
	v_mov_b32_e32 v141, 0
	ds_load_b64 v[141:142], v141 offset:304
	s_waitcnt lgkmcnt(0)
	v_mul_f64 v[117:118], v[117:118], v[141:142]
	scratch_store_b64 off, v[117:118], off offset:304
.LBB57_188:
	s_or_b32 exec_lo, exec_lo, s3
	scratch_load_b64 v[117:118], off, off offset:296
	v_cmp_lt_u32_e64 s1, 37, v0
	s_waitcnt vmcnt(0)
	ds_store_b64 v120, v[117:118]
	s_waitcnt lgkmcnt(0)
	s_waitcnt_vscnt null, 0x0
	s_barrier
	buffer_gl0_inv
	s_and_saveexec_b32 s3, s1
	s_cbranch_execz .LBB57_198
; %bb.189:
	s_and_not1_b32 vcc_lo, exec_lo, s2
	s_cbranch_vccnz .LBB57_191
; %bb.190:
	scratch_load_b64 v[117:118], v121, off
	ds_load_b64 v[141:142], v120
	s_waitcnt vmcnt(0) lgkmcnt(0)
	v_mul_f64 v[117:118], v[117:118], v[141:142]
	s_cbranch_execz .LBB57_192
	s_branch .LBB57_193
.LBB57_191:
                                        ; implicit-def: $vgpr117_vgpr118
.LBB57_192:
	ds_load_b64 v[117:118], v120
.LBB57_193:
	s_and_saveexec_b32 s4, s0
	s_cbranch_execz .LBB57_197
; %bb.194:
	v_subrev_nc_u32_e32 v141, 38, v0
	s_movk_i32 s5, 0x300
	s_mov_b32 s0, 0
.LBB57_195:                             ; =>This Inner Loop Header: Depth=1
	scratch_load_b64 v[142:143], v140, off
	v_dual_mov_b32 v144, s5 :: v_dual_add_nc_u32 v141, -1, v141
	v_add_nc_u32_e32 v140, 8, v140
	s_add_i32 s5, s5, 8
	ds_load_b64 v[144:145], v144
	v_cmp_eq_u32_e32 vcc_lo, 0, v141
	s_or_b32 s0, vcc_lo, s0
	s_waitcnt vmcnt(0) lgkmcnt(0)
	v_fma_f64 v[117:118], v[142:143], v[144:145], v[117:118]
	s_and_not1_b32 exec_lo, exec_lo, s0
	s_cbranch_execnz .LBB57_195
; %bb.196:
	s_or_b32 exec_lo, exec_lo, s0
.LBB57_197:
	s_delay_alu instid0(SALU_CYCLE_1)
	s_or_b32 exec_lo, exec_lo, s4
	v_mov_b32_e32 v140, 0
	ds_load_b64 v[140:141], v140 offset:296
	s_waitcnt lgkmcnt(0)
	v_mul_f64 v[117:118], v[117:118], v[140:141]
	scratch_store_b64 off, v[117:118], off offset:296
.LBB57_198:
	s_or_b32 exec_lo, exec_lo, s3
	scratch_load_b64 v[117:118], off, off offset:288
	v_cmp_lt_u32_e64 s0, 36, v0
	s_waitcnt vmcnt(0)
	ds_store_b64 v120, v[117:118]
	s_waitcnt lgkmcnt(0)
	s_waitcnt_vscnt null, 0x0
	s_barrier
	buffer_gl0_inv
	s_and_saveexec_b32 s3, s0
	s_cbranch_execz .LBB57_208
; %bb.199:
	s_and_not1_b32 vcc_lo, exec_lo, s2
	s_cbranch_vccnz .LBB57_201
; %bb.200:
	scratch_load_b64 v[117:118], v121, off
	ds_load_b64 v[140:141], v120
	s_waitcnt vmcnt(0) lgkmcnt(0)
	v_mul_f64 v[117:118], v[117:118], v[140:141]
	s_cbranch_execz .LBB57_202
	s_branch .LBB57_203
.LBB57_201:
                                        ; implicit-def: $vgpr117_vgpr118
.LBB57_202:
	ds_load_b64 v[117:118], v120
.LBB57_203:
	s_and_saveexec_b32 s4, s1
	s_cbranch_execz .LBB57_207
; %bb.204:
	v_mov_b32_e32 v140, 0
	v_subrev_nc_u32_e32 v141, 37, v0
	s_movk_i32 s5, 0x2f8
	s_mov_b32 s1, 0
	s_delay_alu instid0(VALU_DEP_2)
	v_add_nc_u32_e32 v140, 0x128, v140
.LBB57_205:                             ; =>This Inner Loop Header: Depth=1
	scratch_load_b64 v[142:143], v140, off
	v_dual_mov_b32 v144, s5 :: v_dual_add_nc_u32 v141, -1, v141
	v_add_nc_u32_e32 v140, 8, v140
	s_add_i32 s5, s5, 8
	ds_load_b64 v[144:145], v144
	v_cmp_eq_u32_e32 vcc_lo, 0, v141
	s_or_b32 s1, vcc_lo, s1
	s_waitcnt vmcnt(0) lgkmcnt(0)
	v_fma_f64 v[117:118], v[142:143], v[144:145], v[117:118]
	s_and_not1_b32 exec_lo, exec_lo, s1
	s_cbranch_execnz .LBB57_205
; %bb.206:
	s_or_b32 exec_lo, exec_lo, s1
.LBB57_207:
	s_delay_alu instid0(SALU_CYCLE_1)
	s_or_b32 exec_lo, exec_lo, s4
	v_mov_b32_e32 v140, 0
	ds_load_b64 v[140:141], v140 offset:288
	s_waitcnt lgkmcnt(0)
	v_mul_f64 v[117:118], v[117:118], v[140:141]
	scratch_store_b64 off, v[117:118], off offset:288
.LBB57_208:
	s_or_b32 exec_lo, exec_lo, s3
	scratch_load_b64 v[117:118], off, off offset:280
	v_cmp_lt_u32_e64 s1, 35, v0
	s_waitcnt vmcnt(0)
	ds_store_b64 v120, v[117:118]
	s_waitcnt lgkmcnt(0)
	s_waitcnt_vscnt null, 0x0
	s_barrier
	buffer_gl0_inv
	s_and_saveexec_b32 s3, s1
	s_cbranch_execz .LBB57_218
; %bb.209:
	s_and_not1_b32 vcc_lo, exec_lo, s2
	s_cbranch_vccnz .LBB57_211
; %bb.210:
	scratch_load_b64 v[117:118], v121, off
	ds_load_b64 v[140:141], v120
	s_waitcnt vmcnt(0) lgkmcnt(0)
	v_mul_f64 v[117:118], v[117:118], v[140:141]
	s_cbranch_execz .LBB57_212
	s_branch .LBB57_213
.LBB57_211:
                                        ; implicit-def: $vgpr117_vgpr118
.LBB57_212:
	ds_load_b64 v[117:118], v120
.LBB57_213:
	s_and_saveexec_b32 s4, s0
	s_cbranch_execz .LBB57_217
; %bb.214:
	v_subrev_nc_u32_e32 v140, 36, v0
	s_movk_i32 s5, 0x2f0
	s_mov_b32 s0, 0
.LBB57_215:                             ; =>This Inner Loop Header: Depth=1
	scratch_load_b64 v[141:142], v139, off
	v_dual_mov_b32 v143, s5 :: v_dual_add_nc_u32 v140, -1, v140
	v_add_nc_u32_e32 v139, 8, v139
	s_add_i32 s5, s5, 8
	ds_load_b64 v[143:144], v143
	v_cmp_eq_u32_e32 vcc_lo, 0, v140
	s_or_b32 s0, vcc_lo, s0
	s_waitcnt vmcnt(0) lgkmcnt(0)
	v_fma_f64 v[117:118], v[141:142], v[143:144], v[117:118]
	s_and_not1_b32 exec_lo, exec_lo, s0
	s_cbranch_execnz .LBB57_215
; %bb.216:
	s_or_b32 exec_lo, exec_lo, s0
.LBB57_217:
	s_delay_alu instid0(SALU_CYCLE_1)
	s_or_b32 exec_lo, exec_lo, s4
	v_mov_b32_e32 v139, 0
	ds_load_b64 v[139:140], v139 offset:280
	s_waitcnt lgkmcnt(0)
	v_mul_f64 v[117:118], v[117:118], v[139:140]
	scratch_store_b64 off, v[117:118], off offset:280
.LBB57_218:
	s_or_b32 exec_lo, exec_lo, s3
	scratch_load_b64 v[117:118], off, off offset:272
	v_cmp_lt_u32_e64 s0, 34, v0
	s_waitcnt vmcnt(0)
	ds_store_b64 v120, v[117:118]
	s_waitcnt lgkmcnt(0)
	s_waitcnt_vscnt null, 0x0
	s_barrier
	buffer_gl0_inv
	s_and_saveexec_b32 s3, s0
	s_cbranch_execz .LBB57_228
; %bb.219:
	s_and_not1_b32 vcc_lo, exec_lo, s2
	s_cbranch_vccnz .LBB57_221
; %bb.220:
	scratch_load_b64 v[117:118], v121, off
	ds_load_b64 v[139:140], v120
	s_waitcnt vmcnt(0) lgkmcnt(0)
	v_mul_f64 v[117:118], v[117:118], v[139:140]
	s_cbranch_execz .LBB57_222
	s_branch .LBB57_223
.LBB57_221:
                                        ; implicit-def: $vgpr117_vgpr118
.LBB57_222:
	ds_load_b64 v[117:118], v120
.LBB57_223:
	s_and_saveexec_b32 s4, s1
	s_cbranch_execz .LBB57_227
; %bb.224:
	v_mov_b32_e32 v139, 0
	v_subrev_nc_u32_e32 v140, 35, v0
	s_movk_i32 s5, 0x2e8
	s_mov_b32 s1, 0
	s_delay_alu instid0(VALU_DEP_2)
	v_add_nc_u32_e32 v139, 0x118, v139
.LBB57_225:                             ; =>This Inner Loop Header: Depth=1
	scratch_load_b64 v[141:142], v139, off
	v_dual_mov_b32 v143, s5 :: v_dual_add_nc_u32 v140, -1, v140
	v_add_nc_u32_e32 v139, 8, v139
	s_add_i32 s5, s5, 8
	ds_load_b64 v[143:144], v143
	v_cmp_eq_u32_e32 vcc_lo, 0, v140
	s_or_b32 s1, vcc_lo, s1
	s_waitcnt vmcnt(0) lgkmcnt(0)
	v_fma_f64 v[117:118], v[141:142], v[143:144], v[117:118]
	s_and_not1_b32 exec_lo, exec_lo, s1
	s_cbranch_execnz .LBB57_225
; %bb.226:
	s_or_b32 exec_lo, exec_lo, s1
.LBB57_227:
	s_delay_alu instid0(SALU_CYCLE_1)
	s_or_b32 exec_lo, exec_lo, s4
	v_mov_b32_e32 v139, 0
	ds_load_b64 v[139:140], v139 offset:272
	s_waitcnt lgkmcnt(0)
	v_mul_f64 v[117:118], v[117:118], v[139:140]
	scratch_store_b64 off, v[117:118], off offset:272
.LBB57_228:
	s_or_b32 exec_lo, exec_lo, s3
	scratch_load_b64 v[117:118], off, off offset:264
	v_cmp_lt_u32_e64 s1, 33, v0
	s_waitcnt vmcnt(0)
	ds_store_b64 v120, v[117:118]
	s_waitcnt lgkmcnt(0)
	s_waitcnt_vscnt null, 0x0
	s_barrier
	buffer_gl0_inv
	s_and_saveexec_b32 s3, s1
	s_cbranch_execz .LBB57_238
; %bb.229:
	s_and_not1_b32 vcc_lo, exec_lo, s2
	s_cbranch_vccnz .LBB57_231
; %bb.230:
	scratch_load_b64 v[117:118], v121, off
	ds_load_b64 v[139:140], v120
	s_waitcnt vmcnt(0) lgkmcnt(0)
	v_mul_f64 v[117:118], v[117:118], v[139:140]
	s_cbranch_execz .LBB57_232
	s_branch .LBB57_233
.LBB57_231:
                                        ; implicit-def: $vgpr117_vgpr118
.LBB57_232:
	ds_load_b64 v[117:118], v120
.LBB57_233:
	s_and_saveexec_b32 s4, s0
	s_cbranch_execz .LBB57_237
; %bb.234:
	v_subrev_nc_u32_e32 v139, 34, v0
	s_movk_i32 s5, 0x2e0
	s_mov_b32 s0, 0
.LBB57_235:                             ; =>This Inner Loop Header: Depth=1
	scratch_load_b64 v[140:141], v138, off
	v_dual_mov_b32 v142, s5 :: v_dual_add_nc_u32 v139, -1, v139
	v_add_nc_u32_e32 v138, 8, v138
	s_add_i32 s5, s5, 8
	ds_load_b64 v[142:143], v142
	v_cmp_eq_u32_e32 vcc_lo, 0, v139
	s_or_b32 s0, vcc_lo, s0
	s_waitcnt vmcnt(0) lgkmcnt(0)
	v_fma_f64 v[117:118], v[140:141], v[142:143], v[117:118]
	s_and_not1_b32 exec_lo, exec_lo, s0
	s_cbranch_execnz .LBB57_235
; %bb.236:
	s_or_b32 exec_lo, exec_lo, s0
.LBB57_237:
	s_delay_alu instid0(SALU_CYCLE_1)
	s_or_b32 exec_lo, exec_lo, s4
	v_mov_b32_e32 v138, 0
	ds_load_b64 v[138:139], v138 offset:264
	s_waitcnt lgkmcnt(0)
	v_mul_f64 v[117:118], v[117:118], v[138:139]
	scratch_store_b64 off, v[117:118], off offset:264
.LBB57_238:
	s_or_b32 exec_lo, exec_lo, s3
	scratch_load_b64 v[117:118], off, off offset:256
	v_cmp_lt_u32_e64 s0, 32, v0
	s_waitcnt vmcnt(0)
	ds_store_b64 v120, v[117:118]
	s_waitcnt lgkmcnt(0)
	s_waitcnt_vscnt null, 0x0
	s_barrier
	buffer_gl0_inv
	s_and_saveexec_b32 s3, s0
	s_cbranch_execz .LBB57_248
; %bb.239:
	s_and_not1_b32 vcc_lo, exec_lo, s2
	s_cbranch_vccnz .LBB57_241
; %bb.240:
	scratch_load_b64 v[117:118], v121, off
	ds_load_b64 v[138:139], v120
	s_waitcnt vmcnt(0) lgkmcnt(0)
	v_mul_f64 v[117:118], v[117:118], v[138:139]
	s_cbranch_execz .LBB57_242
	s_branch .LBB57_243
.LBB57_241:
                                        ; implicit-def: $vgpr117_vgpr118
.LBB57_242:
	ds_load_b64 v[117:118], v120
.LBB57_243:
	s_and_saveexec_b32 s4, s1
	s_cbranch_execz .LBB57_247
; %bb.244:
	v_mov_b32_e32 v138, 0
	v_subrev_nc_u32_e32 v139, 33, v0
	s_movk_i32 s5, 0x2d8
	s_mov_b32 s1, 0
	s_delay_alu instid0(VALU_DEP_2)
	v_add_nc_u32_e32 v138, 0x108, v138
.LBB57_245:                             ; =>This Inner Loop Header: Depth=1
	scratch_load_b64 v[140:141], v138, off
	v_dual_mov_b32 v142, s5 :: v_dual_add_nc_u32 v139, -1, v139
	v_add_nc_u32_e32 v138, 8, v138
	s_add_i32 s5, s5, 8
	ds_load_b64 v[142:143], v142
	v_cmp_eq_u32_e32 vcc_lo, 0, v139
	s_or_b32 s1, vcc_lo, s1
	s_waitcnt vmcnt(0) lgkmcnt(0)
	v_fma_f64 v[117:118], v[140:141], v[142:143], v[117:118]
	s_and_not1_b32 exec_lo, exec_lo, s1
	s_cbranch_execnz .LBB57_245
; %bb.246:
	s_or_b32 exec_lo, exec_lo, s1
.LBB57_247:
	s_delay_alu instid0(SALU_CYCLE_1)
	s_or_b32 exec_lo, exec_lo, s4
	v_mov_b32_e32 v138, 0
	ds_load_b64 v[138:139], v138 offset:256
	s_waitcnt lgkmcnt(0)
	v_mul_f64 v[117:118], v[117:118], v[138:139]
	scratch_store_b64 off, v[117:118], off offset:256
.LBB57_248:
	s_or_b32 exec_lo, exec_lo, s3
	scratch_load_b64 v[117:118], off, off offset:248
	v_cmp_lt_u32_e64 s1, 31, v0
	s_waitcnt vmcnt(0)
	ds_store_b64 v120, v[117:118]
	s_waitcnt lgkmcnt(0)
	s_waitcnt_vscnt null, 0x0
	s_barrier
	buffer_gl0_inv
	s_and_saveexec_b32 s3, s1
	s_cbranch_execz .LBB57_258
; %bb.249:
	s_and_not1_b32 vcc_lo, exec_lo, s2
	s_cbranch_vccnz .LBB57_251
; %bb.250:
	scratch_load_b64 v[117:118], v121, off
	ds_load_b64 v[138:139], v120
	s_waitcnt vmcnt(0) lgkmcnt(0)
	v_mul_f64 v[117:118], v[117:118], v[138:139]
	s_cbranch_execz .LBB57_252
	s_branch .LBB57_253
.LBB57_251:
                                        ; implicit-def: $vgpr117_vgpr118
.LBB57_252:
	ds_load_b64 v[117:118], v120
.LBB57_253:
	s_and_saveexec_b32 s4, s0
	s_cbranch_execz .LBB57_257
; %bb.254:
	v_subrev_nc_u32_e32 v138, 32, v0
	s_movk_i32 s5, 0x2d0
	s_mov_b32 s0, 0
.LBB57_255:                             ; =>This Inner Loop Header: Depth=1
	scratch_load_b64 v[139:140], v137, off
	v_dual_mov_b32 v141, s5 :: v_dual_add_nc_u32 v138, -1, v138
	v_add_nc_u32_e32 v137, 8, v137
	s_add_i32 s5, s5, 8
	ds_load_b64 v[141:142], v141
	v_cmp_eq_u32_e32 vcc_lo, 0, v138
	s_or_b32 s0, vcc_lo, s0
	s_waitcnt vmcnt(0) lgkmcnt(0)
	v_fma_f64 v[117:118], v[139:140], v[141:142], v[117:118]
	s_and_not1_b32 exec_lo, exec_lo, s0
	s_cbranch_execnz .LBB57_255
; %bb.256:
	s_or_b32 exec_lo, exec_lo, s0
.LBB57_257:
	s_delay_alu instid0(SALU_CYCLE_1)
	s_or_b32 exec_lo, exec_lo, s4
	v_mov_b32_e32 v137, 0
	ds_load_b64 v[137:138], v137 offset:248
	s_waitcnt lgkmcnt(0)
	v_mul_f64 v[117:118], v[117:118], v[137:138]
	scratch_store_b64 off, v[117:118], off offset:248
.LBB57_258:
	s_or_b32 exec_lo, exec_lo, s3
	scratch_load_b64 v[117:118], off, off offset:240
	v_cmp_lt_u32_e64 s0, 30, v0
	s_waitcnt vmcnt(0)
	ds_store_b64 v120, v[117:118]
	s_waitcnt lgkmcnt(0)
	s_waitcnt_vscnt null, 0x0
	s_barrier
	buffer_gl0_inv
	s_and_saveexec_b32 s3, s0
	s_cbranch_execz .LBB57_268
; %bb.259:
	s_and_not1_b32 vcc_lo, exec_lo, s2
	s_cbranch_vccnz .LBB57_261
; %bb.260:
	scratch_load_b64 v[117:118], v121, off
	ds_load_b64 v[137:138], v120
	s_waitcnt vmcnt(0) lgkmcnt(0)
	v_mul_f64 v[117:118], v[117:118], v[137:138]
	s_cbranch_execz .LBB57_262
	s_branch .LBB57_263
.LBB57_261:
                                        ; implicit-def: $vgpr117_vgpr118
.LBB57_262:
	ds_load_b64 v[117:118], v120
.LBB57_263:
	s_and_saveexec_b32 s4, s1
	s_cbranch_execz .LBB57_267
; %bb.264:
	v_mov_b32_e32 v137, 0
	v_subrev_nc_u32_e32 v138, 31, v0
	s_movk_i32 s5, 0x2c8
	s_mov_b32 s1, 0
	s_delay_alu instid0(VALU_DEP_2)
	v_add_nc_u32_e32 v137, 0xf8, v137
.LBB57_265:                             ; =>This Inner Loop Header: Depth=1
	scratch_load_b64 v[139:140], v137, off
	v_dual_mov_b32 v141, s5 :: v_dual_add_nc_u32 v138, -1, v138
	v_add_nc_u32_e32 v137, 8, v137
	s_add_i32 s5, s5, 8
	ds_load_b64 v[141:142], v141
	v_cmp_eq_u32_e32 vcc_lo, 0, v138
	s_or_b32 s1, vcc_lo, s1
	s_waitcnt vmcnt(0) lgkmcnt(0)
	v_fma_f64 v[117:118], v[139:140], v[141:142], v[117:118]
	s_and_not1_b32 exec_lo, exec_lo, s1
	s_cbranch_execnz .LBB57_265
; %bb.266:
	s_or_b32 exec_lo, exec_lo, s1
.LBB57_267:
	s_delay_alu instid0(SALU_CYCLE_1)
	s_or_b32 exec_lo, exec_lo, s4
	v_mov_b32_e32 v137, 0
	ds_load_b64 v[137:138], v137 offset:240
	s_waitcnt lgkmcnt(0)
	v_mul_f64 v[117:118], v[117:118], v[137:138]
	scratch_store_b64 off, v[117:118], off offset:240
.LBB57_268:
	s_or_b32 exec_lo, exec_lo, s3
	scratch_load_b64 v[117:118], off, off offset:232
	v_cmp_lt_u32_e64 s1, 29, v0
	s_waitcnt vmcnt(0)
	ds_store_b64 v120, v[117:118]
	s_waitcnt lgkmcnt(0)
	s_waitcnt_vscnt null, 0x0
	s_barrier
	buffer_gl0_inv
	s_and_saveexec_b32 s3, s1
	s_cbranch_execz .LBB57_278
; %bb.269:
	s_and_not1_b32 vcc_lo, exec_lo, s2
	s_cbranch_vccnz .LBB57_271
; %bb.270:
	scratch_load_b64 v[117:118], v121, off
	ds_load_b64 v[137:138], v120
	s_waitcnt vmcnt(0) lgkmcnt(0)
	v_mul_f64 v[117:118], v[117:118], v[137:138]
	s_cbranch_execz .LBB57_272
	s_branch .LBB57_273
.LBB57_271:
                                        ; implicit-def: $vgpr117_vgpr118
.LBB57_272:
	ds_load_b64 v[117:118], v120
.LBB57_273:
	s_and_saveexec_b32 s4, s0
	s_cbranch_execz .LBB57_277
; %bb.274:
	v_subrev_nc_u32_e32 v137, 30, v0
	s_movk_i32 s5, 0x2c0
	s_mov_b32 s0, 0
.LBB57_275:                             ; =>This Inner Loop Header: Depth=1
	scratch_load_b64 v[138:139], v136, off
	v_dual_mov_b32 v140, s5 :: v_dual_add_nc_u32 v137, -1, v137
	v_add_nc_u32_e32 v136, 8, v136
	s_add_i32 s5, s5, 8
	ds_load_b64 v[140:141], v140
	v_cmp_eq_u32_e32 vcc_lo, 0, v137
	s_or_b32 s0, vcc_lo, s0
	s_waitcnt vmcnt(0) lgkmcnt(0)
	v_fma_f64 v[117:118], v[138:139], v[140:141], v[117:118]
	s_and_not1_b32 exec_lo, exec_lo, s0
	s_cbranch_execnz .LBB57_275
; %bb.276:
	s_or_b32 exec_lo, exec_lo, s0
.LBB57_277:
	s_delay_alu instid0(SALU_CYCLE_1)
	s_or_b32 exec_lo, exec_lo, s4
	v_mov_b32_e32 v136, 0
	ds_load_b64 v[136:137], v136 offset:232
	s_waitcnt lgkmcnt(0)
	v_mul_f64 v[117:118], v[117:118], v[136:137]
	scratch_store_b64 off, v[117:118], off offset:232
.LBB57_278:
	s_or_b32 exec_lo, exec_lo, s3
	scratch_load_b64 v[117:118], off, off offset:224
	v_cmp_lt_u32_e64 s0, 28, v0
	s_waitcnt vmcnt(0)
	ds_store_b64 v120, v[117:118]
	s_waitcnt lgkmcnt(0)
	s_waitcnt_vscnt null, 0x0
	s_barrier
	buffer_gl0_inv
	s_and_saveexec_b32 s3, s0
	s_cbranch_execz .LBB57_288
; %bb.279:
	s_and_not1_b32 vcc_lo, exec_lo, s2
	s_cbranch_vccnz .LBB57_281
; %bb.280:
	scratch_load_b64 v[117:118], v121, off
	ds_load_b64 v[136:137], v120
	s_waitcnt vmcnt(0) lgkmcnt(0)
	v_mul_f64 v[117:118], v[117:118], v[136:137]
	s_cbranch_execz .LBB57_282
	s_branch .LBB57_283
.LBB57_281:
                                        ; implicit-def: $vgpr117_vgpr118
.LBB57_282:
	ds_load_b64 v[117:118], v120
.LBB57_283:
	s_and_saveexec_b32 s4, s1
	s_cbranch_execz .LBB57_287
; %bb.284:
	v_mov_b32_e32 v136, 0
	v_subrev_nc_u32_e32 v137, 29, v0
	s_movk_i32 s5, 0x2b8
	s_mov_b32 s1, 0
	s_delay_alu instid0(VALU_DEP_2)
	v_add_nc_u32_e32 v136, 0xe8, v136
.LBB57_285:                             ; =>This Inner Loop Header: Depth=1
	scratch_load_b64 v[138:139], v136, off
	v_dual_mov_b32 v140, s5 :: v_dual_add_nc_u32 v137, -1, v137
	v_add_nc_u32_e32 v136, 8, v136
	s_add_i32 s5, s5, 8
	ds_load_b64 v[140:141], v140
	v_cmp_eq_u32_e32 vcc_lo, 0, v137
	s_or_b32 s1, vcc_lo, s1
	s_waitcnt vmcnt(0) lgkmcnt(0)
	v_fma_f64 v[117:118], v[138:139], v[140:141], v[117:118]
	s_and_not1_b32 exec_lo, exec_lo, s1
	s_cbranch_execnz .LBB57_285
; %bb.286:
	s_or_b32 exec_lo, exec_lo, s1
.LBB57_287:
	s_delay_alu instid0(SALU_CYCLE_1)
	s_or_b32 exec_lo, exec_lo, s4
	v_mov_b32_e32 v136, 0
	ds_load_b64 v[136:137], v136 offset:224
	s_waitcnt lgkmcnt(0)
	v_mul_f64 v[117:118], v[117:118], v[136:137]
	scratch_store_b64 off, v[117:118], off offset:224
.LBB57_288:
	s_or_b32 exec_lo, exec_lo, s3
	scratch_load_b64 v[117:118], off, off offset:216
	v_cmp_lt_u32_e64 s1, 27, v0
	s_waitcnt vmcnt(0)
	ds_store_b64 v120, v[117:118]
	s_waitcnt lgkmcnt(0)
	s_waitcnt_vscnt null, 0x0
	s_barrier
	buffer_gl0_inv
	s_and_saveexec_b32 s3, s1
	s_cbranch_execz .LBB57_298
; %bb.289:
	s_and_not1_b32 vcc_lo, exec_lo, s2
	s_cbranch_vccnz .LBB57_291
; %bb.290:
	scratch_load_b64 v[117:118], v121, off
	ds_load_b64 v[136:137], v120
	s_waitcnt vmcnt(0) lgkmcnt(0)
	v_mul_f64 v[117:118], v[117:118], v[136:137]
	s_cbranch_execz .LBB57_292
	s_branch .LBB57_293
.LBB57_291:
                                        ; implicit-def: $vgpr117_vgpr118
.LBB57_292:
	ds_load_b64 v[117:118], v120
.LBB57_293:
	s_and_saveexec_b32 s4, s0
	s_cbranch_execz .LBB57_297
; %bb.294:
	v_subrev_nc_u32_e32 v136, 28, v0
	s_movk_i32 s5, 0x2b0
	s_mov_b32 s0, 0
.LBB57_295:                             ; =>This Inner Loop Header: Depth=1
	scratch_load_b64 v[137:138], v135, off
	v_dual_mov_b32 v139, s5 :: v_dual_add_nc_u32 v136, -1, v136
	v_add_nc_u32_e32 v135, 8, v135
	s_add_i32 s5, s5, 8
	ds_load_b64 v[139:140], v139
	v_cmp_eq_u32_e32 vcc_lo, 0, v136
	s_or_b32 s0, vcc_lo, s0
	s_waitcnt vmcnt(0) lgkmcnt(0)
	v_fma_f64 v[117:118], v[137:138], v[139:140], v[117:118]
	s_and_not1_b32 exec_lo, exec_lo, s0
	s_cbranch_execnz .LBB57_295
; %bb.296:
	s_or_b32 exec_lo, exec_lo, s0
.LBB57_297:
	s_delay_alu instid0(SALU_CYCLE_1)
	s_or_b32 exec_lo, exec_lo, s4
	v_mov_b32_e32 v135, 0
	ds_load_b64 v[135:136], v135 offset:216
	s_waitcnt lgkmcnt(0)
	v_mul_f64 v[117:118], v[117:118], v[135:136]
	scratch_store_b64 off, v[117:118], off offset:216
.LBB57_298:
	s_or_b32 exec_lo, exec_lo, s3
	scratch_load_b64 v[117:118], off, off offset:208
	v_cmp_lt_u32_e64 s0, 26, v0
	s_waitcnt vmcnt(0)
	ds_store_b64 v120, v[117:118]
	s_waitcnt lgkmcnt(0)
	s_waitcnt_vscnt null, 0x0
	s_barrier
	buffer_gl0_inv
	s_and_saveexec_b32 s3, s0
	s_cbranch_execz .LBB57_308
; %bb.299:
	s_and_not1_b32 vcc_lo, exec_lo, s2
	s_cbranch_vccnz .LBB57_301
; %bb.300:
	scratch_load_b64 v[117:118], v121, off
	ds_load_b64 v[135:136], v120
	s_waitcnt vmcnt(0) lgkmcnt(0)
	v_mul_f64 v[117:118], v[117:118], v[135:136]
	s_cbranch_execz .LBB57_302
	s_branch .LBB57_303
.LBB57_301:
                                        ; implicit-def: $vgpr117_vgpr118
.LBB57_302:
	ds_load_b64 v[117:118], v120
.LBB57_303:
	s_and_saveexec_b32 s4, s1
	s_cbranch_execz .LBB57_307
; %bb.304:
	v_mov_b32_e32 v135, 0
	v_subrev_nc_u32_e32 v136, 27, v0
	s_movk_i32 s5, 0x2a8
	s_mov_b32 s1, 0
	s_delay_alu instid0(VALU_DEP_2)
	v_add_nc_u32_e32 v135, 0xd8, v135
.LBB57_305:                             ; =>This Inner Loop Header: Depth=1
	scratch_load_b64 v[137:138], v135, off
	v_dual_mov_b32 v139, s5 :: v_dual_add_nc_u32 v136, -1, v136
	v_add_nc_u32_e32 v135, 8, v135
	s_add_i32 s5, s5, 8
	ds_load_b64 v[139:140], v139
	v_cmp_eq_u32_e32 vcc_lo, 0, v136
	s_or_b32 s1, vcc_lo, s1
	s_waitcnt vmcnt(0) lgkmcnt(0)
	v_fma_f64 v[117:118], v[137:138], v[139:140], v[117:118]
	s_and_not1_b32 exec_lo, exec_lo, s1
	s_cbranch_execnz .LBB57_305
; %bb.306:
	s_or_b32 exec_lo, exec_lo, s1
.LBB57_307:
	s_delay_alu instid0(SALU_CYCLE_1)
	s_or_b32 exec_lo, exec_lo, s4
	v_mov_b32_e32 v135, 0
	ds_load_b64 v[135:136], v135 offset:208
	s_waitcnt lgkmcnt(0)
	v_mul_f64 v[117:118], v[117:118], v[135:136]
	scratch_store_b64 off, v[117:118], off offset:208
.LBB57_308:
	s_or_b32 exec_lo, exec_lo, s3
	scratch_load_b64 v[117:118], off, off offset:200
	v_cmp_lt_u32_e64 s1, 25, v0
	s_waitcnt vmcnt(0)
	ds_store_b64 v120, v[117:118]
	s_waitcnt lgkmcnt(0)
	s_waitcnt_vscnt null, 0x0
	s_barrier
	buffer_gl0_inv
	s_and_saveexec_b32 s3, s1
	s_cbranch_execz .LBB57_318
; %bb.309:
	s_and_not1_b32 vcc_lo, exec_lo, s2
	s_cbranch_vccnz .LBB57_311
; %bb.310:
	scratch_load_b64 v[117:118], v121, off
	ds_load_b64 v[135:136], v120
	s_waitcnt vmcnt(0) lgkmcnt(0)
	v_mul_f64 v[117:118], v[117:118], v[135:136]
	s_cbranch_execz .LBB57_312
	s_branch .LBB57_313
.LBB57_311:
                                        ; implicit-def: $vgpr117_vgpr118
.LBB57_312:
	ds_load_b64 v[117:118], v120
.LBB57_313:
	s_and_saveexec_b32 s4, s0
	s_cbranch_execz .LBB57_317
; %bb.314:
	v_subrev_nc_u32_e32 v135, 26, v0
	s_movk_i32 s5, 0x2a0
	s_mov_b32 s0, 0
.LBB57_315:                             ; =>This Inner Loop Header: Depth=1
	scratch_load_b64 v[136:137], v134, off
	v_dual_mov_b32 v138, s5 :: v_dual_add_nc_u32 v135, -1, v135
	v_add_nc_u32_e32 v134, 8, v134
	s_add_i32 s5, s5, 8
	ds_load_b64 v[138:139], v138
	v_cmp_eq_u32_e32 vcc_lo, 0, v135
	s_or_b32 s0, vcc_lo, s0
	s_waitcnt vmcnt(0) lgkmcnt(0)
	v_fma_f64 v[117:118], v[136:137], v[138:139], v[117:118]
	s_and_not1_b32 exec_lo, exec_lo, s0
	s_cbranch_execnz .LBB57_315
; %bb.316:
	s_or_b32 exec_lo, exec_lo, s0
.LBB57_317:
	s_delay_alu instid0(SALU_CYCLE_1)
	s_or_b32 exec_lo, exec_lo, s4
	v_mov_b32_e32 v134, 0
	ds_load_b64 v[134:135], v134 offset:200
	s_waitcnt lgkmcnt(0)
	v_mul_f64 v[117:118], v[117:118], v[134:135]
	scratch_store_b64 off, v[117:118], off offset:200
.LBB57_318:
	s_or_b32 exec_lo, exec_lo, s3
	scratch_load_b64 v[117:118], off, off offset:192
	v_cmp_lt_u32_e64 s0, 24, v0
	s_waitcnt vmcnt(0)
	ds_store_b64 v120, v[117:118]
	s_waitcnt lgkmcnt(0)
	s_waitcnt_vscnt null, 0x0
	s_barrier
	buffer_gl0_inv
	s_and_saveexec_b32 s3, s0
	s_cbranch_execz .LBB57_328
; %bb.319:
	s_and_not1_b32 vcc_lo, exec_lo, s2
	s_cbranch_vccnz .LBB57_321
; %bb.320:
	scratch_load_b64 v[117:118], v121, off
	ds_load_b64 v[134:135], v120
	s_waitcnt vmcnt(0) lgkmcnt(0)
	v_mul_f64 v[117:118], v[117:118], v[134:135]
	s_cbranch_execz .LBB57_322
	s_branch .LBB57_323
.LBB57_321:
                                        ; implicit-def: $vgpr117_vgpr118
.LBB57_322:
	ds_load_b64 v[117:118], v120
.LBB57_323:
	s_and_saveexec_b32 s4, s1
	s_cbranch_execz .LBB57_327
; %bb.324:
	v_mov_b32_e32 v134, 0
	v_subrev_nc_u32_e32 v135, 25, v0
	s_movk_i32 s5, 0x298
	s_mov_b32 s1, 0
	s_delay_alu instid0(VALU_DEP_2)
	v_add_nc_u32_e32 v134, 0xc8, v134
.LBB57_325:                             ; =>This Inner Loop Header: Depth=1
	scratch_load_b64 v[136:137], v134, off
	v_dual_mov_b32 v138, s5 :: v_dual_add_nc_u32 v135, -1, v135
	v_add_nc_u32_e32 v134, 8, v134
	s_add_i32 s5, s5, 8
	ds_load_b64 v[138:139], v138
	v_cmp_eq_u32_e32 vcc_lo, 0, v135
	s_or_b32 s1, vcc_lo, s1
	s_waitcnt vmcnt(0) lgkmcnt(0)
	v_fma_f64 v[117:118], v[136:137], v[138:139], v[117:118]
	s_and_not1_b32 exec_lo, exec_lo, s1
	s_cbranch_execnz .LBB57_325
; %bb.326:
	s_or_b32 exec_lo, exec_lo, s1
.LBB57_327:
	s_delay_alu instid0(SALU_CYCLE_1)
	s_or_b32 exec_lo, exec_lo, s4
	v_mov_b32_e32 v134, 0
	ds_load_b64 v[134:135], v134 offset:192
	s_waitcnt lgkmcnt(0)
	v_mul_f64 v[117:118], v[117:118], v[134:135]
	scratch_store_b64 off, v[117:118], off offset:192
.LBB57_328:
	s_or_b32 exec_lo, exec_lo, s3
	scratch_load_b64 v[117:118], off, off offset:184
	v_cmp_lt_u32_e64 s1, 23, v0
	s_waitcnt vmcnt(0)
	ds_store_b64 v120, v[117:118]
	s_waitcnt lgkmcnt(0)
	s_waitcnt_vscnt null, 0x0
	s_barrier
	buffer_gl0_inv
	s_and_saveexec_b32 s3, s1
	s_cbranch_execz .LBB57_338
; %bb.329:
	s_and_not1_b32 vcc_lo, exec_lo, s2
	s_cbranch_vccnz .LBB57_331
; %bb.330:
	scratch_load_b64 v[117:118], v121, off
	ds_load_b64 v[134:135], v120
	s_waitcnt vmcnt(0) lgkmcnt(0)
	v_mul_f64 v[117:118], v[117:118], v[134:135]
	s_cbranch_execz .LBB57_332
	s_branch .LBB57_333
.LBB57_331:
                                        ; implicit-def: $vgpr117_vgpr118
.LBB57_332:
	ds_load_b64 v[117:118], v120
.LBB57_333:
	s_and_saveexec_b32 s4, s0
	s_cbranch_execz .LBB57_337
; %bb.334:
	v_subrev_nc_u32_e32 v134, 24, v0
	s_movk_i32 s5, 0x290
	s_mov_b32 s0, 0
.LBB57_335:                             ; =>This Inner Loop Header: Depth=1
	scratch_load_b64 v[135:136], v133, off
	v_dual_mov_b32 v137, s5 :: v_dual_add_nc_u32 v134, -1, v134
	v_add_nc_u32_e32 v133, 8, v133
	s_add_i32 s5, s5, 8
	ds_load_b64 v[137:138], v137
	v_cmp_eq_u32_e32 vcc_lo, 0, v134
	s_or_b32 s0, vcc_lo, s0
	s_waitcnt vmcnt(0) lgkmcnt(0)
	v_fma_f64 v[117:118], v[135:136], v[137:138], v[117:118]
	s_and_not1_b32 exec_lo, exec_lo, s0
	s_cbranch_execnz .LBB57_335
; %bb.336:
	s_or_b32 exec_lo, exec_lo, s0
.LBB57_337:
	s_delay_alu instid0(SALU_CYCLE_1)
	s_or_b32 exec_lo, exec_lo, s4
	v_mov_b32_e32 v133, 0
	ds_load_b64 v[133:134], v133 offset:184
	s_waitcnt lgkmcnt(0)
	v_mul_f64 v[117:118], v[117:118], v[133:134]
	scratch_store_b64 off, v[117:118], off offset:184
.LBB57_338:
	s_or_b32 exec_lo, exec_lo, s3
	scratch_load_b64 v[117:118], off, off offset:176
	v_cmp_lt_u32_e64 s0, 22, v0
	s_waitcnt vmcnt(0)
	ds_store_b64 v120, v[117:118]
	s_waitcnt lgkmcnt(0)
	s_waitcnt_vscnt null, 0x0
	s_barrier
	buffer_gl0_inv
	s_and_saveexec_b32 s3, s0
	s_cbranch_execz .LBB57_348
; %bb.339:
	s_and_not1_b32 vcc_lo, exec_lo, s2
	s_cbranch_vccnz .LBB57_341
; %bb.340:
	scratch_load_b64 v[117:118], v121, off
	ds_load_b64 v[133:134], v120
	s_waitcnt vmcnt(0) lgkmcnt(0)
	v_mul_f64 v[117:118], v[117:118], v[133:134]
	s_cbranch_execz .LBB57_342
	s_branch .LBB57_343
.LBB57_341:
                                        ; implicit-def: $vgpr117_vgpr118
.LBB57_342:
	ds_load_b64 v[117:118], v120
.LBB57_343:
	s_and_saveexec_b32 s4, s1
	s_cbranch_execz .LBB57_347
; %bb.344:
	v_mov_b32_e32 v133, 0
	v_subrev_nc_u32_e32 v134, 23, v0
	s_movk_i32 s5, 0x288
	s_mov_b32 s1, 0
	s_delay_alu instid0(VALU_DEP_2)
	v_add_nc_u32_e32 v133, 0xb8, v133
.LBB57_345:                             ; =>This Inner Loop Header: Depth=1
	scratch_load_b64 v[135:136], v133, off
	v_dual_mov_b32 v137, s5 :: v_dual_add_nc_u32 v134, -1, v134
	v_add_nc_u32_e32 v133, 8, v133
	s_add_i32 s5, s5, 8
	ds_load_b64 v[137:138], v137
	v_cmp_eq_u32_e32 vcc_lo, 0, v134
	s_or_b32 s1, vcc_lo, s1
	s_waitcnt vmcnt(0) lgkmcnt(0)
	v_fma_f64 v[117:118], v[135:136], v[137:138], v[117:118]
	s_and_not1_b32 exec_lo, exec_lo, s1
	s_cbranch_execnz .LBB57_345
; %bb.346:
	s_or_b32 exec_lo, exec_lo, s1
.LBB57_347:
	s_delay_alu instid0(SALU_CYCLE_1)
	s_or_b32 exec_lo, exec_lo, s4
	v_mov_b32_e32 v133, 0
	ds_load_b64 v[133:134], v133 offset:176
	s_waitcnt lgkmcnt(0)
	v_mul_f64 v[117:118], v[117:118], v[133:134]
	scratch_store_b64 off, v[117:118], off offset:176
.LBB57_348:
	s_or_b32 exec_lo, exec_lo, s3
	scratch_load_b64 v[117:118], off, off offset:168
	v_cmp_lt_u32_e64 s1, 21, v0
	s_waitcnt vmcnt(0)
	ds_store_b64 v120, v[117:118]
	s_waitcnt lgkmcnt(0)
	s_waitcnt_vscnt null, 0x0
	s_barrier
	buffer_gl0_inv
	s_and_saveexec_b32 s3, s1
	s_cbranch_execz .LBB57_358
; %bb.349:
	s_and_not1_b32 vcc_lo, exec_lo, s2
	s_cbranch_vccnz .LBB57_351
; %bb.350:
	scratch_load_b64 v[117:118], v121, off
	ds_load_b64 v[133:134], v120
	s_waitcnt vmcnt(0) lgkmcnt(0)
	v_mul_f64 v[117:118], v[117:118], v[133:134]
	s_cbranch_execz .LBB57_352
	s_branch .LBB57_353
.LBB57_351:
                                        ; implicit-def: $vgpr117_vgpr118
.LBB57_352:
	ds_load_b64 v[117:118], v120
.LBB57_353:
	s_and_saveexec_b32 s4, s0
	s_cbranch_execz .LBB57_357
; %bb.354:
	v_subrev_nc_u32_e32 v133, 22, v0
	s_movk_i32 s5, 0x280
	s_mov_b32 s0, 0
.LBB57_355:                             ; =>This Inner Loop Header: Depth=1
	scratch_load_b64 v[134:135], v132, off
	v_dual_mov_b32 v136, s5 :: v_dual_add_nc_u32 v133, -1, v133
	v_add_nc_u32_e32 v132, 8, v132
	s_add_i32 s5, s5, 8
	ds_load_b64 v[136:137], v136
	v_cmp_eq_u32_e32 vcc_lo, 0, v133
	s_or_b32 s0, vcc_lo, s0
	s_waitcnt vmcnt(0) lgkmcnt(0)
	v_fma_f64 v[117:118], v[134:135], v[136:137], v[117:118]
	s_and_not1_b32 exec_lo, exec_lo, s0
	s_cbranch_execnz .LBB57_355
; %bb.356:
	s_or_b32 exec_lo, exec_lo, s0
.LBB57_357:
	s_delay_alu instid0(SALU_CYCLE_1)
	s_or_b32 exec_lo, exec_lo, s4
	v_mov_b32_e32 v132, 0
	ds_load_b64 v[132:133], v132 offset:168
	s_waitcnt lgkmcnt(0)
	v_mul_f64 v[117:118], v[117:118], v[132:133]
	scratch_store_b64 off, v[117:118], off offset:168
.LBB57_358:
	s_or_b32 exec_lo, exec_lo, s3
	scratch_load_b64 v[117:118], off, off offset:160
	v_cmp_lt_u32_e64 s0, 20, v0
	s_waitcnt vmcnt(0)
	ds_store_b64 v120, v[117:118]
	s_waitcnt lgkmcnt(0)
	s_waitcnt_vscnt null, 0x0
	s_barrier
	buffer_gl0_inv
	s_and_saveexec_b32 s3, s0
	s_cbranch_execz .LBB57_368
; %bb.359:
	s_and_not1_b32 vcc_lo, exec_lo, s2
	s_cbranch_vccnz .LBB57_361
; %bb.360:
	scratch_load_b64 v[117:118], v121, off
	ds_load_b64 v[132:133], v120
	s_waitcnt vmcnt(0) lgkmcnt(0)
	v_mul_f64 v[117:118], v[117:118], v[132:133]
	s_cbranch_execz .LBB57_362
	s_branch .LBB57_363
.LBB57_361:
                                        ; implicit-def: $vgpr117_vgpr118
.LBB57_362:
	ds_load_b64 v[117:118], v120
.LBB57_363:
	s_and_saveexec_b32 s4, s1
	s_cbranch_execz .LBB57_367
; %bb.364:
	v_mov_b32_e32 v132, 0
	v_subrev_nc_u32_e32 v133, 21, v0
	s_movk_i32 s5, 0x278
	s_mov_b32 s1, 0
	s_delay_alu instid0(VALU_DEP_2)
	v_add_nc_u32_e32 v132, 0xa8, v132
.LBB57_365:                             ; =>This Inner Loop Header: Depth=1
	scratch_load_b64 v[134:135], v132, off
	v_dual_mov_b32 v136, s5 :: v_dual_add_nc_u32 v133, -1, v133
	v_add_nc_u32_e32 v132, 8, v132
	s_add_i32 s5, s5, 8
	ds_load_b64 v[136:137], v136
	v_cmp_eq_u32_e32 vcc_lo, 0, v133
	s_or_b32 s1, vcc_lo, s1
	s_waitcnt vmcnt(0) lgkmcnt(0)
	v_fma_f64 v[117:118], v[134:135], v[136:137], v[117:118]
	s_and_not1_b32 exec_lo, exec_lo, s1
	s_cbranch_execnz .LBB57_365
; %bb.366:
	s_or_b32 exec_lo, exec_lo, s1
.LBB57_367:
	s_delay_alu instid0(SALU_CYCLE_1)
	s_or_b32 exec_lo, exec_lo, s4
	v_mov_b32_e32 v132, 0
	ds_load_b64 v[132:133], v132 offset:160
	s_waitcnt lgkmcnt(0)
	v_mul_f64 v[117:118], v[117:118], v[132:133]
	scratch_store_b64 off, v[117:118], off offset:160
.LBB57_368:
	s_or_b32 exec_lo, exec_lo, s3
	scratch_load_b64 v[117:118], off, off offset:152
	v_cmp_lt_u32_e64 s1, 19, v0
	s_waitcnt vmcnt(0)
	ds_store_b64 v120, v[117:118]
	s_waitcnt lgkmcnt(0)
	s_waitcnt_vscnt null, 0x0
	s_barrier
	buffer_gl0_inv
	s_and_saveexec_b32 s3, s1
	s_cbranch_execz .LBB57_378
; %bb.369:
	s_and_not1_b32 vcc_lo, exec_lo, s2
	s_cbranch_vccnz .LBB57_371
; %bb.370:
	scratch_load_b64 v[117:118], v121, off
	ds_load_b64 v[132:133], v120
	s_waitcnt vmcnt(0) lgkmcnt(0)
	v_mul_f64 v[117:118], v[117:118], v[132:133]
	s_cbranch_execz .LBB57_372
	s_branch .LBB57_373
.LBB57_371:
                                        ; implicit-def: $vgpr117_vgpr118
.LBB57_372:
	ds_load_b64 v[117:118], v120
.LBB57_373:
	s_and_saveexec_b32 s4, s0
	s_cbranch_execz .LBB57_377
; %bb.374:
	v_subrev_nc_u32_e32 v132, 20, v0
	s_movk_i32 s5, 0x270
	s_mov_b32 s0, 0
.LBB57_375:                             ; =>This Inner Loop Header: Depth=1
	scratch_load_b64 v[133:134], v131, off
	v_dual_mov_b32 v135, s5 :: v_dual_add_nc_u32 v132, -1, v132
	v_add_nc_u32_e32 v131, 8, v131
	s_add_i32 s5, s5, 8
	ds_load_b64 v[135:136], v135
	v_cmp_eq_u32_e32 vcc_lo, 0, v132
	s_or_b32 s0, vcc_lo, s0
	s_waitcnt vmcnt(0) lgkmcnt(0)
	v_fma_f64 v[117:118], v[133:134], v[135:136], v[117:118]
	s_and_not1_b32 exec_lo, exec_lo, s0
	s_cbranch_execnz .LBB57_375
; %bb.376:
	s_or_b32 exec_lo, exec_lo, s0
.LBB57_377:
	s_delay_alu instid0(SALU_CYCLE_1)
	s_or_b32 exec_lo, exec_lo, s4
	v_mov_b32_e32 v131, 0
	ds_load_b64 v[131:132], v131 offset:152
	s_waitcnt lgkmcnt(0)
	v_mul_f64 v[117:118], v[117:118], v[131:132]
	scratch_store_b64 off, v[117:118], off offset:152
.LBB57_378:
	s_or_b32 exec_lo, exec_lo, s3
	scratch_load_b64 v[117:118], off, off offset:144
	v_cmp_lt_u32_e64 s0, 18, v0
	s_waitcnt vmcnt(0)
	ds_store_b64 v120, v[117:118]
	s_waitcnt lgkmcnt(0)
	s_waitcnt_vscnt null, 0x0
	s_barrier
	buffer_gl0_inv
	s_and_saveexec_b32 s3, s0
	s_cbranch_execz .LBB57_388
; %bb.379:
	s_and_not1_b32 vcc_lo, exec_lo, s2
	s_cbranch_vccnz .LBB57_381
; %bb.380:
	scratch_load_b64 v[117:118], v121, off
	ds_load_b64 v[131:132], v120
	s_waitcnt vmcnt(0) lgkmcnt(0)
	v_mul_f64 v[117:118], v[117:118], v[131:132]
	s_cbranch_execz .LBB57_382
	s_branch .LBB57_383
.LBB57_381:
                                        ; implicit-def: $vgpr117_vgpr118
.LBB57_382:
	ds_load_b64 v[117:118], v120
.LBB57_383:
	s_and_saveexec_b32 s4, s1
	s_cbranch_execz .LBB57_387
; %bb.384:
	v_mov_b32_e32 v131, 0
	v_subrev_nc_u32_e32 v132, 19, v0
	s_movk_i32 s5, 0x268
	s_mov_b32 s1, 0
	s_delay_alu instid0(VALU_DEP_2)
	v_add_nc_u32_e32 v131, 0x98, v131
.LBB57_385:                             ; =>This Inner Loop Header: Depth=1
	scratch_load_b64 v[133:134], v131, off
	v_dual_mov_b32 v135, s5 :: v_dual_add_nc_u32 v132, -1, v132
	v_add_nc_u32_e32 v131, 8, v131
	s_add_i32 s5, s5, 8
	ds_load_b64 v[135:136], v135
	v_cmp_eq_u32_e32 vcc_lo, 0, v132
	s_or_b32 s1, vcc_lo, s1
	s_waitcnt vmcnt(0) lgkmcnt(0)
	v_fma_f64 v[117:118], v[133:134], v[135:136], v[117:118]
	s_and_not1_b32 exec_lo, exec_lo, s1
	s_cbranch_execnz .LBB57_385
; %bb.386:
	s_or_b32 exec_lo, exec_lo, s1
.LBB57_387:
	s_delay_alu instid0(SALU_CYCLE_1)
	s_or_b32 exec_lo, exec_lo, s4
	v_mov_b32_e32 v131, 0
	ds_load_b64 v[131:132], v131 offset:144
	s_waitcnt lgkmcnt(0)
	v_mul_f64 v[117:118], v[117:118], v[131:132]
	scratch_store_b64 off, v[117:118], off offset:144
.LBB57_388:
	s_or_b32 exec_lo, exec_lo, s3
	scratch_load_b64 v[117:118], off, off offset:136
	v_cmp_lt_u32_e64 s1, 17, v0
	s_waitcnt vmcnt(0)
	ds_store_b64 v120, v[117:118]
	s_waitcnt lgkmcnt(0)
	s_waitcnt_vscnt null, 0x0
	s_barrier
	buffer_gl0_inv
	s_and_saveexec_b32 s3, s1
	s_cbranch_execz .LBB57_398
; %bb.389:
	s_and_not1_b32 vcc_lo, exec_lo, s2
	s_cbranch_vccnz .LBB57_391
; %bb.390:
	scratch_load_b64 v[117:118], v121, off
	ds_load_b64 v[131:132], v120
	s_waitcnt vmcnt(0) lgkmcnt(0)
	v_mul_f64 v[117:118], v[117:118], v[131:132]
	s_cbranch_execz .LBB57_392
	s_branch .LBB57_393
.LBB57_391:
                                        ; implicit-def: $vgpr117_vgpr118
.LBB57_392:
	ds_load_b64 v[117:118], v120
.LBB57_393:
	s_and_saveexec_b32 s4, s0
	s_cbranch_execz .LBB57_397
; %bb.394:
	v_subrev_nc_u32_e32 v131, 18, v0
	s_movk_i32 s5, 0x260
	s_mov_b32 s0, 0
.LBB57_395:                             ; =>This Inner Loop Header: Depth=1
	scratch_load_b64 v[132:133], v130, off
	v_dual_mov_b32 v134, s5 :: v_dual_add_nc_u32 v131, -1, v131
	v_add_nc_u32_e32 v130, 8, v130
	s_add_i32 s5, s5, 8
	ds_load_b64 v[134:135], v134
	v_cmp_eq_u32_e32 vcc_lo, 0, v131
	s_or_b32 s0, vcc_lo, s0
	s_waitcnt vmcnt(0) lgkmcnt(0)
	v_fma_f64 v[117:118], v[132:133], v[134:135], v[117:118]
	s_and_not1_b32 exec_lo, exec_lo, s0
	s_cbranch_execnz .LBB57_395
; %bb.396:
	s_or_b32 exec_lo, exec_lo, s0
.LBB57_397:
	s_delay_alu instid0(SALU_CYCLE_1)
	s_or_b32 exec_lo, exec_lo, s4
	v_mov_b32_e32 v130, 0
	ds_load_b64 v[130:131], v130 offset:136
	s_waitcnt lgkmcnt(0)
	v_mul_f64 v[117:118], v[117:118], v[130:131]
	scratch_store_b64 off, v[117:118], off offset:136
.LBB57_398:
	s_or_b32 exec_lo, exec_lo, s3
	scratch_load_b64 v[117:118], off, off offset:128
	v_cmp_lt_u32_e64 s0, 16, v0
	s_waitcnt vmcnt(0)
	ds_store_b64 v120, v[117:118]
	s_waitcnt lgkmcnt(0)
	s_waitcnt_vscnt null, 0x0
	s_barrier
	buffer_gl0_inv
	s_and_saveexec_b32 s3, s0
	s_cbranch_execz .LBB57_408
; %bb.399:
	s_and_not1_b32 vcc_lo, exec_lo, s2
	s_cbranch_vccnz .LBB57_401
; %bb.400:
	scratch_load_b64 v[117:118], v121, off
	ds_load_b64 v[130:131], v120
	s_waitcnt vmcnt(0) lgkmcnt(0)
	v_mul_f64 v[117:118], v[117:118], v[130:131]
	s_cbranch_execz .LBB57_402
	s_branch .LBB57_403
.LBB57_401:
                                        ; implicit-def: $vgpr117_vgpr118
.LBB57_402:
	ds_load_b64 v[117:118], v120
.LBB57_403:
	s_and_saveexec_b32 s4, s1
	s_cbranch_execz .LBB57_407
; %bb.404:
	v_mov_b32_e32 v130, 0
	v_subrev_nc_u32_e32 v131, 17, v0
	s_movk_i32 s5, 0x258
	s_mov_b32 s1, 0
	s_delay_alu instid0(VALU_DEP_2)
	v_add_nc_u32_e32 v130, 0x88, v130
.LBB57_405:                             ; =>This Inner Loop Header: Depth=1
	scratch_load_b64 v[132:133], v130, off
	v_dual_mov_b32 v134, s5 :: v_dual_add_nc_u32 v131, -1, v131
	v_add_nc_u32_e32 v130, 8, v130
	s_add_i32 s5, s5, 8
	ds_load_b64 v[134:135], v134
	v_cmp_eq_u32_e32 vcc_lo, 0, v131
	s_or_b32 s1, vcc_lo, s1
	s_waitcnt vmcnt(0) lgkmcnt(0)
	v_fma_f64 v[117:118], v[132:133], v[134:135], v[117:118]
	s_and_not1_b32 exec_lo, exec_lo, s1
	s_cbranch_execnz .LBB57_405
; %bb.406:
	s_or_b32 exec_lo, exec_lo, s1
.LBB57_407:
	s_delay_alu instid0(SALU_CYCLE_1)
	s_or_b32 exec_lo, exec_lo, s4
	v_mov_b32_e32 v130, 0
	ds_load_b64 v[130:131], v130 offset:128
	s_waitcnt lgkmcnt(0)
	v_mul_f64 v[117:118], v[117:118], v[130:131]
	scratch_store_b64 off, v[117:118], off offset:128
.LBB57_408:
	s_or_b32 exec_lo, exec_lo, s3
	scratch_load_b64 v[117:118], off, off offset:120
	v_cmp_lt_u32_e64 s1, 15, v0
	s_waitcnt vmcnt(0)
	ds_store_b64 v120, v[117:118]
	s_waitcnt lgkmcnt(0)
	s_waitcnt_vscnt null, 0x0
	s_barrier
	buffer_gl0_inv
	s_and_saveexec_b32 s3, s1
	s_cbranch_execz .LBB57_418
; %bb.409:
	s_and_not1_b32 vcc_lo, exec_lo, s2
	s_cbranch_vccnz .LBB57_411
; %bb.410:
	scratch_load_b64 v[117:118], v121, off
	ds_load_b64 v[130:131], v120
	s_waitcnt vmcnt(0) lgkmcnt(0)
	v_mul_f64 v[117:118], v[117:118], v[130:131]
	s_cbranch_execz .LBB57_412
	s_branch .LBB57_413
.LBB57_411:
                                        ; implicit-def: $vgpr117_vgpr118
.LBB57_412:
	ds_load_b64 v[117:118], v120
.LBB57_413:
	s_and_saveexec_b32 s4, s0
	s_cbranch_execz .LBB57_417
; %bb.414:
	v_add_nc_u32_e32 v130, -16, v0
	s_movk_i32 s5, 0x250
	s_mov_b32 s0, 0
.LBB57_415:                             ; =>This Inner Loop Header: Depth=1
	scratch_load_b64 v[131:132], v129, off
	v_dual_mov_b32 v133, s5 :: v_dual_add_nc_u32 v130, -1, v130
	v_add_nc_u32_e32 v129, 8, v129
	s_add_i32 s5, s5, 8
	ds_load_b64 v[133:134], v133
	v_cmp_eq_u32_e32 vcc_lo, 0, v130
	s_or_b32 s0, vcc_lo, s0
	s_waitcnt vmcnt(0) lgkmcnt(0)
	v_fma_f64 v[117:118], v[131:132], v[133:134], v[117:118]
	s_and_not1_b32 exec_lo, exec_lo, s0
	s_cbranch_execnz .LBB57_415
; %bb.416:
	s_or_b32 exec_lo, exec_lo, s0
.LBB57_417:
	s_delay_alu instid0(SALU_CYCLE_1)
	s_or_b32 exec_lo, exec_lo, s4
	v_mov_b32_e32 v129, 0
	ds_load_b64 v[129:130], v129 offset:120
	s_waitcnt lgkmcnt(0)
	v_mul_f64 v[117:118], v[117:118], v[129:130]
	scratch_store_b64 off, v[117:118], off offset:120
.LBB57_418:
	s_or_b32 exec_lo, exec_lo, s3
	scratch_load_b64 v[117:118], off, off offset:112
	v_cmp_lt_u32_e64 s0, 14, v0
	s_waitcnt vmcnt(0)
	ds_store_b64 v120, v[117:118]
	s_waitcnt lgkmcnt(0)
	s_waitcnt_vscnt null, 0x0
	s_barrier
	buffer_gl0_inv
	s_and_saveexec_b32 s3, s0
	s_cbranch_execz .LBB57_428
; %bb.419:
	s_and_not1_b32 vcc_lo, exec_lo, s2
	s_cbranch_vccnz .LBB57_421
; %bb.420:
	scratch_load_b64 v[117:118], v121, off
	ds_load_b64 v[129:130], v120
	s_waitcnt vmcnt(0) lgkmcnt(0)
	v_mul_f64 v[117:118], v[117:118], v[129:130]
	s_cbranch_execz .LBB57_422
	s_branch .LBB57_423
.LBB57_421:
                                        ; implicit-def: $vgpr117_vgpr118
.LBB57_422:
	ds_load_b64 v[117:118], v120
.LBB57_423:
	s_and_saveexec_b32 s4, s1
	s_cbranch_execz .LBB57_427
; %bb.424:
	v_dual_mov_b32 v129, 0 :: v_dual_add_nc_u32 v130, -15, v0
	s_movk_i32 s5, 0x248
	s_mov_b32 s1, 0
	s_delay_alu instid0(VALU_DEP_1)
	v_add_nc_u32_e32 v129, 0x78, v129
.LBB57_425:                             ; =>This Inner Loop Header: Depth=1
	scratch_load_b64 v[131:132], v129, off
	v_dual_mov_b32 v133, s5 :: v_dual_add_nc_u32 v130, -1, v130
	v_add_nc_u32_e32 v129, 8, v129
	s_add_i32 s5, s5, 8
	ds_load_b64 v[133:134], v133
	v_cmp_eq_u32_e32 vcc_lo, 0, v130
	s_or_b32 s1, vcc_lo, s1
	s_waitcnt vmcnt(0) lgkmcnt(0)
	v_fma_f64 v[117:118], v[131:132], v[133:134], v[117:118]
	s_and_not1_b32 exec_lo, exec_lo, s1
	s_cbranch_execnz .LBB57_425
; %bb.426:
	s_or_b32 exec_lo, exec_lo, s1
.LBB57_427:
	s_delay_alu instid0(SALU_CYCLE_1)
	s_or_b32 exec_lo, exec_lo, s4
	v_mov_b32_e32 v129, 0
	ds_load_b64 v[129:130], v129 offset:112
	s_waitcnt lgkmcnt(0)
	v_mul_f64 v[117:118], v[117:118], v[129:130]
	scratch_store_b64 off, v[117:118], off offset:112
.LBB57_428:
	s_or_b32 exec_lo, exec_lo, s3
	scratch_load_b64 v[117:118], off, off offset:104
	v_cmp_lt_u32_e64 s1, 13, v0
	s_waitcnt vmcnt(0)
	ds_store_b64 v120, v[117:118]
	s_waitcnt lgkmcnt(0)
	s_waitcnt_vscnt null, 0x0
	s_barrier
	buffer_gl0_inv
	s_and_saveexec_b32 s3, s1
	s_cbranch_execz .LBB57_438
; %bb.429:
	s_and_not1_b32 vcc_lo, exec_lo, s2
	s_cbranch_vccnz .LBB57_431
; %bb.430:
	scratch_load_b64 v[117:118], v121, off
	ds_load_b64 v[129:130], v120
	s_waitcnt vmcnt(0) lgkmcnt(0)
	v_mul_f64 v[117:118], v[117:118], v[129:130]
	s_cbranch_execz .LBB57_432
	s_branch .LBB57_433
.LBB57_431:
                                        ; implicit-def: $vgpr117_vgpr118
.LBB57_432:
	ds_load_b64 v[117:118], v120
.LBB57_433:
	s_and_saveexec_b32 s4, s0
	s_cbranch_execz .LBB57_437
; %bb.434:
	v_add_nc_u32_e32 v129, -14, v0
	s_movk_i32 s5, 0x240
	s_mov_b32 s0, 0
.LBB57_435:                             ; =>This Inner Loop Header: Depth=1
	scratch_load_b64 v[130:131], v128, off
	v_dual_mov_b32 v132, s5 :: v_dual_add_nc_u32 v129, -1, v129
	v_add_nc_u32_e32 v128, 8, v128
	s_add_i32 s5, s5, 8
	ds_load_b64 v[132:133], v132
	v_cmp_eq_u32_e32 vcc_lo, 0, v129
	s_or_b32 s0, vcc_lo, s0
	s_waitcnt vmcnt(0) lgkmcnt(0)
	v_fma_f64 v[117:118], v[130:131], v[132:133], v[117:118]
	s_and_not1_b32 exec_lo, exec_lo, s0
	s_cbranch_execnz .LBB57_435
; %bb.436:
	s_or_b32 exec_lo, exec_lo, s0
.LBB57_437:
	s_delay_alu instid0(SALU_CYCLE_1)
	s_or_b32 exec_lo, exec_lo, s4
	v_mov_b32_e32 v128, 0
	ds_load_b64 v[128:129], v128 offset:104
	s_waitcnt lgkmcnt(0)
	v_mul_f64 v[117:118], v[117:118], v[128:129]
	scratch_store_b64 off, v[117:118], off offset:104
.LBB57_438:
	s_or_b32 exec_lo, exec_lo, s3
	scratch_load_b64 v[117:118], off, off offset:96
	v_cmp_lt_u32_e64 s0, 12, v0
	s_waitcnt vmcnt(0)
	ds_store_b64 v120, v[117:118]
	s_waitcnt lgkmcnt(0)
	s_waitcnt_vscnt null, 0x0
	s_barrier
	buffer_gl0_inv
	s_and_saveexec_b32 s3, s0
	s_cbranch_execz .LBB57_448
; %bb.439:
	s_and_not1_b32 vcc_lo, exec_lo, s2
	s_cbranch_vccnz .LBB57_441
; %bb.440:
	scratch_load_b64 v[117:118], v121, off
	ds_load_b64 v[128:129], v120
	s_waitcnt vmcnt(0) lgkmcnt(0)
	v_mul_f64 v[117:118], v[117:118], v[128:129]
	s_cbranch_execz .LBB57_442
	s_branch .LBB57_443
.LBB57_441:
                                        ; implicit-def: $vgpr117_vgpr118
.LBB57_442:
	ds_load_b64 v[117:118], v120
.LBB57_443:
	s_and_saveexec_b32 s4, s1
	s_cbranch_execz .LBB57_447
; %bb.444:
	v_dual_mov_b32 v128, 0 :: v_dual_add_nc_u32 v129, -13, v0
	s_movk_i32 s5, 0x238
	s_mov_b32 s1, 0
	s_delay_alu instid0(VALU_DEP_1)
	v_add_nc_u32_e32 v128, 0x68, v128
.LBB57_445:                             ; =>This Inner Loop Header: Depth=1
	scratch_load_b64 v[130:131], v128, off
	v_dual_mov_b32 v132, s5 :: v_dual_add_nc_u32 v129, -1, v129
	v_add_nc_u32_e32 v128, 8, v128
	s_add_i32 s5, s5, 8
	ds_load_b64 v[132:133], v132
	v_cmp_eq_u32_e32 vcc_lo, 0, v129
	s_or_b32 s1, vcc_lo, s1
	s_waitcnt vmcnt(0) lgkmcnt(0)
	v_fma_f64 v[117:118], v[130:131], v[132:133], v[117:118]
	s_and_not1_b32 exec_lo, exec_lo, s1
	s_cbranch_execnz .LBB57_445
; %bb.446:
	s_or_b32 exec_lo, exec_lo, s1
.LBB57_447:
	s_delay_alu instid0(SALU_CYCLE_1)
	s_or_b32 exec_lo, exec_lo, s4
	v_mov_b32_e32 v128, 0
	ds_load_b64 v[128:129], v128 offset:96
	s_waitcnt lgkmcnt(0)
	v_mul_f64 v[117:118], v[117:118], v[128:129]
	scratch_store_b64 off, v[117:118], off offset:96
.LBB57_448:
	s_or_b32 exec_lo, exec_lo, s3
	scratch_load_b64 v[117:118], off, off offset:88
	v_cmp_lt_u32_e64 s1, 11, v0
	s_waitcnt vmcnt(0)
	ds_store_b64 v120, v[117:118]
	s_waitcnt lgkmcnt(0)
	s_waitcnt_vscnt null, 0x0
	s_barrier
	buffer_gl0_inv
	s_and_saveexec_b32 s3, s1
	s_cbranch_execz .LBB57_458
; %bb.449:
	s_and_not1_b32 vcc_lo, exec_lo, s2
	s_cbranch_vccnz .LBB57_451
; %bb.450:
	scratch_load_b64 v[117:118], v121, off
	ds_load_b64 v[128:129], v120
	s_waitcnt vmcnt(0) lgkmcnt(0)
	v_mul_f64 v[117:118], v[117:118], v[128:129]
	s_cbranch_execz .LBB57_452
	s_branch .LBB57_453
.LBB57_451:
                                        ; implicit-def: $vgpr117_vgpr118
.LBB57_452:
	ds_load_b64 v[117:118], v120
.LBB57_453:
	s_and_saveexec_b32 s4, s0
	s_cbranch_execz .LBB57_457
; %bb.454:
	v_add_nc_u32_e32 v128, -12, v0
	s_movk_i32 s5, 0x230
	s_mov_b32 s0, 0
.LBB57_455:                             ; =>This Inner Loop Header: Depth=1
	scratch_load_b64 v[129:130], v127, off
	v_dual_mov_b32 v131, s5 :: v_dual_add_nc_u32 v128, -1, v128
	v_add_nc_u32_e32 v127, 8, v127
	s_add_i32 s5, s5, 8
	ds_load_b64 v[131:132], v131
	v_cmp_eq_u32_e32 vcc_lo, 0, v128
	s_or_b32 s0, vcc_lo, s0
	s_waitcnt vmcnt(0) lgkmcnt(0)
	v_fma_f64 v[117:118], v[129:130], v[131:132], v[117:118]
	s_and_not1_b32 exec_lo, exec_lo, s0
	s_cbranch_execnz .LBB57_455
; %bb.456:
	s_or_b32 exec_lo, exec_lo, s0
.LBB57_457:
	s_delay_alu instid0(SALU_CYCLE_1)
	s_or_b32 exec_lo, exec_lo, s4
	v_mov_b32_e32 v127, 0
	ds_load_b64 v[127:128], v127 offset:88
	s_waitcnt lgkmcnt(0)
	v_mul_f64 v[117:118], v[117:118], v[127:128]
	scratch_store_b64 off, v[117:118], off offset:88
.LBB57_458:
	s_or_b32 exec_lo, exec_lo, s3
	scratch_load_b64 v[117:118], off, off offset:80
	v_cmp_lt_u32_e64 s0, 10, v0
	s_waitcnt vmcnt(0)
	ds_store_b64 v120, v[117:118]
	s_waitcnt lgkmcnt(0)
	s_waitcnt_vscnt null, 0x0
	s_barrier
	buffer_gl0_inv
	s_and_saveexec_b32 s3, s0
	s_cbranch_execz .LBB57_468
; %bb.459:
	s_and_not1_b32 vcc_lo, exec_lo, s2
	s_cbranch_vccnz .LBB57_461
; %bb.460:
	scratch_load_b64 v[117:118], v121, off
	ds_load_b64 v[127:128], v120
	s_waitcnt vmcnt(0) lgkmcnt(0)
	v_mul_f64 v[117:118], v[117:118], v[127:128]
	s_cbranch_execz .LBB57_462
	s_branch .LBB57_463
.LBB57_461:
                                        ; implicit-def: $vgpr117_vgpr118
.LBB57_462:
	ds_load_b64 v[117:118], v120
.LBB57_463:
	s_and_saveexec_b32 s4, s1
	s_cbranch_execz .LBB57_467
; %bb.464:
	v_dual_mov_b32 v127, 0 :: v_dual_add_nc_u32 v128, -11, v0
	s_movk_i32 s5, 0x228
	s_mov_b32 s1, 0
	s_delay_alu instid0(VALU_DEP_1)
	v_add_nc_u32_e32 v127, 0x58, v127
.LBB57_465:                             ; =>This Inner Loop Header: Depth=1
	scratch_load_b64 v[129:130], v127, off
	v_dual_mov_b32 v131, s5 :: v_dual_add_nc_u32 v128, -1, v128
	v_add_nc_u32_e32 v127, 8, v127
	s_add_i32 s5, s5, 8
	ds_load_b64 v[131:132], v131
	v_cmp_eq_u32_e32 vcc_lo, 0, v128
	s_or_b32 s1, vcc_lo, s1
	s_waitcnt vmcnt(0) lgkmcnt(0)
	v_fma_f64 v[117:118], v[129:130], v[131:132], v[117:118]
	s_and_not1_b32 exec_lo, exec_lo, s1
	s_cbranch_execnz .LBB57_465
; %bb.466:
	s_or_b32 exec_lo, exec_lo, s1
.LBB57_467:
	s_delay_alu instid0(SALU_CYCLE_1)
	s_or_b32 exec_lo, exec_lo, s4
	v_mov_b32_e32 v127, 0
	ds_load_b64 v[127:128], v127 offset:80
	s_waitcnt lgkmcnt(0)
	v_mul_f64 v[117:118], v[117:118], v[127:128]
	scratch_store_b64 off, v[117:118], off offset:80
.LBB57_468:
	s_or_b32 exec_lo, exec_lo, s3
	scratch_load_b64 v[117:118], off, off offset:72
	v_cmp_lt_u32_e64 s1, 9, v0
	s_waitcnt vmcnt(0)
	ds_store_b64 v120, v[117:118]
	s_waitcnt lgkmcnt(0)
	s_waitcnt_vscnt null, 0x0
	s_barrier
	buffer_gl0_inv
	s_and_saveexec_b32 s3, s1
	s_cbranch_execz .LBB57_478
; %bb.469:
	s_and_not1_b32 vcc_lo, exec_lo, s2
	s_cbranch_vccnz .LBB57_471
; %bb.470:
	scratch_load_b64 v[117:118], v121, off
	ds_load_b64 v[127:128], v120
	s_waitcnt vmcnt(0) lgkmcnt(0)
	v_mul_f64 v[117:118], v[117:118], v[127:128]
	s_cbranch_execz .LBB57_472
	s_branch .LBB57_473
.LBB57_471:
                                        ; implicit-def: $vgpr117_vgpr118
.LBB57_472:
	ds_load_b64 v[117:118], v120
.LBB57_473:
	s_and_saveexec_b32 s4, s0
	s_cbranch_execz .LBB57_477
; %bb.474:
	v_add_nc_u32_e32 v127, -10, v0
	s_movk_i32 s5, 0x220
	s_mov_b32 s0, 0
.LBB57_475:                             ; =>This Inner Loop Header: Depth=1
	scratch_load_b64 v[128:129], v126, off
	v_dual_mov_b32 v130, s5 :: v_dual_add_nc_u32 v127, -1, v127
	v_add_nc_u32_e32 v126, 8, v126
	s_add_i32 s5, s5, 8
	ds_load_b64 v[130:131], v130
	v_cmp_eq_u32_e32 vcc_lo, 0, v127
	s_or_b32 s0, vcc_lo, s0
	s_waitcnt vmcnt(0) lgkmcnt(0)
	v_fma_f64 v[117:118], v[128:129], v[130:131], v[117:118]
	s_and_not1_b32 exec_lo, exec_lo, s0
	s_cbranch_execnz .LBB57_475
; %bb.476:
	s_or_b32 exec_lo, exec_lo, s0
.LBB57_477:
	s_delay_alu instid0(SALU_CYCLE_1)
	s_or_b32 exec_lo, exec_lo, s4
	v_mov_b32_e32 v126, 0
	ds_load_b64 v[126:127], v126 offset:72
	s_waitcnt lgkmcnt(0)
	v_mul_f64 v[117:118], v[117:118], v[126:127]
	scratch_store_b64 off, v[117:118], off offset:72
.LBB57_478:
	s_or_b32 exec_lo, exec_lo, s3
	scratch_load_b64 v[117:118], off, off offset:64
	v_cmp_lt_u32_e64 s0, 8, v0
	s_waitcnt vmcnt(0)
	ds_store_b64 v120, v[117:118]
	s_waitcnt lgkmcnt(0)
	s_waitcnt_vscnt null, 0x0
	s_barrier
	buffer_gl0_inv
	s_and_saveexec_b32 s3, s0
	s_cbranch_execz .LBB57_488
; %bb.479:
	s_and_not1_b32 vcc_lo, exec_lo, s2
	s_cbranch_vccnz .LBB57_481
; %bb.480:
	scratch_load_b64 v[117:118], v121, off
	ds_load_b64 v[126:127], v120
	s_waitcnt vmcnt(0) lgkmcnt(0)
	v_mul_f64 v[117:118], v[117:118], v[126:127]
	s_cbranch_execz .LBB57_482
	s_branch .LBB57_483
.LBB57_481:
                                        ; implicit-def: $vgpr117_vgpr118
.LBB57_482:
	ds_load_b64 v[117:118], v120
.LBB57_483:
	s_and_saveexec_b32 s4, s1
	s_cbranch_execz .LBB57_487
; %bb.484:
	v_dual_mov_b32 v126, 0 :: v_dual_add_nc_u32 v127, -9, v0
	s_movk_i32 s5, 0x218
	s_mov_b32 s1, 0
	s_delay_alu instid0(VALU_DEP_1)
	v_add_nc_u32_e32 v126, 0x48, v126
.LBB57_485:                             ; =>This Inner Loop Header: Depth=1
	scratch_load_b64 v[128:129], v126, off
	v_dual_mov_b32 v130, s5 :: v_dual_add_nc_u32 v127, -1, v127
	v_add_nc_u32_e32 v126, 8, v126
	s_add_i32 s5, s5, 8
	ds_load_b64 v[130:131], v130
	v_cmp_eq_u32_e32 vcc_lo, 0, v127
	s_or_b32 s1, vcc_lo, s1
	s_waitcnt vmcnt(0) lgkmcnt(0)
	v_fma_f64 v[117:118], v[128:129], v[130:131], v[117:118]
	s_and_not1_b32 exec_lo, exec_lo, s1
	s_cbranch_execnz .LBB57_485
; %bb.486:
	s_or_b32 exec_lo, exec_lo, s1
.LBB57_487:
	s_delay_alu instid0(SALU_CYCLE_1)
	s_or_b32 exec_lo, exec_lo, s4
	v_mov_b32_e32 v126, 0
	ds_load_b64 v[126:127], v126 offset:64
	s_waitcnt lgkmcnt(0)
	v_mul_f64 v[117:118], v[117:118], v[126:127]
	scratch_store_b64 off, v[117:118], off offset:64
.LBB57_488:
	s_or_b32 exec_lo, exec_lo, s3
	scratch_load_b64 v[117:118], off, off offset:56
	v_cmp_lt_u32_e64 s1, 7, v0
	s_waitcnt vmcnt(0)
	ds_store_b64 v120, v[117:118]
	s_waitcnt lgkmcnt(0)
	s_waitcnt_vscnt null, 0x0
	s_barrier
	buffer_gl0_inv
	s_and_saveexec_b32 s3, s1
	s_cbranch_execz .LBB57_498
; %bb.489:
	s_and_not1_b32 vcc_lo, exec_lo, s2
	s_cbranch_vccnz .LBB57_491
; %bb.490:
	scratch_load_b64 v[117:118], v121, off
	ds_load_b64 v[126:127], v120
	s_waitcnt vmcnt(0) lgkmcnt(0)
	v_mul_f64 v[117:118], v[117:118], v[126:127]
	s_cbranch_execz .LBB57_492
	s_branch .LBB57_493
.LBB57_491:
                                        ; implicit-def: $vgpr117_vgpr118
.LBB57_492:
	ds_load_b64 v[117:118], v120
.LBB57_493:
	s_and_saveexec_b32 s4, s0
	s_cbranch_execz .LBB57_497
; %bb.494:
	v_add_nc_u32_e32 v126, -8, v0
	s_movk_i32 s5, 0x210
	s_mov_b32 s0, 0
.LBB57_495:                             ; =>This Inner Loop Header: Depth=1
	scratch_load_b64 v[127:128], v125, off
	v_dual_mov_b32 v129, s5 :: v_dual_add_nc_u32 v126, -1, v126
	v_add_nc_u32_e32 v125, 8, v125
	s_add_i32 s5, s5, 8
	ds_load_b64 v[129:130], v129
	v_cmp_eq_u32_e32 vcc_lo, 0, v126
	s_or_b32 s0, vcc_lo, s0
	s_waitcnt vmcnt(0) lgkmcnt(0)
	v_fma_f64 v[117:118], v[127:128], v[129:130], v[117:118]
	s_and_not1_b32 exec_lo, exec_lo, s0
	s_cbranch_execnz .LBB57_495
; %bb.496:
	s_or_b32 exec_lo, exec_lo, s0
.LBB57_497:
	s_delay_alu instid0(SALU_CYCLE_1)
	s_or_b32 exec_lo, exec_lo, s4
	v_mov_b32_e32 v125, 0
	ds_load_b64 v[125:126], v125 offset:56
	s_waitcnt lgkmcnt(0)
	v_mul_f64 v[117:118], v[117:118], v[125:126]
	scratch_store_b64 off, v[117:118], off offset:56
.LBB57_498:
	s_or_b32 exec_lo, exec_lo, s3
	scratch_load_b64 v[117:118], off, off offset:48
	v_cmp_lt_u32_e64 s0, 6, v0
	s_waitcnt vmcnt(0)
	ds_store_b64 v120, v[117:118]
	s_waitcnt lgkmcnt(0)
	s_waitcnt_vscnt null, 0x0
	s_barrier
	buffer_gl0_inv
	s_and_saveexec_b32 s3, s0
	s_cbranch_execz .LBB57_508
; %bb.499:
	s_and_not1_b32 vcc_lo, exec_lo, s2
	s_cbranch_vccnz .LBB57_501
; %bb.500:
	scratch_load_b64 v[117:118], v121, off
	ds_load_b64 v[125:126], v120
	s_waitcnt vmcnt(0) lgkmcnt(0)
	v_mul_f64 v[117:118], v[117:118], v[125:126]
	s_cbranch_execz .LBB57_502
	s_branch .LBB57_503
.LBB57_501:
                                        ; implicit-def: $vgpr117_vgpr118
.LBB57_502:
	ds_load_b64 v[117:118], v120
.LBB57_503:
	s_and_saveexec_b32 s4, s1
	s_cbranch_execz .LBB57_507
; %bb.504:
	v_add_nc_u32_e64 v125, 0, 56
	v_add_nc_u32_e32 v126, -7, v0
	s_movk_i32 s5, 0x208
	s_mov_b32 s1, 0
.LBB57_505:                             ; =>This Inner Loop Header: Depth=1
	scratch_load_b64 v[127:128], v125, off
	v_dual_mov_b32 v129, s5 :: v_dual_add_nc_u32 v126, -1, v126
	v_add_nc_u32_e32 v125, 8, v125
	s_add_i32 s5, s5, 8
	ds_load_b64 v[129:130], v129
	v_cmp_eq_u32_e32 vcc_lo, 0, v126
	s_or_b32 s1, vcc_lo, s1
	s_waitcnt vmcnt(0) lgkmcnt(0)
	v_fma_f64 v[117:118], v[127:128], v[129:130], v[117:118]
	s_and_not1_b32 exec_lo, exec_lo, s1
	s_cbranch_execnz .LBB57_505
; %bb.506:
	s_or_b32 exec_lo, exec_lo, s1
.LBB57_507:
	s_delay_alu instid0(SALU_CYCLE_1)
	s_or_b32 exec_lo, exec_lo, s4
	v_mov_b32_e32 v125, 0
	ds_load_b64 v[125:126], v125 offset:48
	s_waitcnt lgkmcnt(0)
	v_mul_f64 v[117:118], v[117:118], v[125:126]
	scratch_store_b64 off, v[117:118], off offset:48
.LBB57_508:
	s_or_b32 exec_lo, exec_lo, s3
	scratch_load_b64 v[117:118], off, off offset:40
	v_cmp_lt_u32_e64 s1, 5, v0
	s_waitcnt vmcnt(0)
	ds_store_b64 v120, v[117:118]
	s_waitcnt lgkmcnt(0)
	s_waitcnt_vscnt null, 0x0
	s_barrier
	buffer_gl0_inv
	s_and_saveexec_b32 s3, s1
	s_cbranch_execz .LBB57_518
; %bb.509:
	s_and_not1_b32 vcc_lo, exec_lo, s2
	s_cbranch_vccnz .LBB57_511
; %bb.510:
	scratch_load_b64 v[117:118], v121, off
	ds_load_b64 v[125:126], v120
	s_waitcnt vmcnt(0) lgkmcnt(0)
	v_mul_f64 v[117:118], v[117:118], v[125:126]
	s_cbranch_execz .LBB57_512
	s_branch .LBB57_513
.LBB57_511:
                                        ; implicit-def: $vgpr117_vgpr118
.LBB57_512:
	ds_load_b64 v[117:118], v120
.LBB57_513:
	s_and_saveexec_b32 s4, s0
	s_cbranch_execz .LBB57_517
; %bb.514:
	v_add_nc_u32_e32 v125, -6, v0
	s_movk_i32 s5, 0x200
	s_mov_b32 s0, 0
.LBB57_515:                             ; =>This Inner Loop Header: Depth=1
	scratch_load_b64 v[126:127], v124, off
	v_dual_mov_b32 v128, s5 :: v_dual_add_nc_u32 v125, -1, v125
	v_add_nc_u32_e32 v124, 8, v124
	s_add_i32 s5, s5, 8
	ds_load_b64 v[128:129], v128
	v_cmp_eq_u32_e32 vcc_lo, 0, v125
	s_or_b32 s0, vcc_lo, s0
	s_waitcnt vmcnt(0) lgkmcnt(0)
	v_fma_f64 v[117:118], v[126:127], v[128:129], v[117:118]
	s_and_not1_b32 exec_lo, exec_lo, s0
	s_cbranch_execnz .LBB57_515
; %bb.516:
	s_or_b32 exec_lo, exec_lo, s0
.LBB57_517:
	s_delay_alu instid0(SALU_CYCLE_1)
	s_or_b32 exec_lo, exec_lo, s4
	v_mov_b32_e32 v124, 0
	ds_load_b64 v[124:125], v124 offset:40
	s_waitcnt lgkmcnt(0)
	v_mul_f64 v[117:118], v[117:118], v[124:125]
	scratch_store_b64 off, v[117:118], off offset:40
.LBB57_518:
	s_or_b32 exec_lo, exec_lo, s3
	scratch_load_b64 v[117:118], off, off offset:32
	v_cmp_lt_u32_e64 s0, 4, v0
	s_waitcnt vmcnt(0)
	ds_store_b64 v120, v[117:118]
	s_waitcnt lgkmcnt(0)
	s_waitcnt_vscnt null, 0x0
	s_barrier
	buffer_gl0_inv
	s_and_saveexec_b32 s3, s0
	s_cbranch_execz .LBB57_528
; %bb.519:
	s_and_not1_b32 vcc_lo, exec_lo, s2
	s_cbranch_vccnz .LBB57_521
; %bb.520:
	scratch_load_b64 v[117:118], v121, off
	ds_load_b64 v[124:125], v120
	s_waitcnt vmcnt(0) lgkmcnt(0)
	v_mul_f64 v[117:118], v[117:118], v[124:125]
	s_cbranch_execz .LBB57_522
	s_branch .LBB57_523
.LBB57_521:
                                        ; implicit-def: $vgpr117_vgpr118
.LBB57_522:
	ds_load_b64 v[117:118], v120
.LBB57_523:
	s_and_saveexec_b32 s4, s1
	s_cbranch_execz .LBB57_527
; %bb.524:
	v_add_nc_u32_e64 v124, 0, 40
	v_add_nc_u32_e32 v125, -5, v0
	s_movk_i32 s5, 0x1f8
	s_mov_b32 s1, 0
.LBB57_525:                             ; =>This Inner Loop Header: Depth=1
	scratch_load_b64 v[126:127], v124, off
	v_dual_mov_b32 v128, s5 :: v_dual_add_nc_u32 v125, -1, v125
	v_add_nc_u32_e32 v124, 8, v124
	s_add_i32 s5, s5, 8
	ds_load_b64 v[128:129], v128
	v_cmp_eq_u32_e32 vcc_lo, 0, v125
	s_or_b32 s1, vcc_lo, s1
	s_waitcnt vmcnt(0) lgkmcnt(0)
	v_fma_f64 v[117:118], v[126:127], v[128:129], v[117:118]
	s_and_not1_b32 exec_lo, exec_lo, s1
	s_cbranch_execnz .LBB57_525
; %bb.526:
	s_or_b32 exec_lo, exec_lo, s1
.LBB57_527:
	s_delay_alu instid0(SALU_CYCLE_1)
	s_or_b32 exec_lo, exec_lo, s4
	v_mov_b32_e32 v124, 0
	ds_load_b64 v[124:125], v124 offset:32
	s_waitcnt lgkmcnt(0)
	v_mul_f64 v[117:118], v[117:118], v[124:125]
	scratch_store_b64 off, v[117:118], off offset:32
.LBB57_528:
	s_or_b32 exec_lo, exec_lo, s3
	scratch_load_b64 v[117:118], off, off offset:24
	v_cmp_lt_u32_e64 s1, 3, v0
	s_waitcnt vmcnt(0)
	ds_store_b64 v120, v[117:118]
	s_waitcnt lgkmcnt(0)
	s_waitcnt_vscnt null, 0x0
	s_barrier
	buffer_gl0_inv
	s_and_saveexec_b32 s3, s1
	s_cbranch_execz .LBB57_538
; %bb.529:
	s_and_not1_b32 vcc_lo, exec_lo, s2
	s_cbranch_vccnz .LBB57_531
; %bb.530:
	scratch_load_b64 v[117:118], v121, off
	ds_load_b64 v[124:125], v120
	s_waitcnt vmcnt(0) lgkmcnt(0)
	v_mul_f64 v[117:118], v[117:118], v[124:125]
	s_cbranch_execz .LBB57_532
	s_branch .LBB57_533
.LBB57_531:
                                        ; implicit-def: $vgpr117_vgpr118
.LBB57_532:
	ds_load_b64 v[117:118], v120
.LBB57_533:
	s_and_saveexec_b32 s4, s0
	s_cbranch_execz .LBB57_537
; %bb.534:
	v_add_nc_u32_e32 v124, -4, v0
	s_movk_i32 s5, 0x1f0
	s_mov_b32 s0, 0
.LBB57_535:                             ; =>This Inner Loop Header: Depth=1
	scratch_load_b64 v[125:126], v123, off
	v_dual_mov_b32 v127, s5 :: v_dual_add_nc_u32 v124, -1, v124
	v_add_nc_u32_e32 v123, 8, v123
	s_add_i32 s5, s5, 8
	ds_load_b64 v[127:128], v127
	v_cmp_eq_u32_e32 vcc_lo, 0, v124
	s_or_b32 s0, vcc_lo, s0
	s_waitcnt vmcnt(0) lgkmcnt(0)
	v_fma_f64 v[117:118], v[125:126], v[127:128], v[117:118]
	s_and_not1_b32 exec_lo, exec_lo, s0
	s_cbranch_execnz .LBB57_535
; %bb.536:
	s_or_b32 exec_lo, exec_lo, s0
.LBB57_537:
	s_delay_alu instid0(SALU_CYCLE_1)
	s_or_b32 exec_lo, exec_lo, s4
	v_mov_b32_e32 v123, 0
	ds_load_b64 v[123:124], v123 offset:24
	s_waitcnt lgkmcnt(0)
	v_mul_f64 v[117:118], v[117:118], v[123:124]
	scratch_store_b64 off, v[117:118], off offset:24
.LBB57_538:
	s_or_b32 exec_lo, exec_lo, s3
	scratch_load_b64 v[117:118], off, off offset:16
	v_cmp_lt_u32_e64 s0, 2, v0
	s_waitcnt vmcnt(0)
	ds_store_b64 v120, v[117:118]
	s_waitcnt lgkmcnt(0)
	s_waitcnt_vscnt null, 0x0
	s_barrier
	buffer_gl0_inv
	s_and_saveexec_b32 s3, s0
	s_cbranch_execz .LBB57_548
; %bb.539:
	s_and_not1_b32 vcc_lo, exec_lo, s2
	s_cbranch_vccnz .LBB57_541
; %bb.540:
	scratch_load_b64 v[117:118], v121, off
	ds_load_b64 v[123:124], v120
	s_waitcnt vmcnt(0) lgkmcnt(0)
	v_mul_f64 v[117:118], v[117:118], v[123:124]
	s_cbranch_execz .LBB57_542
	s_branch .LBB57_543
.LBB57_541:
                                        ; implicit-def: $vgpr117_vgpr118
.LBB57_542:
	ds_load_b64 v[117:118], v120
.LBB57_543:
	s_and_saveexec_b32 s4, s1
	s_cbranch_execz .LBB57_547
; %bb.544:
	v_add_nc_u32_e64 v123, 0, 24
	v_add_nc_u32_e32 v124, -3, v0
	s_movk_i32 s5, 0x1e8
	s_mov_b32 s1, 0
.LBB57_545:                             ; =>This Inner Loop Header: Depth=1
	scratch_load_b64 v[125:126], v123, off
	v_dual_mov_b32 v127, s5 :: v_dual_add_nc_u32 v124, -1, v124
	v_add_nc_u32_e32 v123, 8, v123
	s_add_i32 s5, s5, 8
	ds_load_b64 v[127:128], v127
	v_cmp_eq_u32_e32 vcc_lo, 0, v124
	s_or_b32 s1, vcc_lo, s1
	s_waitcnt vmcnt(0) lgkmcnt(0)
	v_fma_f64 v[117:118], v[125:126], v[127:128], v[117:118]
	s_and_not1_b32 exec_lo, exec_lo, s1
	s_cbranch_execnz .LBB57_545
; %bb.546:
	s_or_b32 exec_lo, exec_lo, s1
.LBB57_547:
	s_delay_alu instid0(SALU_CYCLE_1)
	s_or_b32 exec_lo, exec_lo, s4
	v_mov_b32_e32 v123, 0
	ds_load_b64 v[123:124], v123 offset:16
	s_waitcnt lgkmcnt(0)
	v_mul_f64 v[117:118], v[117:118], v[123:124]
	scratch_store_b64 off, v[117:118], off offset:16
.LBB57_548:
	s_or_b32 exec_lo, exec_lo, s3
	scratch_load_b64 v[117:118], off, off offset:8
	v_cmp_lt_u32_e64 s1, 1, v0
	s_waitcnt vmcnt(0)
	ds_store_b64 v120, v[117:118]
	s_waitcnt lgkmcnt(0)
	s_waitcnt_vscnt null, 0x0
	s_barrier
	buffer_gl0_inv
	s_and_saveexec_b32 s3, s1
	s_cbranch_execz .LBB57_558
; %bb.549:
	s_and_not1_b32 vcc_lo, exec_lo, s2
	s_cbranch_vccnz .LBB57_551
; %bb.550:
	scratch_load_b64 v[117:118], v121, off
	ds_load_b64 v[123:124], v120
	s_waitcnt vmcnt(0) lgkmcnt(0)
	v_mul_f64 v[117:118], v[117:118], v[123:124]
	s_cbranch_execz .LBB57_552
	s_branch .LBB57_553
.LBB57_551:
                                        ; implicit-def: $vgpr117_vgpr118
.LBB57_552:
	ds_load_b64 v[117:118], v120
.LBB57_553:
	s_and_saveexec_b32 s4, s0
	s_cbranch_execz .LBB57_557
; %bb.554:
	v_add_nc_u32_e32 v123, -2, v0
	s_movk_i32 s5, 0x1e0
	s_mov_b32 s0, 0
.LBB57_555:                             ; =>This Inner Loop Header: Depth=1
	scratch_load_b64 v[124:125], v122, off
	v_dual_mov_b32 v126, s5 :: v_dual_add_nc_u32 v123, -1, v123
	v_add_nc_u32_e32 v122, 8, v122
	s_add_i32 s5, s5, 8
	ds_load_b64 v[126:127], v126
	v_cmp_eq_u32_e32 vcc_lo, 0, v123
	s_or_b32 s0, vcc_lo, s0
	s_waitcnt vmcnt(0) lgkmcnt(0)
	v_fma_f64 v[117:118], v[124:125], v[126:127], v[117:118]
	s_and_not1_b32 exec_lo, exec_lo, s0
	s_cbranch_execnz .LBB57_555
; %bb.556:
	s_or_b32 exec_lo, exec_lo, s0
.LBB57_557:
	s_delay_alu instid0(SALU_CYCLE_1)
	s_or_b32 exec_lo, exec_lo, s4
	v_mov_b32_e32 v122, 0
	ds_load_b64 v[122:123], v122 offset:8
	s_waitcnt lgkmcnt(0)
	v_mul_f64 v[117:118], v[117:118], v[122:123]
	scratch_store_b64 off, v[117:118], off offset:8
.LBB57_558:
	s_or_b32 exec_lo, exec_lo, s3
	scratch_load_b64 v[117:118], off, off
	s_mov_b32 s0, 0
	s_mov_b32 s3, exec_lo
	s_waitcnt vmcnt(0)
	ds_store_b64 v120, v[117:118]
	s_waitcnt lgkmcnt(0)
	s_waitcnt_vscnt null, 0x0
	s_barrier
	buffer_gl0_inv
	v_cmpx_ne_u32_e32 0, v0
	s_cbranch_execz .LBB57_568
; %bb.559:
	s_and_not1_b32 vcc_lo, exec_lo, s2
	s_cbranch_vccnz .LBB57_561
; %bb.560:
	scratch_load_b64 v[117:118], v121, off
	ds_load_b64 v[122:123], v120
	s_waitcnt vmcnt(0) lgkmcnt(0)
	v_mul_f64 v[117:118], v[117:118], v[122:123]
	s_cbranch_execz .LBB57_562
	s_branch .LBB57_563
.LBB57_561:
                                        ; implicit-def: $vgpr117_vgpr118
.LBB57_562:
	ds_load_b64 v[117:118], v120
.LBB57_563:
	s_and_saveexec_b32 s4, s1
	s_cbranch_execz .LBB57_567
; %bb.564:
	v_or_b32_e64 v122, 0, 8
	v_add_nc_u32_e32 v123, -1, v0
	s_movk_i32 s5, 0x1d8
	s_mov_b32 s1, 0
.LBB57_565:                             ; =>This Inner Loop Header: Depth=1
	scratch_load_b64 v[124:125], v122, off
	v_dual_mov_b32 v126, s5 :: v_dual_add_nc_u32 v123, -1, v123
	v_add_nc_u32_e32 v122, 8, v122
	s_add_i32 s5, s5, 8
	ds_load_b64 v[126:127], v126
	v_cmp_eq_u32_e32 vcc_lo, 0, v123
	s_or_b32 s1, vcc_lo, s1
	s_waitcnt vmcnt(0) lgkmcnt(0)
	v_fma_f64 v[117:118], v[124:125], v[126:127], v[117:118]
	s_and_not1_b32 exec_lo, exec_lo, s1
	s_cbranch_execnz .LBB57_565
; %bb.566:
	s_or_b32 exec_lo, exec_lo, s1
.LBB57_567:
	s_delay_alu instid0(SALU_CYCLE_1)
	s_or_b32 exec_lo, exec_lo, s4
	v_mov_b32_e32 v122, 0
	ds_load_b64 v[122:123], v122
	s_waitcnt lgkmcnt(0)
	v_mul_f64 v[117:118], v[117:118], v[122:123]
	scratch_store_b64 off, v[117:118], off
.LBB57_568:
	s_or_b32 exec_lo, exec_lo, s3
.LBB57_569:
	s_delay_alu instid0(SALU_CYCLE_1)
	s_and_b32 vcc_lo, exec_lo, s0
	s_cbranch_vccz .LBB57_1135
; %bb.570:
	scratch_load_b64 v[117:118], off, off offset:8
	v_cmp_eq_u32_e64 s0, 0, v0
	s_waitcnt vmcnt(0)
	ds_store_b64 v120, v[117:118]
	s_waitcnt lgkmcnt(0)
	s_waitcnt_vscnt null, 0x0
	s_barrier
	buffer_gl0_inv
	s_and_saveexec_b32 s1, s0
	s_cbranch_execz .LBB57_576
; %bb.571:
	s_and_b32 vcc_lo, exec_lo, s2
	s_cbranch_vccz .LBB57_573
; %bb.572:
	scratch_load_b64 v[117:118], v121, off
	ds_load_b64 v[122:123], v120
	s_waitcnt vmcnt(0) lgkmcnt(0)
	v_mul_f64 v[117:118], v[117:118], v[122:123]
	s_cbranch_execz .LBB57_574
	s_branch .LBB57_575
.LBB57_573:
                                        ; implicit-def: $vgpr117_vgpr118
.LBB57_574:
	ds_load_b64 v[117:118], v120
.LBB57_575:
	v_mov_b32_e32 v122, 0
	ds_load_b64 v[122:123], v122 offset:8
	s_waitcnt lgkmcnt(0)
	v_mul_f64 v[117:118], v[117:118], v[122:123]
	scratch_store_b64 off, v[117:118], off offset:8
.LBB57_576:
	s_or_b32 exec_lo, exec_lo, s1
	scratch_load_b64 v[117:118], off, off offset:16
	v_cndmask_b32_e64 v122, 0, 1, s2
	s_mov_b32 s1, exec_lo
	s_waitcnt vmcnt(0)
	ds_store_b64 v120, v[117:118]
	s_waitcnt lgkmcnt(0)
	s_waitcnt_vscnt null, 0x0
	s_barrier
	buffer_gl0_inv
	v_cmpx_gt_u32_e32 2, v0
	s_cbranch_execz .LBB57_584
; %bb.577:
	s_and_not1_b32 vcc_lo, exec_lo, s2
	s_cbranch_vccnz .LBB57_579
; %bb.578:
	scratch_load_b64 v[117:118], v121, off
	ds_load_b64 v[123:124], v120
	s_waitcnt vmcnt(0) lgkmcnt(0)
	v_mul_f64 v[117:118], v[117:118], v[123:124]
	s_cbranch_execz .LBB57_580
	s_branch .LBB57_581
.LBB57_579:
                                        ; implicit-def: $vgpr117_vgpr118
.LBB57_580:
	ds_load_b64 v[117:118], v120
.LBB57_581:
	s_and_saveexec_b32 s2, s0
	s_cbranch_execz .LBB57_583
; %bb.582:
	scratch_load_b64 v[123:124], v121, off offset:8
	ds_load_b64 v[125:126], v120 offset:8
	s_waitcnt vmcnt(0) lgkmcnt(0)
	v_fma_f64 v[117:118], v[123:124], v[125:126], v[117:118]
.LBB57_583:
	s_or_b32 exec_lo, exec_lo, s2
	v_mov_b32_e32 v123, 0
	ds_load_b64 v[123:124], v123 offset:16
	s_waitcnt lgkmcnt(0)
	v_mul_f64 v[117:118], v[117:118], v[123:124]
	scratch_store_b64 off, v[117:118], off offset:16
.LBB57_584:
	s_or_b32 exec_lo, exec_lo, s1
	scratch_load_b64 v[117:118], off, off offset:24
	s_mov_b32 s1, exec_lo
	s_waitcnt vmcnt(0)
	ds_store_b64 v120, v[117:118]
	s_waitcnt lgkmcnt(0)
	s_waitcnt_vscnt null, 0x0
	s_barrier
	buffer_gl0_inv
	v_cmpx_gt_u32_e32 3, v0
	s_cbranch_execz .LBB57_594
; %bb.585:
	v_cmp_ne_u32_e32 vcc_lo, 1, v122
	s_cbranch_vccnz .LBB57_587
; %bb.586:
	scratch_load_b64 v[117:118], v121, off
	ds_load_b64 v[123:124], v120
	s_waitcnt vmcnt(0) lgkmcnt(0)
	v_mul_f64 v[117:118], v[117:118], v[123:124]
	s_cbranch_execz .LBB57_588
	s_branch .LBB57_589
.LBB57_587:
                                        ; implicit-def: $vgpr117_vgpr118
.LBB57_588:
	ds_load_b64 v[117:118], v120
.LBB57_589:
	s_mov_b32 s2, exec_lo
	v_cmpx_ne_u32_e32 2, v0
	s_cbranch_execz .LBB57_593
; %bb.590:
	scratch_load_b64 v[123:124], v121, off offset:8
	ds_load_b64 v[125:126], v120 offset:8
	s_waitcnt vmcnt(0) lgkmcnt(0)
	v_fma_f64 v[117:118], v[123:124], v[125:126], v[117:118]
	s_and_saveexec_b32 s3, s0
	s_cbranch_execz .LBB57_592
; %bb.591:
	scratch_load_b64 v[123:124], off, off offset:16
	v_mov_b32_e32 v125, 0
	ds_load_b64 v[125:126], v125 offset:480
	s_waitcnt vmcnt(0) lgkmcnt(0)
	v_fma_f64 v[117:118], v[123:124], v[125:126], v[117:118]
.LBB57_592:
	s_or_b32 exec_lo, exec_lo, s3
.LBB57_593:
	s_delay_alu instid0(SALU_CYCLE_1)
	s_or_b32 exec_lo, exec_lo, s2
	v_mov_b32_e32 v123, 0
	ds_load_b64 v[123:124], v123 offset:24
	s_waitcnt lgkmcnt(0)
	v_mul_f64 v[117:118], v[117:118], v[123:124]
	scratch_store_b64 off, v[117:118], off offset:24
.LBB57_594:
	s_or_b32 exec_lo, exec_lo, s1
	scratch_load_b64 v[117:118], off, off offset:32
	s_mov_b32 s0, exec_lo
	s_waitcnt vmcnt(0)
	ds_store_b64 v120, v[117:118]
	s_waitcnt lgkmcnt(0)
	s_waitcnt_vscnt null, 0x0
	s_barrier
	buffer_gl0_inv
	v_cmpx_gt_u32_e32 4, v0
	s_cbranch_execz .LBB57_604
; %bb.595:
	v_cmp_ne_u32_e32 vcc_lo, 1, v122
	s_cbranch_vccnz .LBB57_597
; %bb.596:
	scratch_load_b64 v[117:118], v121, off
	ds_load_b64 v[123:124], v120
	s_waitcnt vmcnt(0) lgkmcnt(0)
	v_mul_f64 v[117:118], v[117:118], v[123:124]
	s_cbranch_execz .LBB57_598
	s_branch .LBB57_599
.LBB57_597:
                                        ; implicit-def: $vgpr117_vgpr118
.LBB57_598:
	ds_load_b64 v[117:118], v120
.LBB57_599:
	s_mov_b32 s1, exec_lo
	v_cmpx_ne_u32_e32 3, v0
	s_cbranch_execz .LBB57_603
; %bb.600:
	v_add_nc_u32_e32 v123, 0x1d8, v119
	v_add3_u32 v124, 0, v119, 8
	v_mov_b32_e32 v125, v0
	s_mov_b32 s2, 0
.LBB57_601:                             ; =>This Inner Loop Header: Depth=1
	scratch_load_b64 v[126:127], v124, off
	ds_load_b64 v[128:129], v123
	v_add_nc_u32_e32 v125, 1, v125
	v_add_nc_u32_e32 v123, 8, v123
	v_add_nc_u32_e32 v124, 8, v124
	s_delay_alu instid0(VALU_DEP_3)
	v_cmp_lt_u32_e32 vcc_lo, 2, v125
	s_or_b32 s2, vcc_lo, s2
	s_waitcnt vmcnt(0) lgkmcnt(0)
	v_fma_f64 v[117:118], v[126:127], v[128:129], v[117:118]
	s_and_not1_b32 exec_lo, exec_lo, s2
	s_cbranch_execnz .LBB57_601
; %bb.602:
	s_or_b32 exec_lo, exec_lo, s2
.LBB57_603:
	s_delay_alu instid0(SALU_CYCLE_1)
	s_or_b32 exec_lo, exec_lo, s1
	v_mov_b32_e32 v123, 0
	ds_load_b64 v[123:124], v123 offset:32
	s_waitcnt lgkmcnt(0)
	v_mul_f64 v[117:118], v[117:118], v[123:124]
	scratch_store_b64 off, v[117:118], off offset:32
.LBB57_604:
	s_or_b32 exec_lo, exec_lo, s0
	scratch_load_b64 v[117:118], off, off offset:40
	s_mov_b32 s0, exec_lo
	s_waitcnt vmcnt(0)
	ds_store_b64 v120, v[117:118]
	s_waitcnt lgkmcnt(0)
	s_waitcnt_vscnt null, 0x0
	s_barrier
	buffer_gl0_inv
	v_cmpx_gt_u32_e32 5, v0
	s_cbranch_execz .LBB57_614
; %bb.605:
	v_cmp_ne_u32_e32 vcc_lo, 1, v122
	s_cbranch_vccnz .LBB57_607
; %bb.606:
	scratch_load_b64 v[117:118], v121, off
	ds_load_b64 v[123:124], v120
	s_waitcnt vmcnt(0) lgkmcnt(0)
	v_mul_f64 v[117:118], v[117:118], v[123:124]
	s_cbranch_execz .LBB57_608
	s_branch .LBB57_609
.LBB57_607:
                                        ; implicit-def: $vgpr117_vgpr118
.LBB57_608:
	ds_load_b64 v[117:118], v120
.LBB57_609:
	s_mov_b32 s1, exec_lo
	v_cmpx_ne_u32_e32 4, v0
	s_cbranch_execz .LBB57_613
; %bb.610:
	v_add_nc_u32_e32 v123, 0x1d8, v119
	v_add3_u32 v124, 0, v119, 8
	v_mov_b32_e32 v125, v0
	s_mov_b32 s2, 0
.LBB57_611:                             ; =>This Inner Loop Header: Depth=1
	scratch_load_b64 v[126:127], v124, off
	ds_load_b64 v[128:129], v123
	v_add_nc_u32_e32 v125, 1, v125
	v_add_nc_u32_e32 v123, 8, v123
	v_add_nc_u32_e32 v124, 8, v124
	s_delay_alu instid0(VALU_DEP_3)
	v_cmp_lt_u32_e32 vcc_lo, 3, v125
	s_or_b32 s2, vcc_lo, s2
	s_waitcnt vmcnt(0) lgkmcnt(0)
	v_fma_f64 v[117:118], v[126:127], v[128:129], v[117:118]
	s_and_not1_b32 exec_lo, exec_lo, s2
	s_cbranch_execnz .LBB57_611
; %bb.612:
	s_or_b32 exec_lo, exec_lo, s2
.LBB57_613:
	s_delay_alu instid0(SALU_CYCLE_1)
	s_or_b32 exec_lo, exec_lo, s1
	v_mov_b32_e32 v123, 0
	ds_load_b64 v[123:124], v123 offset:40
	s_waitcnt lgkmcnt(0)
	v_mul_f64 v[117:118], v[117:118], v[123:124]
	scratch_store_b64 off, v[117:118], off offset:40
.LBB57_614:
	;; [unrolled: 58-line block ×40, first 2 shown]
	s_or_b32 exec_lo, exec_lo, s0
	scratch_load_b64 v[117:118], off, off offset:352
	s_mov_b32 s0, exec_lo
	s_waitcnt vmcnt(0)
	ds_store_b64 v120, v[117:118]
	s_waitcnt lgkmcnt(0)
	s_waitcnt_vscnt null, 0x0
	s_barrier
	buffer_gl0_inv
	v_cmpx_gt_u32_e32 44, v0
	s_cbranch_execz .LBB57_1004
; %bb.995:
	v_cmp_ne_u32_e32 vcc_lo, 1, v122
	s_cbranch_vccnz .LBB57_997
; %bb.996:
	scratch_load_b64 v[117:118], v121, off
	ds_load_b64 v[123:124], v120
	s_waitcnt vmcnt(0) lgkmcnt(0)
	v_mul_f64 v[117:118], v[117:118], v[123:124]
	s_cbranch_execz .LBB57_998
	s_branch .LBB57_999
.LBB57_997:
                                        ; implicit-def: $vgpr117_vgpr118
.LBB57_998:
	ds_load_b64 v[117:118], v120
.LBB57_999:
	s_mov_b32 s1, exec_lo
	v_cmpx_ne_u32_e32 43, v0
	s_cbranch_execz .LBB57_1003
; %bb.1000:
	v_add_nc_u32_e32 v123, 0x1d8, v119
	v_add3_u32 v124, 0, v119, 8
	v_mov_b32_e32 v125, v0
	s_mov_b32 s2, 0
.LBB57_1001:                            ; =>This Inner Loop Header: Depth=1
	scratch_load_b64 v[126:127], v124, off
	ds_load_b64 v[128:129], v123
	v_add_nc_u32_e32 v125, 1, v125
	v_add_nc_u32_e32 v123, 8, v123
	v_add_nc_u32_e32 v124, 8, v124
	s_delay_alu instid0(VALU_DEP_3)
	v_cmp_lt_u32_e32 vcc_lo, 42, v125
	s_or_b32 s2, vcc_lo, s2
	s_waitcnt vmcnt(0) lgkmcnt(0)
	v_fma_f64 v[117:118], v[126:127], v[128:129], v[117:118]
	s_and_not1_b32 exec_lo, exec_lo, s2
	s_cbranch_execnz .LBB57_1001
; %bb.1002:
	s_or_b32 exec_lo, exec_lo, s2
.LBB57_1003:
	s_delay_alu instid0(SALU_CYCLE_1)
	s_or_b32 exec_lo, exec_lo, s1
	v_mov_b32_e32 v123, 0
	ds_load_b64 v[123:124], v123 offset:352
	s_waitcnt lgkmcnt(0)
	v_mul_f64 v[117:118], v[117:118], v[123:124]
	scratch_store_b64 off, v[117:118], off offset:352
.LBB57_1004:
	s_or_b32 exec_lo, exec_lo, s0
	scratch_load_b64 v[117:118], off, off offset:360
	s_mov_b32 s0, exec_lo
	s_waitcnt vmcnt(0)
	ds_store_b64 v120, v[117:118]
	s_waitcnt lgkmcnt(0)
	s_waitcnt_vscnt null, 0x0
	s_barrier
	buffer_gl0_inv
	v_cmpx_gt_u32_e32 45, v0
	s_cbranch_execz .LBB57_1014
; %bb.1005:
	v_cmp_ne_u32_e32 vcc_lo, 1, v122
	s_cbranch_vccnz .LBB57_1007
; %bb.1006:
	scratch_load_b64 v[117:118], v121, off
	ds_load_b64 v[123:124], v120
	s_waitcnt vmcnt(0) lgkmcnt(0)
	v_mul_f64 v[117:118], v[117:118], v[123:124]
	s_cbranch_execz .LBB57_1008
	s_branch .LBB57_1009
.LBB57_1007:
                                        ; implicit-def: $vgpr117_vgpr118
.LBB57_1008:
	ds_load_b64 v[117:118], v120
.LBB57_1009:
	s_mov_b32 s1, exec_lo
	v_cmpx_ne_u32_e32 44, v0
	s_cbranch_execz .LBB57_1013
; %bb.1010:
	v_add_nc_u32_e32 v123, 0x1d8, v119
	v_add3_u32 v124, 0, v119, 8
	v_mov_b32_e32 v125, v0
	s_mov_b32 s2, 0
.LBB57_1011:                            ; =>This Inner Loop Header: Depth=1
	scratch_load_b64 v[126:127], v124, off
	ds_load_b64 v[128:129], v123
	v_add_nc_u32_e32 v125, 1, v125
	v_add_nc_u32_e32 v123, 8, v123
	v_add_nc_u32_e32 v124, 8, v124
	s_delay_alu instid0(VALU_DEP_3)
	v_cmp_lt_u32_e32 vcc_lo, 43, v125
	s_or_b32 s2, vcc_lo, s2
	s_waitcnt vmcnt(0) lgkmcnt(0)
	v_fma_f64 v[117:118], v[126:127], v[128:129], v[117:118]
	s_and_not1_b32 exec_lo, exec_lo, s2
	s_cbranch_execnz .LBB57_1011
; %bb.1012:
	s_or_b32 exec_lo, exec_lo, s2
.LBB57_1013:
	s_delay_alu instid0(SALU_CYCLE_1)
	s_or_b32 exec_lo, exec_lo, s1
	v_mov_b32_e32 v123, 0
	ds_load_b64 v[123:124], v123 offset:360
	s_waitcnt lgkmcnt(0)
	v_mul_f64 v[117:118], v[117:118], v[123:124]
	scratch_store_b64 off, v[117:118], off offset:360
.LBB57_1014:
	;; [unrolled: 58-line block ×12, first 2 shown]
	s_or_b32 exec_lo, exec_lo, s0
	scratch_load_b64 v[117:118], off, off offset:448
	v_cmp_gt_u32_e64 s0, 56, v0
	s_waitcnt vmcnt(0)
	ds_store_b64 v120, v[117:118]
	s_waitcnt lgkmcnt(0)
	s_waitcnt_vscnt null, 0x0
	s_barrier
	buffer_gl0_inv
	s_and_saveexec_b32 s1, s0
	s_cbranch_execz .LBB57_1124
; %bb.1115:
	v_cmp_ne_u32_e32 vcc_lo, 1, v122
	s_cbranch_vccnz .LBB57_1117
; %bb.1116:
	scratch_load_b64 v[117:118], v121, off
	ds_load_b64 v[123:124], v120
	s_waitcnt vmcnt(0) lgkmcnt(0)
	v_mul_f64 v[117:118], v[117:118], v[123:124]
	s_cbranch_execz .LBB57_1118
	s_branch .LBB57_1119
.LBB57_1117:
                                        ; implicit-def: $vgpr117_vgpr118
.LBB57_1118:
	ds_load_b64 v[117:118], v120
.LBB57_1119:
	s_mov_b32 s2, exec_lo
	v_cmpx_ne_u32_e32 55, v0
	s_cbranch_execz .LBB57_1123
; %bb.1120:
	v_add_nc_u32_e32 v123, 0x1d8, v119
	v_add3_u32 v124, 0, v119, 8
	v_mov_b32_e32 v125, v0
	s_mov_b32 s3, 0
.LBB57_1121:                            ; =>This Inner Loop Header: Depth=1
	scratch_load_b64 v[126:127], v124, off
	ds_load_b64 v[128:129], v123
	v_add_nc_u32_e32 v125, 1, v125
	v_add_nc_u32_e32 v123, 8, v123
	;; [unrolled: 1-line block ×3, first 2 shown]
	s_delay_alu instid0(VALU_DEP_3)
	v_cmp_lt_u32_e32 vcc_lo, 54, v125
	s_or_b32 s3, vcc_lo, s3
	s_waitcnt vmcnt(0) lgkmcnt(0)
	v_fma_f64 v[117:118], v[126:127], v[128:129], v[117:118]
	s_and_not1_b32 exec_lo, exec_lo, s3
	s_cbranch_execnz .LBB57_1121
; %bb.1122:
	s_or_b32 exec_lo, exec_lo, s3
.LBB57_1123:
	s_delay_alu instid0(SALU_CYCLE_1)
	s_or_b32 exec_lo, exec_lo, s2
	v_mov_b32_e32 v123, 0
	ds_load_b64 v[123:124], v123 offset:448
	s_waitcnt lgkmcnt(0)
	v_mul_f64 v[117:118], v[117:118], v[123:124]
	scratch_store_b64 off, v[117:118], off offset:448
.LBB57_1124:
	s_or_b32 exec_lo, exec_lo, s1
	scratch_load_b64 v[117:118], off, off offset:456
	s_mov_b32 s1, exec_lo
	s_waitcnt vmcnt(0)
	ds_store_b64 v120, v[117:118]
	s_waitcnt lgkmcnt(0)
	s_waitcnt_vscnt null, 0x0
	s_barrier
	buffer_gl0_inv
	v_cmpx_ne_u32_e32 57, v0
	s_cbranch_execz .LBB57_1134
; %bb.1125:
	v_cmp_ne_u32_e32 vcc_lo, 1, v122
	s_cbranch_vccnz .LBB57_1127
; %bb.1126:
	scratch_load_b64 v[117:118], v121, off
	ds_load_b64 v[121:122], v120
	s_waitcnt vmcnt(0) lgkmcnt(0)
	v_mul_f64 v[117:118], v[117:118], v[121:122]
	s_cbranch_execz .LBB57_1128
	s_branch .LBB57_1129
.LBB57_1127:
                                        ; implicit-def: $vgpr117_vgpr118
.LBB57_1128:
	ds_load_b64 v[117:118], v120
.LBB57_1129:
	s_and_saveexec_b32 s2, s0
	s_cbranch_execz .LBB57_1133
; %bb.1130:
	v_add_nc_u32_e32 v120, 0x1d8, v119
	v_add3_u32 v119, 0, v119, 8
	s_mov_b32 s0, 0
.LBB57_1131:                            ; =>This Inner Loop Header: Depth=1
	scratch_load_b64 v[121:122], v119, off
	ds_load_b64 v[123:124], v120
	v_add_nc_u32_e32 v0, 1, v0
	v_add_nc_u32_e32 v120, 8, v120
	;; [unrolled: 1-line block ×3, first 2 shown]
	s_delay_alu instid0(VALU_DEP_3)
	v_cmp_lt_u32_e32 vcc_lo, 55, v0
	s_or_b32 s0, vcc_lo, s0
	s_waitcnt vmcnt(0) lgkmcnt(0)
	v_fma_f64 v[117:118], v[121:122], v[123:124], v[117:118]
	s_and_not1_b32 exec_lo, exec_lo, s0
	s_cbranch_execnz .LBB57_1131
; %bb.1132:
	s_or_b32 exec_lo, exec_lo, s0
.LBB57_1133:
	s_delay_alu instid0(SALU_CYCLE_1)
	s_or_b32 exec_lo, exec_lo, s2
	v_mov_b32_e32 v0, 0
	ds_load_b64 v[119:120], v0 offset:456
	s_waitcnt lgkmcnt(0)
	v_mul_f64 v[117:118], v[117:118], v[119:120]
	scratch_store_b64 off, v[117:118], off offset:456
.LBB57_1134:
	s_or_b32 exec_lo, exec_lo, s1
.LBB57_1135:
	s_clause 0xb
	scratch_load_b128 v[117:120], off, off
	scratch_load_b128 v[121:124], off, off offset:16
	scratch_load_b128 v[125:128], off, off offset:32
	scratch_load_b128 v[129:132], off, off offset:48
	scratch_load_b128 v[133:136], off, off offset:64
	scratch_load_b128 v[137:140], off, off offset:80
	scratch_load_b128 v[141:144], off, off offset:96
	scratch_load_b128 v[145:148], off, off offset:112
	scratch_load_b128 v[149:152], off, off offset:128
	scratch_load_b128 v[153:156], off, off offset:144
	scratch_load_b128 v[157:160], off, off offset:160
	scratch_load_b128 v[161:164], off, off offset:176
	s_waitcnt vmcnt(11)
	s_clause 0x1
	global_store_b64 v[35:36], v[117:118], off
	global_store_b64 v[37:38], v[119:120], off
	s_clause 0x1
	scratch_load_b128 v[35:38], off, off offset:192
	scratch_load_b128 v[117:120], off, off offset:208
	s_waitcnt vmcnt(12)
	s_clause 0x1
	global_store_b64 v[23:24], v[121:122], off
	global_store_b64 v[33:34], v[123:124], off
	s_clause 0x1
	scratch_load_b128 v[121:124], off, off offset:224
	scratch_load_b128 v[165:168], off, off offset:240
	s_waitcnt vmcnt(13)
	s_clause 0x1
	global_store_b64 v[21:22], v[125:126], off
	global_store_b64 v[25:26], v[127:128], off
	s_clause 0x1
	scratch_load_b128 v[21:24], off, off offset:256
	scratch_load_b128 v[125:128], off, off offset:272
	s_waitcnt vmcnt(14)
	s_clause 0x1
	global_store_b64 v[17:18], v[129:130], off
	global_store_b64 v[27:28], v[131:132], off
	s_clause 0x1
	scratch_load_b128 v[25:28], off, off offset:288
	scratch_load_b128 v[129:132], off, off offset:304
	s_waitcnt vmcnt(15)
	s_clause 0x1
	global_store_b64 v[11:12], v[133:134], off
	global_store_b64 v[13:14], v[135:136], off
	s_clause 0x1
	scratch_load_b128 v[11:14], off, off offset:320
	scratch_load_b128 v[133:136], off, off offset:336
	s_waitcnt vmcnt(16)
	s_clause 0x1
	global_store_b64 v[9:10], v[137:138], off
	global_store_b64 v[19:20], v[139:140], off
	s_clause 0x1
	scratch_load_b128 v[17:20], off, off offset:352
	scratch_load_b128 v[137:140], off, off offset:368
	s_waitcnt vmcnt(17)
	s_clause 0x1
	global_store_b64 v[1:2], v[141:142], off
	global_store_b64 v[3:4], v[143:144], off
	s_clause 0x1
	scratch_load_b128 v[0:3], off, off offset:384
	scratch_load_b128 v[141:144], off, off offset:400
	s_waitcnt vmcnt(18)
	s_clause 0x1
	global_store_b64 v[5:6], v[145:146], off
	global_store_b64 v[7:8], v[147:148], off
	s_clause 0x1
	scratch_load_b128 v[4:7], off, off offset:416
	scratch_load_b128 v[145:148], off, off offset:432
	s_waitcnt vmcnt(19)
	s_clause 0x1
	global_store_b64 v[29:30], v[149:150], off
	global_store_b64 v[39:40], v[151:152], off
	scratch_load_b128 v[149:152], off, off offset:448
	s_waitcnt vmcnt(19)
	s_clause 0x1
	global_store_b64 v[31:32], v[153:154], off
	global_store_b64 v[41:42], v[155:156], off
	s_waitcnt vmcnt(18)
	s_clause 0x1
	global_store_b64 v[43:44], v[157:158], off
	global_store_b64 v[45:46], v[159:160], off
	;; [unrolled: 4-line block ×20, first 2 shown]
.LBB57_1136:
	s_endpgm
	.section	.rodata,"a",@progbits
	.p2align	6, 0x0
	.amdhsa_kernel _ZN9rocsolver6v33100L18trti2_kernel_smallILi58EdPdEEv13rocblas_fill_17rocblas_diagonal_T1_iil
		.amdhsa_group_segment_fixed_size 928
		.amdhsa_private_segment_fixed_size 480
		.amdhsa_kernarg_size 32
		.amdhsa_user_sgpr_count 15
		.amdhsa_user_sgpr_dispatch_ptr 0
		.amdhsa_user_sgpr_queue_ptr 0
		.amdhsa_user_sgpr_kernarg_segment_ptr 1
		.amdhsa_user_sgpr_dispatch_id 0
		.amdhsa_user_sgpr_private_segment_size 0
		.amdhsa_wavefront_size32 1
		.amdhsa_uses_dynamic_stack 0
		.amdhsa_enable_private_segment 1
		.amdhsa_system_sgpr_workgroup_id_x 1
		.amdhsa_system_sgpr_workgroup_id_y 0
		.amdhsa_system_sgpr_workgroup_id_z 0
		.amdhsa_system_sgpr_workgroup_info 0
		.amdhsa_system_vgpr_workitem_id 0
		.amdhsa_next_free_vgpr 170
		.amdhsa_next_free_sgpr 26
		.amdhsa_reserve_vcc 1
		.amdhsa_float_round_mode_32 0
		.amdhsa_float_round_mode_16_64 0
		.amdhsa_float_denorm_mode_32 3
		.amdhsa_float_denorm_mode_16_64 3
		.amdhsa_dx10_clamp 1
		.amdhsa_ieee_mode 1
		.amdhsa_fp16_overflow 0
		.amdhsa_workgroup_processor_mode 1
		.amdhsa_memory_ordered 1
		.amdhsa_forward_progress 0
		.amdhsa_shared_vgpr_count 0
		.amdhsa_exception_fp_ieee_invalid_op 0
		.amdhsa_exception_fp_denorm_src 0
		.amdhsa_exception_fp_ieee_div_zero 0
		.amdhsa_exception_fp_ieee_overflow 0
		.amdhsa_exception_fp_ieee_underflow 0
		.amdhsa_exception_fp_ieee_inexact 0
		.amdhsa_exception_int_div_zero 0
	.end_amdhsa_kernel
	.section	.text._ZN9rocsolver6v33100L18trti2_kernel_smallILi58EdPdEEv13rocblas_fill_17rocblas_diagonal_T1_iil,"axG",@progbits,_ZN9rocsolver6v33100L18trti2_kernel_smallILi58EdPdEEv13rocblas_fill_17rocblas_diagonal_T1_iil,comdat
.Lfunc_end57:
	.size	_ZN9rocsolver6v33100L18trti2_kernel_smallILi58EdPdEEv13rocblas_fill_17rocblas_diagonal_T1_iil, .Lfunc_end57-_ZN9rocsolver6v33100L18trti2_kernel_smallILi58EdPdEEv13rocblas_fill_17rocblas_diagonal_T1_iil
                                        ; -- End function
	.section	.AMDGPU.csdata,"",@progbits
; Kernel info:
; codeLenInByte = 31864
; NumSgprs: 28
; NumVgprs: 170
; ScratchSize: 480
; MemoryBound: 0
; FloatMode: 240
; IeeeMode: 1
; LDSByteSize: 928 bytes/workgroup (compile time only)
; SGPRBlocks: 3
; VGPRBlocks: 21
; NumSGPRsForWavesPerEU: 28
; NumVGPRsForWavesPerEU: 170
; Occupancy: 8
; WaveLimiterHint : 0
; COMPUTE_PGM_RSRC2:SCRATCH_EN: 1
; COMPUTE_PGM_RSRC2:USER_SGPR: 15
; COMPUTE_PGM_RSRC2:TRAP_HANDLER: 0
; COMPUTE_PGM_RSRC2:TGID_X_EN: 1
; COMPUTE_PGM_RSRC2:TGID_Y_EN: 0
; COMPUTE_PGM_RSRC2:TGID_Z_EN: 0
; COMPUTE_PGM_RSRC2:TIDIG_COMP_CNT: 0
	.section	.text._ZN9rocsolver6v33100L18trti2_kernel_smallILi59EdPdEEv13rocblas_fill_17rocblas_diagonal_T1_iil,"axG",@progbits,_ZN9rocsolver6v33100L18trti2_kernel_smallILi59EdPdEEv13rocblas_fill_17rocblas_diagonal_T1_iil,comdat
	.globl	_ZN9rocsolver6v33100L18trti2_kernel_smallILi59EdPdEEv13rocblas_fill_17rocblas_diagonal_T1_iil ; -- Begin function _ZN9rocsolver6v33100L18trti2_kernel_smallILi59EdPdEEv13rocblas_fill_17rocblas_diagonal_T1_iil
	.p2align	8
	.type	_ZN9rocsolver6v33100L18trti2_kernel_smallILi59EdPdEEv13rocblas_fill_17rocblas_diagonal_T1_iil,@function
_ZN9rocsolver6v33100L18trti2_kernel_smallILi59EdPdEEv13rocblas_fill_17rocblas_diagonal_T1_iil: ; @_ZN9rocsolver6v33100L18trti2_kernel_smallILi59EdPdEEv13rocblas_fill_17rocblas_diagonal_T1_iil
; %bb.0:
	s_mov_b32 s2, exec_lo
	v_cmpx_gt_u32_e32 59, v0
	s_cbranch_execz .LBB58_1156
; %bb.1:
	s_load_b256 s[0:7], s[0:1], 0x0
	s_ashr_i32 s8, s15, 31
	v_lshlrev_b32_e32 v121, 3, v0
	s_waitcnt lgkmcnt(0)
	s_mul_i32 s7, s15, s7
	s_mul_hi_u32 s10, s15, s6
	v_add3_u32 v1, s5, s5, v0
	s_ashr_i32 s9, s4, 31
	s_mul_i32 s11, s8, s6
	s_mov_b32 s8, s4
	s_add_i32 s4, s10, s7
	s_mul_i32 s6, s15, s6
	s_add_i32 s7, s4, s11
	v_add_nc_u32_e32 v3, s5, v1
	s_lshl_b64 s[6:7], s[6:7], 3
	v_ashrrev_i32_e32 v2, 31, v1
	s_add_u32 s4, s2, s6
	s_addc_u32 s6, s3, s7
	s_lshl_b64 s[2:3], s[8:9], 3
	v_add_nc_u32_e32 v5, s5, v3
	s_add_u32 s2, s4, s2
	s_addc_u32 s3, s6, s3
	v_add_co_u32 v43, s4, s2, v121
	s_mov_b32 s10, s5
	s_ashr_i32 s11, s5, 31
	v_ashrrev_i32_e32 v4, 31, v3
	v_lshlrev_b64 v[1:2], 3, v[1:2]
	v_add_co_ci_u32_e64 v44, null, s3, 0, s4
	s_lshl_b64 s[6:7], s[10:11], 3
	v_add_nc_u32_e32 v7, s5, v5
	v_add_co_u32 v39, vcc_lo, v43, s6
	v_lshlrev_b64 v[3:4], 3, v[3:4]
	v_ashrrev_i32_e32 v6, 31, v5
	v_add_co_ci_u32_e32 v40, vcc_lo, s7, v44, vcc_lo
	v_add_co_u32 v33, vcc_lo, s2, v1
	v_add_nc_u32_e32 v1, s5, v7
	v_add_co_ci_u32_e32 v34, vcc_lo, s3, v2, vcc_lo
	v_lshlrev_b64 v[5:6], 3, v[5:6]
	v_ashrrev_i32_e32 v8, 31, v7
	v_add_co_u32 v35, vcc_lo, s2, v3
	v_add_nc_u32_e32 v3, s5, v1
	v_add_co_ci_u32_e32 v36, vcc_lo, s3, v4, vcc_lo
	s_delay_alu instid0(VALU_DEP_4) | instskip(SKIP_1) | instid1(VALU_DEP_4)
	v_lshlrev_b64 v[7:8], 3, v[7:8]
	v_add_co_u32 v31, vcc_lo, s2, v5
	v_add_nc_u32_e32 v5, s5, v3
	v_ashrrev_i32_e32 v2, 31, v1
	v_add_co_ci_u32_e32 v32, vcc_lo, s3, v6, vcc_lo
	v_add_co_u32 v23, vcc_lo, s2, v7
	s_delay_alu instid0(VALU_DEP_4) | instskip(NEXT) | instid1(VALU_DEP_4)
	v_add_nc_u32_e32 v7, s5, v5
	v_lshlrev_b64 v[1:2], 3, v[1:2]
	v_ashrrev_i32_e32 v4, 31, v3
	v_ashrrev_i32_e32 v6, 31, v5
	s_clause 0x1
	global_load_b64 v[47:48], v121, s[2:3]
	global_load_b64 v[49:50], v[39:40], off
	v_add_nc_u32_e32 v9, s5, v7
	v_add_co_ci_u32_e32 v24, vcc_lo, s3, v8, vcc_lo
	v_lshlrev_b64 v[3:4], 3, v[3:4]
	v_add_co_u32 v27, vcc_lo, s2, v1
	v_add_co_ci_u32_e32 v28, vcc_lo, s3, v2, vcc_lo
	v_lshlrev_b64 v[1:2], 3, v[5:6]
	v_ashrrev_i32_e32 v8, 31, v7
	v_add_nc_u32_e32 v5, s5, v9
	v_add_co_u32 v25, vcc_lo, s2, v3
	v_add_co_ci_u32_e32 v26, vcc_lo, s3, v4, vcc_lo
	s_delay_alu instid0(VALU_DEP_4)
	v_lshlrev_b64 v[3:4], 3, v[7:8]
	v_ashrrev_i32_e32 v10, 31, v9
	v_add_nc_u32_e32 v7, s5, v5
	v_add_co_u32 v21, vcc_lo, s2, v1
	s_clause 0x2
	global_load_b64 v[55:56], v[33:34], off
	global_load_b64 v[57:58], v[35:36], off
	;; [unrolled: 1-line block ×3, first 2 shown]
	v_ashrrev_i32_e32 v6, 31, v5
	global_load_b64 v[61:62], v[23:24], off
	v_add_co_ci_u32_e32 v22, vcc_lo, s3, v2, vcc_lo
	v_lshlrev_b64 v[1:2], 3, v[9:10]
	v_add_nc_u32_e32 v9, s5, v7
	v_add_co_u32 v15, vcc_lo, s2, v3
	v_add_co_ci_u32_e32 v16, vcc_lo, s3, v4, vcc_lo
	v_lshlrev_b64 v[4:5], 3, v[5:6]
	v_ashrrev_i32_e32 v8, 31, v7
	v_add_nc_u32_e32 v3, s5, v9
	v_add_co_u32 v19, vcc_lo, s2, v1
	v_ashrrev_i32_e32 v10, 31, v9
	v_add_co_ci_u32_e32 v20, vcc_lo, s3, v2, vcc_lo
	v_lshlrev_b64 v[1:2], 3, v[7:8]
	v_add_nc_u32_e32 v13, s5, v3
	v_add_co_u32 v17, vcc_lo, s2, v4
	v_add_co_ci_u32_e32 v18, vcc_lo, s3, v5, vcc_lo
	v_lshlrev_b64 v[5:6], 3, v[9:10]
	s_clause 0x3
	global_load_b64 v[63:64], v[27:28], off
	global_load_b64 v[65:66], v[25:26], off
	;; [unrolled: 1-line block ×4, first 2 shown]
	v_ashrrev_i32_e32 v4, 31, v3
	v_add_nc_u32_e32 v7, s5, v13
	v_add_co_u32 v11, vcc_lo, s2, v1
	v_add_co_ci_u32_e32 v12, vcc_lo, s3, v2, vcc_lo
	v_add_co_u32 v5, vcc_lo, s2, v5
	v_lshlrev_b64 v[1:2], 3, v[3:4]
	v_ashrrev_i32_e32 v14, 31, v13
	v_add_nc_u32_e32 v9, s5, v7
	v_add_co_ci_u32_e32 v6, vcc_lo, s3, v6, vcc_lo
	v_ashrrev_i32_e32 v8, 31, v7
	s_clause 0x2
	global_load_b64 v[71:72], v[19:20], off
	global_load_b64 v[73:74], v[17:18], off
	;; [unrolled: 1-line block ×3, first 2 shown]
	v_lshlrev_b64 v[3:4], 3, v[13:14]
	global_load_b64 v[77:78], v[5:6], off
	v_add_co_u32 v13, vcc_lo, s2, v1
	v_ashrrev_i32_e32 v10, 31, v9
	v_add_co_ci_u32_e32 v14, vcc_lo, s3, v2, vcc_lo
	v_lshlrev_b64 v[1:2], 3, v[7:8]
	v_add_nc_u32_e32 v29, s5, v9
	v_add_co_u32 v7, vcc_lo, s2, v3
	v_lshlrev_b64 v[9:10], 3, v[9:10]
	v_add_co_ci_u32_e32 v8, vcc_lo, s3, v4, vcc_lo
	v_add_co_u32 v3, vcc_lo, s2, v1
	v_add_co_ci_u32_e32 v4, vcc_lo, s3, v2, vcc_lo
	s_delay_alu instid0(VALU_DEP_4)
	v_add_co_u32 v1, vcc_lo, s2, v9
	v_add_co_ci_u32_e32 v2, vcc_lo, s3, v10, vcc_lo
	s_clause 0x2
	global_load_b64 v[79:80], v[13:14], off
	global_load_b64 v[81:82], v[7:8], off
	global_load_b64 v[83:84], v[3:4], off
	v_add_nc_u32_e32 v37, s5, v29
	v_ashrrev_i32_e32 v30, 31, v29
	global_load_b64 v[85:86], v[1:2], off
	s_cmpk_lg_i32 s1, 0x84
	v_add_nc_u32_e32 v41, s5, v37
	v_ashrrev_i32_e32 v38, 31, v37
	v_lshlrev_b64 v[9:10], 3, v[29:30]
	s_delay_alu instid0(VALU_DEP_3) | instskip(SKIP_1) | instid1(VALU_DEP_4)
	v_add_nc_u32_e32 v45, s5, v41
	v_ashrrev_i32_e32 v42, 31, v41
	v_lshlrev_b64 v[37:38], 3, v[37:38]
	s_delay_alu instid0(VALU_DEP_4) | instskip(NEXT) | instid1(VALU_DEP_4)
	v_add_co_u32 v29, vcc_lo, s2, v9
	v_add_nc_u32_e32 v51, s5, v45
	v_add_co_ci_u32_e32 v30, vcc_lo, s3, v10, vcc_lo
	v_lshlrev_b64 v[9:10], 3, v[41:42]
	v_ashrrev_i32_e32 v46, 31, v45
	s_delay_alu instid0(VALU_DEP_4) | instskip(SKIP_3) | instid1(VALU_DEP_4)
	v_add_nc_u32_e32 v53, s5, v51
	v_add_co_u32 v37, vcc_lo, s2, v37
	v_ashrrev_i32_e32 v52, 31, v51
	v_add_co_ci_u32_e32 v38, vcc_lo, s3, v38, vcc_lo
	v_add_nc_u32_e32 v95, s5, v53
	v_lshlrev_b64 v[45:46], 3, v[45:46]
	v_add_co_u32 v41, vcc_lo, s2, v9
	v_add_co_ci_u32_e32 v42, vcc_lo, s3, v10, vcc_lo
	s_delay_alu instid0(VALU_DEP_4) | instskip(SKIP_3) | instid1(VALU_DEP_4)
	v_add_nc_u32_e32 v97, s5, v95
	v_lshlrev_b64 v[51:52], 3, v[51:52]
	v_ashrrev_i32_e32 v54, 31, v53
	v_ashrrev_i32_e32 v96, 31, v95
	v_add_nc_u32_e32 v99, s5, v97
	v_ashrrev_i32_e32 v98, 31, v97
	s_delay_alu instid0(VALU_DEP_2) | instskip(SKIP_1) | instid1(VALU_DEP_2)
	v_add_nc_u32_e32 v103, s5, v99
	v_ashrrev_i32_e32 v100, 31, v99
	v_add_nc_u32_e32 v105, s5, v103
	v_ashrrev_i32_e32 v104, 31, v103
	s_delay_alu instid0(VALU_DEP_3) | instskip(NEXT) | instid1(VALU_DEP_3)
	v_lshlrev_b64 v[116:117], 3, v[99:100]
	v_add_nc_u32_e32 v107, s5, v105
	v_ashrrev_i32_e32 v106, 31, v105
	s_delay_alu instid0(VALU_DEP_2) | instskip(SKIP_1) | instid1(VALU_DEP_2)
	v_add_nc_u32_e32 v109, s5, v107
	v_ashrrev_i32_e32 v108, 31, v107
	v_add_nc_u32_e32 v111, s5, v109
	v_ashrrev_i32_e32 v110, 31, v109
	s_delay_alu instid0(VALU_DEP_2) | instskip(SKIP_1) | instid1(VALU_DEP_2)
	v_add_nc_u32_e32 v113, s5, v111
	v_ashrrev_i32_e32 v112, 31, v111
	v_add_nc_u32_e32 v115, s5, v113
	v_ashrrev_i32_e32 v114, 31, v113
	s_delay_alu instid0(VALU_DEP_2) | instskip(NEXT) | instid1(VALU_DEP_1)
	v_add_nc_u32_e32 v119, s5, v115
	v_add_nc_u32_e32 v122, s5, v119
	v_ashrrev_i32_e32 v120, 31, v119
	s_delay_alu instid0(VALU_DEP_2) | instskip(SKIP_1) | instid1(VALU_DEP_2)
	v_add_nc_u32_e32 v124, s5, v122
	v_ashrrev_i32_e32 v123, 31, v122
	v_add_nc_u32_e32 v126, s5, v124
	v_ashrrev_i32_e32 v125, 31, v124
	s_delay_alu instid0(VALU_DEP_2) | instskip(SKIP_1) | instid1(VALU_DEP_2)
	v_add_nc_u32_e32 v130, s5, v126
	v_ashrrev_i32_e32 v127, 31, v126
	;; [unrolled: 5-line block ×12, first 2 shown]
	v_ashrrev_i32_e32 v88, 31, v87
	s_delay_alu instid0(VALU_DEP_1) | instskip(NEXT) | instid1(VALU_DEP_1)
	v_lshlrev_b64 v[87:88], 3, v[87:88]
	v_add_co_u32 v9, vcc_lo, s2, v87
	s_delay_alu instid0(VALU_DEP_2)
	v_add_co_ci_u32_e32 v10, vcc_lo, s3, v88, vcc_lo
	v_add_co_u32 v45, vcc_lo, s2, v45
	v_add_co_ci_u32_e32 v46, vcc_lo, s3, v46, vcc_lo
	global_load_b64 v[170:171], v[9:10], off
	s_waitcnt vmcnt(17)
	scratch_store_b128 off, v[47:50], off
	v_lshlrev_b64 v[49:50], 3, v[53:54]
	v_add_co_u32 v47, vcc_lo, s2, v51
	v_add_co_ci_u32_e32 v48, vcc_lo, s3, v52, vcc_lo
	v_lshlrev_b64 v[51:52], 3, v[95:96]
	s_clause 0x2
	global_load_b64 v[87:88], v[29:30], off
	global_load_b64 v[89:90], v[37:38], off
	;; [unrolled: 1-line block ×3, first 2 shown]
	v_add_co_u32 v49, vcc_lo, s2, v49
	v_lshlrev_b64 v[53:54], 3, v[97:98]
	global_load_b64 v[93:94], v[45:46], off
	v_add_co_ci_u32_e32 v50, vcc_lo, s3, v50, vcc_lo
	v_add_co_u32 v51, vcc_lo, s2, v51
	v_add_co_ci_u32_e32 v52, vcc_lo, s3, v52, vcc_lo
	v_add_co_u32 v53, vcc_lo, s2, v53
	s_waitcnt vmcnt(19)
	scratch_store_b128 off, v[55:58], off offset:16
	s_waitcnt vmcnt(17)
	scratch_store_b128 off, v[59:62], off offset:32
	v_lshlrev_b64 v[57:58], 3, v[103:104]
	v_add_co_ci_u32_e32 v54, vcc_lo, s3, v54, vcc_lo
	v_add_co_u32 v55, vcc_lo, s2, v116
	v_lshlrev_b64 v[59:60], 3, v[105:106]
	v_add_co_ci_u32_e32 v56, vcc_lo, s3, v117, vcc_lo
	s_clause 0x3
	global_load_b64 v[95:96], v[47:48], off
	global_load_b64 v[97:98], v[49:50], off
	;; [unrolled: 1-line block ×4, first 2 shown]
	v_add_co_u32 v57, vcc_lo, s2, v57
	v_lshlrev_b64 v[61:62], 3, v[107:108]
	v_add_co_ci_u32_e32 v58, vcc_lo, s3, v58, vcc_lo
	v_add_co_u32 v59, vcc_lo, s2, v59
	v_lshlrev_b64 v[116:117], 3, v[109:110]
	v_add_co_ci_u32_e32 v60, vcc_lo, s3, v60, vcc_lo
	v_add_co_u32 v61, vcc_lo, s2, v61
	v_add_co_ci_u32_e32 v62, vcc_lo, s3, v62, vcc_lo
	s_waitcnt vmcnt(19)
	scratch_store_b128 off, v[63:66], off offset:48
	s_waitcnt vmcnt(17)
	scratch_store_b128 off, v[67:70], off offset:64
	v_lshlrev_b64 v[65:66], 3, v[111:112]
	v_add_co_u32 v63, vcc_lo, s2, v116
	v_ashrrev_i32_e32 v116, 31, v115
	v_lshlrev_b64 v[67:68], 3, v[113:114]
	s_clause 0x3
	global_load_b64 v[103:104], v[55:56], off
	global_load_b64 v[105:106], v[57:58], off
	;; [unrolled: 1-line block ×4, first 2 shown]
	v_add_co_ci_u32_e32 v64, vcc_lo, s3, v117, vcc_lo
	v_add_co_u32 v65, vcc_lo, s2, v65
	v_lshlrev_b64 v[69:70], 3, v[115:116]
	v_add_co_ci_u32_e32 v66, vcc_lo, s3, v66, vcc_lo
	v_add_co_u32 v67, vcc_lo, s2, v67
	v_add_co_ci_u32_e32 v68, vcc_lo, s3, v68, vcc_lo
	s_waitcnt vmcnt(19)
	scratch_store_b128 off, v[71:74], off offset:80
	s_waitcnt vmcnt(17)
	scratch_store_b128 off, v[75:78], off offset:96
	v_lshlrev_b64 v[71:72], 3, v[119:120]
	v_add_co_u32 v69, vcc_lo, s2, v69
	v_add_co_ci_u32_e32 v70, vcc_lo, s3, v70, vcc_lo
	v_lshlrev_b64 v[73:74], 3, v[122:123]
	s_clause 0x3
	global_load_b64 v[111:112], v[63:64], off
	global_load_b64 v[113:114], v[65:66], off
	;; [unrolled: 1-line block ×4, first 2 shown]
	v_add_co_u32 v71, vcc_lo, s2, v71
	v_lshlrev_b64 v[75:76], 3, v[124:125]
	v_add_co_ci_u32_e32 v72, vcc_lo, s3, v72, vcc_lo
	v_add_co_u32 v73, vcc_lo, s2, v73
	v_lshlrev_b64 v[77:78], 3, v[126:127]
	v_add_co_ci_u32_e32 v74, vcc_lo, s3, v74, vcc_lo
	v_add_co_u32 v75, vcc_lo, s2, v75
	v_add_co_ci_u32_e32 v76, vcc_lo, s3, v76, vcc_lo
	s_delay_alu instid0(VALU_DEP_4)
	v_add_co_u32 v77, vcc_lo, s2, v77
	v_add_co_ci_u32_e32 v78, vcc_lo, s3, v78, vcc_lo
	s_waitcnt vmcnt(19)
	scratch_store_b128 off, v[79:82], off offset:112
	s_waitcnt vmcnt(17)
	scratch_store_b128 off, v[83:86], off offset:128
	s_clause 0x3
	global_load_b64 v[122:123], v[71:72], off
	global_load_b64 v[124:125], v[73:74], off
	;; [unrolled: 1-line block ×4, first 2 shown]
	v_lshlrev_b64 v[79:80], 3, v[130:131]
	v_lshlrev_b64 v[81:82], 3, v[132:133]
	;; [unrolled: 1-line block ×5, first 2 shown]
	s_waitcnt vmcnt(18)
	scratch_store_b128 off, v[87:90], off offset:144
	s_waitcnt vmcnt(16)
	scratch_store_b128 off, v[91:94], off offset:160
	v_add_co_u32 v79, vcc_lo, s2, v79
	v_add_co_ci_u32_e32 v80, vcc_lo, s3, v80, vcc_lo
	v_add_co_u32 v81, vcc_lo, s2, v81
	v_add_co_ci_u32_e32 v82, vcc_lo, s3, v82, vcc_lo
	;; [unrolled: 2-line block ×3, first 2 shown]
	v_add_co_u32 v85, vcc_lo, s2, v85
	v_lshlrev_b64 v[89:90], 3, v[140:141]
	v_add_co_ci_u32_e32 v86, vcc_lo, s3, v86, vcc_lo
	v_add_co_u32 v87, vcc_lo, s2, v119
	v_lshlrev_b64 v[91:92], 3, v[142:143]
	v_add_co_ci_u32_e32 v88, vcc_lo, s3, v120, vcc_lo
	;; [unrolled: 3-line block ×4, first 2 shown]
	s_clause 0x2
	global_load_b64 v[130:131], v[79:80], off
	global_load_b64 v[132:133], v[81:82], off
	;; [unrolled: 1-line block ×3, first 2 shown]
	s_waitcnt vmcnt(17)
	scratch_store_b128 off, v[95:98], off offset:176
	s_waitcnt vmcnt(15)
	scratch_store_b128 off, v[99:102], off offset:192
	v_add_co_u32 v93, vcc_lo, s2, v93
	v_lshlrev_b64 v[97:98], 3, v[148:149]
	v_add_co_ci_u32_e32 v94, vcc_lo, s3, v94, vcc_lo
	v_add_co_u32 v95, vcc_lo, s2, v119
	v_lshlrev_b64 v[99:100], 3, v[150:151]
	v_add_co_ci_u32_e32 v96, vcc_lo, s3, v120, vcc_lo
	;; [unrolled: 3-line block ×4, first 2 shown]
	s_clause 0x3
	global_load_b64 v[136:137], v[85:86], off
	global_load_b64 v[138:139], v[87:88], off
	;; [unrolled: 1-line block ×4, first 2 shown]
	s_waitcnt vmcnt(17)
	scratch_store_b128 off, v[103:106], off offset:208
	s_waitcnt vmcnt(15)
	scratch_store_b128 off, v[107:110], off offset:224
	v_add_co_u32 v101, vcc_lo, s2, v101
	v_lshlrev_b64 v[105:106], 3, v[156:157]
	v_add_co_ci_u32_e32 v102, vcc_lo, s3, v102, vcc_lo
	v_add_co_u32 v103, vcc_lo, s2, v119
	v_lshlrev_b64 v[107:108], 3, v[158:159]
	v_add_co_ci_u32_e32 v104, vcc_lo, s3, v120, vcc_lo
	;; [unrolled: 3-line block ×4, first 2 shown]
	s_clause 0x3
	global_load_b64 v[144:145], v[93:94], off
	global_load_b64 v[146:147], v[95:96], off
	global_load_b64 v[148:149], v[97:98], off
	global_load_b64 v[150:151], v[99:100], off
	s_waitcnt vmcnt(17)
	scratch_store_b128 off, v[111:114], off offset:240
	s_waitcnt vmcnt(15)
	scratch_store_b128 off, v[115:118], off offset:256
	v_add_co_u32 v109, vcc_lo, s2, v109
	v_lshlrev_b64 v[113:114], 3, v[164:165]
	v_add_co_ci_u32_e32 v110, vcc_lo, s3, v110, vcc_lo
	v_add_co_u32 v111, vcc_lo, s2, v119
	v_lshlrev_b64 v[115:116], 3, v[166:167]
	v_add_co_ci_u32_e32 v112, vcc_lo, s3, v120, vcc_lo
	v_mov_b32_e32 v119, 0
	v_add_co_u32 v113, vcc_lo, s2, v113
	v_lshlrev_b64 v[117:118], 3, v[168:169]
	v_add_co_ci_u32_e32 v114, vcc_lo, s3, v114, vcc_lo
	v_add_co_u32 v115, vcc_lo, s2, v115
	v_add_co_ci_u32_e32 v116, vcc_lo, s3, v116, vcc_lo
	s_delay_alu instid0(VALU_DEP_4)
	v_add_co_u32 v117, vcc_lo, s2, v117
	s_clause 0x3
	global_load_b64 v[152:153], v[101:102], off
	global_load_b64 v[154:155], v[103:104], off
	;; [unrolled: 1-line block ×4, first 2 shown]
	v_add_co_ci_u32_e32 v118, vcc_lo, s3, v118, vcc_lo
	s_waitcnt vmcnt(17)
	scratch_store_b128 off, v[122:125], off offset:272
	s_waitcnt vmcnt(15)
	scratch_store_b128 off, v[126:129], off offset:288
	s_clause 0x4
	global_load_b64 v[160:161], v[109:110], off
	global_load_b64 v[122:123], v[111:112], off
	;; [unrolled: 1-line block ×5, first 2 shown]
	v_mov_b32_e32 v120, 0xbff00000
	s_cselect_b32 s3, -1, 0
	s_cmpk_eq_i32 s1, 0x84
	s_waitcnt vmcnt(18)
	scratch_store_b128 off, v[130:133], off offset:304
	s_waitcnt vmcnt(16)
	scratch_store_b128 off, v[134:137], off offset:320
	;; [unrolled: 2-line block ×9, first 2 shown]
	s_waitcnt vmcnt(0)
	s_clause 0x1
	scratch_store_b128 off, v[126:129], off offset:448
	scratch_store_b64 off, v[170:171], off offset:464
	s_cbranch_scc1 .LBB58_3
; %bb.2:
	scratch_load_b64 v[119:120], v121, off
	s_waitcnt vmcnt(0)
	v_div_scale_f64 v[122:123], null, v[119:120], v[119:120], 1.0
	v_div_scale_f64 v[128:129], vcc_lo, 1.0, v[119:120], 1.0
	s_delay_alu instid0(VALU_DEP_2) | instskip(SKIP_2) | instid1(VALU_DEP_1)
	v_rcp_f64_e32 v[124:125], v[122:123]
	s_waitcnt_depctr 0xfff
	v_fma_f64 v[126:127], -v[122:123], v[124:125], 1.0
	v_fma_f64 v[124:125], v[124:125], v[126:127], v[124:125]
	s_delay_alu instid0(VALU_DEP_1) | instskip(NEXT) | instid1(VALU_DEP_1)
	v_fma_f64 v[126:127], -v[122:123], v[124:125], 1.0
	v_fma_f64 v[124:125], v[124:125], v[126:127], v[124:125]
	s_delay_alu instid0(VALU_DEP_1) | instskip(NEXT) | instid1(VALU_DEP_1)
	v_mul_f64 v[126:127], v[128:129], v[124:125]
	v_fma_f64 v[122:123], -v[122:123], v[126:127], v[128:129]
	s_delay_alu instid0(VALU_DEP_1) | instskip(NEXT) | instid1(VALU_DEP_1)
	v_div_fmas_f64 v[122:123], v[122:123], v[124:125], v[126:127]
	v_div_fixup_f64 v[119:120], v[122:123], v[119:120], 1.0
	scratch_store_b64 v121, v[119:120], off
	v_xor_b32_e32 v120, 0x80000000, v120
.LBB58_3:
	v_add_nc_u32_e32 v122, 0x1e0, v121
	v_add_nc_u32_e32 v123, 0, v121
	s_cmpk_eq_i32 s0, 0x79
	s_mov_b32 s0, -1
	ds_store_b64 v121, v[119:120]
	s_cbranch_scc1 .LBB58_579
; %bb.4:
	scratch_load_b64 v[119:120], off, off offset:456
	v_cmp_eq_u32_e64 s0, 58, v0
	s_movk_i32 s1, 0x50
	s_movk_i32 s2, 0x60
	;; [unrolled: 1-line block ×24, first 2 shown]
	s_waitcnt vmcnt(0)
	ds_store_b64 v122, v[119:120]
	s_waitcnt lgkmcnt(0)
	s_waitcnt_vscnt null, 0x0
	s_barrier
	buffer_gl0_inv
	s_and_saveexec_b32 s26, s0
	s_cbranch_execz .LBB58_10
; %bb.5:
	s_and_b32 vcc_lo, exec_lo, s3
	s_cbranch_vccz .LBB58_7
; %bb.6:
	scratch_load_b64 v[119:120], v123, off
	ds_load_b64 v[124:125], v122
	s_waitcnt vmcnt(0) lgkmcnt(0)
	v_mul_f64 v[119:120], v[119:120], v[124:125]
	s_cbranch_execz .LBB58_8
	s_branch .LBB58_9
.LBB58_7:
                                        ; implicit-def: $vgpr119_vgpr120
.LBB58_8:
	ds_load_b64 v[119:120], v122
.LBB58_9:
	v_mov_b32_e32 v124, 0
	ds_load_b64 v[124:125], v124 offset:456
	s_waitcnt lgkmcnt(0)
	v_mul_f64 v[119:120], v[119:120], v[124:125]
	scratch_store_b64 off, v[119:120], off offset:456
.LBB58_10:
	s_or_b32 exec_lo, exec_lo, s26
	scratch_load_b64 v[119:120], off, off offset:448
	v_add_nc_u32_e64 v124, 0, 16
	v_add_nc_u32_e64 v125, 0, 32
	;; [unrolled: 1-line block ×28, first 2 shown]
	v_cmp_lt_u32_e64 s2, 56, v0
	s_waitcnt vmcnt(0)
	ds_store_b64 v122, v[119:120]
	s_waitcnt lgkmcnt(0)
	s_waitcnt_vscnt null, 0x0
	s_barrier
	buffer_gl0_inv
	s_and_saveexec_b32 s1, s2
	s_cbranch_execz .LBB58_18
; %bb.11:
	s_and_not1_b32 vcc_lo, exec_lo, s3
	s_cbranch_vccnz .LBB58_13
; %bb.12:
	scratch_load_b64 v[119:120], v123, off
	ds_load_b64 v[152:153], v122
	s_waitcnt vmcnt(0) lgkmcnt(0)
	v_mul_f64 v[119:120], v[119:120], v[152:153]
	s_cbranch_execz .LBB58_14
	s_branch .LBB58_15
.LBB58_13:
                                        ; implicit-def: $vgpr119_vgpr120
.LBB58_14:
	ds_load_b64 v[119:120], v122
.LBB58_15:
	s_and_saveexec_b32 s4, s0
	s_cbranch_execz .LBB58_17
; %bb.16:
	scratch_load_b64 v[152:153], off, off offset:456
	v_mov_b32_e32 v154, 0
	ds_load_b64 v[154:155], v154 offset:936
	s_waitcnt vmcnt(0) lgkmcnt(0)
	v_fma_f64 v[119:120], v[152:153], v[154:155], v[119:120]
.LBB58_17:
	s_or_b32 exec_lo, exec_lo, s4
	v_mov_b32_e32 v152, 0
	ds_load_b64 v[152:153], v152 offset:448
	s_waitcnt lgkmcnt(0)
	v_mul_f64 v[119:120], v[119:120], v[152:153]
	scratch_store_b64 off, v[119:120], off offset:448
.LBB58_18:
	s_or_b32 exec_lo, exec_lo, s1
	scratch_load_b64 v[119:120], off, off offset:440
	v_cmp_lt_u32_e64 s1, 55, v0
	s_waitcnt vmcnt(0)
	ds_store_b64 v122, v[119:120]
	s_waitcnt lgkmcnt(0)
	s_waitcnt_vscnt null, 0x0
	s_barrier
	buffer_gl0_inv
	s_and_saveexec_b32 s0, s1
	s_cbranch_execz .LBB58_28
; %bb.19:
	s_and_not1_b32 vcc_lo, exec_lo, s3
	s_cbranch_vccnz .LBB58_21
; %bb.20:
	scratch_load_b64 v[119:120], v123, off
	ds_load_b64 v[152:153], v122
	s_waitcnt vmcnt(0) lgkmcnt(0)
	v_mul_f64 v[119:120], v[119:120], v[152:153]
	s_cbranch_execz .LBB58_22
	s_branch .LBB58_23
.LBB58_21:
                                        ; implicit-def: $vgpr119_vgpr120
.LBB58_22:
	ds_load_b64 v[119:120], v122
.LBB58_23:
	s_and_saveexec_b32 s4, s2
	s_cbranch_execz .LBB58_27
; %bb.24:
	v_subrev_nc_u32_e32 v152, 56, v0
	s_movk_i32 s5, 0x3a0
	s_mov_b32 s2, 0
.LBB58_25:                              ; =>This Inner Loop Header: Depth=1
	scratch_load_b64 v[153:154], v151, off
	v_dual_mov_b32 v155, s5 :: v_dual_add_nc_u32 v152, -1, v152
	v_add_nc_u32_e32 v151, 8, v151
	s_add_i32 s5, s5, 8
	ds_load_b64 v[155:156], v155
	v_cmp_eq_u32_e32 vcc_lo, 0, v152
	s_or_b32 s2, vcc_lo, s2
	s_waitcnt vmcnt(0) lgkmcnt(0)
	v_fma_f64 v[119:120], v[153:154], v[155:156], v[119:120]
	s_and_not1_b32 exec_lo, exec_lo, s2
	s_cbranch_execnz .LBB58_25
; %bb.26:
	s_or_b32 exec_lo, exec_lo, s2
.LBB58_27:
	s_delay_alu instid0(SALU_CYCLE_1)
	s_or_b32 exec_lo, exec_lo, s4
	v_mov_b32_e32 v151, 0
	ds_load_b64 v[151:152], v151 offset:440
	s_waitcnt lgkmcnt(0)
	v_mul_f64 v[119:120], v[119:120], v[151:152]
	scratch_store_b64 off, v[119:120], off offset:440
.LBB58_28:
	s_or_b32 exec_lo, exec_lo, s0
	scratch_load_b64 v[119:120], off, off offset:432
	v_cmp_lt_u32_e64 s0, 54, v0
	s_waitcnt vmcnt(0)
	ds_store_b64 v122, v[119:120]
	s_waitcnt lgkmcnt(0)
	s_waitcnt_vscnt null, 0x0
	s_barrier
	buffer_gl0_inv
	s_and_saveexec_b32 s2, s0
	s_cbranch_execz .LBB58_38
; %bb.29:
	s_and_not1_b32 vcc_lo, exec_lo, s3
	s_cbranch_vccnz .LBB58_31
; %bb.30:
	scratch_load_b64 v[119:120], v123, off
	ds_load_b64 v[151:152], v122
	s_waitcnt vmcnt(0) lgkmcnt(0)
	v_mul_f64 v[119:120], v[119:120], v[151:152]
	s_cbranch_execz .LBB58_32
	s_branch .LBB58_33
.LBB58_31:
                                        ; implicit-def: $vgpr119_vgpr120
.LBB58_32:
	ds_load_b64 v[119:120], v122
.LBB58_33:
	s_and_saveexec_b32 s4, s1
	s_cbranch_execz .LBB58_37
; %bb.34:
	v_mov_b32_e32 v151, 0
	v_subrev_nc_u32_e32 v152, 55, v0
	s_movk_i32 s5, 0x398
	s_mov_b32 s1, 0
	s_delay_alu instid0(VALU_DEP_2)
	v_add_nc_u32_e32 v151, 0x1b8, v151
.LBB58_35:                              ; =>This Inner Loop Header: Depth=1
	scratch_load_b64 v[153:154], v151, off
	v_dual_mov_b32 v155, s5 :: v_dual_add_nc_u32 v152, -1, v152
	v_add_nc_u32_e32 v151, 8, v151
	s_add_i32 s5, s5, 8
	ds_load_b64 v[155:156], v155
	v_cmp_eq_u32_e32 vcc_lo, 0, v152
	s_or_b32 s1, vcc_lo, s1
	s_waitcnt vmcnt(0) lgkmcnt(0)
	v_fma_f64 v[119:120], v[153:154], v[155:156], v[119:120]
	s_and_not1_b32 exec_lo, exec_lo, s1
	s_cbranch_execnz .LBB58_35
; %bb.36:
	s_or_b32 exec_lo, exec_lo, s1
.LBB58_37:
	s_delay_alu instid0(SALU_CYCLE_1)
	s_or_b32 exec_lo, exec_lo, s4
	v_mov_b32_e32 v151, 0
	ds_load_b64 v[151:152], v151 offset:432
	s_waitcnt lgkmcnt(0)
	v_mul_f64 v[119:120], v[119:120], v[151:152]
	scratch_store_b64 off, v[119:120], off offset:432
.LBB58_38:
	s_or_b32 exec_lo, exec_lo, s2
	scratch_load_b64 v[119:120], off, off offset:424
	v_cmp_lt_u32_e64 s1, 53, v0
	s_waitcnt vmcnt(0)
	ds_store_b64 v122, v[119:120]
	s_waitcnt lgkmcnt(0)
	s_waitcnt_vscnt null, 0x0
	s_barrier
	buffer_gl0_inv
	s_and_saveexec_b32 s2, s1
	s_cbranch_execz .LBB58_48
; %bb.39:
	s_and_not1_b32 vcc_lo, exec_lo, s3
	s_cbranch_vccnz .LBB58_41
; %bb.40:
	scratch_load_b64 v[119:120], v123, off
	ds_load_b64 v[151:152], v122
	s_waitcnt vmcnt(0) lgkmcnt(0)
	v_mul_f64 v[119:120], v[119:120], v[151:152]
	s_cbranch_execz .LBB58_42
	s_branch .LBB58_43
.LBB58_41:
                                        ; implicit-def: $vgpr119_vgpr120
.LBB58_42:
	ds_load_b64 v[119:120], v122
.LBB58_43:
	s_and_saveexec_b32 s4, s0
	s_cbranch_execz .LBB58_47
; %bb.44:
	v_subrev_nc_u32_e32 v151, 54, v0
	s_movk_i32 s5, 0x390
	s_mov_b32 s0, 0
.LBB58_45:                              ; =>This Inner Loop Header: Depth=1
	scratch_load_b64 v[152:153], v150, off
	v_dual_mov_b32 v154, s5 :: v_dual_add_nc_u32 v151, -1, v151
	v_add_nc_u32_e32 v150, 8, v150
	s_add_i32 s5, s5, 8
	ds_load_b64 v[154:155], v154
	v_cmp_eq_u32_e32 vcc_lo, 0, v151
	s_or_b32 s0, vcc_lo, s0
	s_waitcnt vmcnt(0) lgkmcnt(0)
	v_fma_f64 v[119:120], v[152:153], v[154:155], v[119:120]
	s_and_not1_b32 exec_lo, exec_lo, s0
	s_cbranch_execnz .LBB58_45
; %bb.46:
	s_or_b32 exec_lo, exec_lo, s0
.LBB58_47:
	s_delay_alu instid0(SALU_CYCLE_1)
	s_or_b32 exec_lo, exec_lo, s4
	v_mov_b32_e32 v150, 0
	ds_load_b64 v[150:151], v150 offset:424
	s_waitcnt lgkmcnt(0)
	v_mul_f64 v[119:120], v[119:120], v[150:151]
	scratch_store_b64 off, v[119:120], off offset:424
.LBB58_48:
	s_or_b32 exec_lo, exec_lo, s2
	scratch_load_b64 v[119:120], off, off offset:416
	v_cmp_lt_u32_e64 s0, 52, v0
	s_waitcnt vmcnt(0)
	ds_store_b64 v122, v[119:120]
	s_waitcnt lgkmcnt(0)
	s_waitcnt_vscnt null, 0x0
	s_barrier
	buffer_gl0_inv
	s_and_saveexec_b32 s2, s0
	s_cbranch_execz .LBB58_58
; %bb.49:
	s_and_not1_b32 vcc_lo, exec_lo, s3
	s_cbranch_vccnz .LBB58_51
; %bb.50:
	scratch_load_b64 v[119:120], v123, off
	ds_load_b64 v[150:151], v122
	s_waitcnt vmcnt(0) lgkmcnt(0)
	v_mul_f64 v[119:120], v[119:120], v[150:151]
	s_cbranch_execz .LBB58_52
	s_branch .LBB58_53
.LBB58_51:
                                        ; implicit-def: $vgpr119_vgpr120
.LBB58_52:
	ds_load_b64 v[119:120], v122
.LBB58_53:
	s_and_saveexec_b32 s4, s1
	s_cbranch_execz .LBB58_57
; %bb.54:
	v_mov_b32_e32 v150, 0
	v_subrev_nc_u32_e32 v151, 53, v0
	s_movk_i32 s5, 0x388
	s_mov_b32 s1, 0
	s_delay_alu instid0(VALU_DEP_2)
	v_add_nc_u32_e32 v150, 0x1a8, v150
.LBB58_55:                              ; =>This Inner Loop Header: Depth=1
	scratch_load_b64 v[152:153], v150, off
	v_dual_mov_b32 v154, s5 :: v_dual_add_nc_u32 v151, -1, v151
	v_add_nc_u32_e32 v150, 8, v150
	s_add_i32 s5, s5, 8
	ds_load_b64 v[154:155], v154
	v_cmp_eq_u32_e32 vcc_lo, 0, v151
	s_or_b32 s1, vcc_lo, s1
	s_waitcnt vmcnt(0) lgkmcnt(0)
	v_fma_f64 v[119:120], v[152:153], v[154:155], v[119:120]
	s_and_not1_b32 exec_lo, exec_lo, s1
	s_cbranch_execnz .LBB58_55
; %bb.56:
	s_or_b32 exec_lo, exec_lo, s1
.LBB58_57:
	s_delay_alu instid0(SALU_CYCLE_1)
	s_or_b32 exec_lo, exec_lo, s4
	v_mov_b32_e32 v150, 0
	ds_load_b64 v[150:151], v150 offset:416
	s_waitcnt lgkmcnt(0)
	v_mul_f64 v[119:120], v[119:120], v[150:151]
	scratch_store_b64 off, v[119:120], off offset:416
.LBB58_58:
	s_or_b32 exec_lo, exec_lo, s2
	scratch_load_b64 v[119:120], off, off offset:408
	v_cmp_lt_u32_e64 s1, 51, v0
	s_waitcnt vmcnt(0)
	ds_store_b64 v122, v[119:120]
	s_waitcnt lgkmcnt(0)
	s_waitcnt_vscnt null, 0x0
	s_barrier
	buffer_gl0_inv
	s_and_saveexec_b32 s2, s1
	s_cbranch_execz .LBB58_68
; %bb.59:
	s_and_not1_b32 vcc_lo, exec_lo, s3
	s_cbranch_vccnz .LBB58_61
; %bb.60:
	scratch_load_b64 v[119:120], v123, off
	ds_load_b64 v[150:151], v122
	s_waitcnt vmcnt(0) lgkmcnt(0)
	v_mul_f64 v[119:120], v[119:120], v[150:151]
	s_cbranch_execz .LBB58_62
	s_branch .LBB58_63
.LBB58_61:
                                        ; implicit-def: $vgpr119_vgpr120
.LBB58_62:
	ds_load_b64 v[119:120], v122
.LBB58_63:
	s_and_saveexec_b32 s4, s0
	s_cbranch_execz .LBB58_67
; %bb.64:
	v_subrev_nc_u32_e32 v150, 52, v0
	s_movk_i32 s5, 0x380
	s_mov_b32 s0, 0
.LBB58_65:                              ; =>This Inner Loop Header: Depth=1
	scratch_load_b64 v[151:152], v149, off
	v_dual_mov_b32 v153, s5 :: v_dual_add_nc_u32 v150, -1, v150
	v_add_nc_u32_e32 v149, 8, v149
	s_add_i32 s5, s5, 8
	ds_load_b64 v[153:154], v153
	v_cmp_eq_u32_e32 vcc_lo, 0, v150
	s_or_b32 s0, vcc_lo, s0
	s_waitcnt vmcnt(0) lgkmcnt(0)
	v_fma_f64 v[119:120], v[151:152], v[153:154], v[119:120]
	s_and_not1_b32 exec_lo, exec_lo, s0
	s_cbranch_execnz .LBB58_65
; %bb.66:
	s_or_b32 exec_lo, exec_lo, s0
.LBB58_67:
	s_delay_alu instid0(SALU_CYCLE_1)
	s_or_b32 exec_lo, exec_lo, s4
	v_mov_b32_e32 v149, 0
	ds_load_b64 v[149:150], v149 offset:408
	s_waitcnt lgkmcnt(0)
	v_mul_f64 v[119:120], v[119:120], v[149:150]
	scratch_store_b64 off, v[119:120], off offset:408
.LBB58_68:
	s_or_b32 exec_lo, exec_lo, s2
	scratch_load_b64 v[119:120], off, off offset:400
	v_cmp_lt_u32_e64 s0, 50, v0
	s_waitcnt vmcnt(0)
	ds_store_b64 v122, v[119:120]
	s_waitcnt lgkmcnt(0)
	s_waitcnt_vscnt null, 0x0
	s_barrier
	buffer_gl0_inv
	s_and_saveexec_b32 s2, s0
	s_cbranch_execz .LBB58_78
; %bb.69:
	s_and_not1_b32 vcc_lo, exec_lo, s3
	s_cbranch_vccnz .LBB58_71
; %bb.70:
	scratch_load_b64 v[119:120], v123, off
	ds_load_b64 v[149:150], v122
	s_waitcnt vmcnt(0) lgkmcnt(0)
	v_mul_f64 v[119:120], v[119:120], v[149:150]
	s_cbranch_execz .LBB58_72
	s_branch .LBB58_73
.LBB58_71:
                                        ; implicit-def: $vgpr119_vgpr120
.LBB58_72:
	ds_load_b64 v[119:120], v122
.LBB58_73:
	s_and_saveexec_b32 s4, s1
	s_cbranch_execz .LBB58_77
; %bb.74:
	v_mov_b32_e32 v149, 0
	v_subrev_nc_u32_e32 v150, 51, v0
	s_movk_i32 s5, 0x378
	s_mov_b32 s1, 0
	s_delay_alu instid0(VALU_DEP_2)
	v_add_nc_u32_e32 v149, 0x198, v149
.LBB58_75:                              ; =>This Inner Loop Header: Depth=1
	scratch_load_b64 v[151:152], v149, off
	v_dual_mov_b32 v153, s5 :: v_dual_add_nc_u32 v150, -1, v150
	v_add_nc_u32_e32 v149, 8, v149
	s_add_i32 s5, s5, 8
	ds_load_b64 v[153:154], v153
	v_cmp_eq_u32_e32 vcc_lo, 0, v150
	s_or_b32 s1, vcc_lo, s1
	s_waitcnt vmcnt(0) lgkmcnt(0)
	v_fma_f64 v[119:120], v[151:152], v[153:154], v[119:120]
	s_and_not1_b32 exec_lo, exec_lo, s1
	s_cbranch_execnz .LBB58_75
; %bb.76:
	s_or_b32 exec_lo, exec_lo, s1
.LBB58_77:
	s_delay_alu instid0(SALU_CYCLE_1)
	s_or_b32 exec_lo, exec_lo, s4
	v_mov_b32_e32 v149, 0
	ds_load_b64 v[149:150], v149 offset:400
	s_waitcnt lgkmcnt(0)
	v_mul_f64 v[119:120], v[119:120], v[149:150]
	scratch_store_b64 off, v[119:120], off offset:400
.LBB58_78:
	s_or_b32 exec_lo, exec_lo, s2
	scratch_load_b64 v[119:120], off, off offset:392
	v_cmp_lt_u32_e64 s1, 49, v0
	s_waitcnt vmcnt(0)
	ds_store_b64 v122, v[119:120]
	s_waitcnt lgkmcnt(0)
	s_waitcnt_vscnt null, 0x0
	s_barrier
	buffer_gl0_inv
	s_and_saveexec_b32 s2, s1
	s_cbranch_execz .LBB58_88
; %bb.79:
	s_and_not1_b32 vcc_lo, exec_lo, s3
	s_cbranch_vccnz .LBB58_81
; %bb.80:
	scratch_load_b64 v[119:120], v123, off
	ds_load_b64 v[149:150], v122
	s_waitcnt vmcnt(0) lgkmcnt(0)
	v_mul_f64 v[119:120], v[119:120], v[149:150]
	s_cbranch_execz .LBB58_82
	s_branch .LBB58_83
.LBB58_81:
                                        ; implicit-def: $vgpr119_vgpr120
.LBB58_82:
	ds_load_b64 v[119:120], v122
.LBB58_83:
	s_and_saveexec_b32 s4, s0
	s_cbranch_execz .LBB58_87
; %bb.84:
	v_subrev_nc_u32_e32 v149, 50, v0
	s_movk_i32 s5, 0x370
	s_mov_b32 s0, 0
.LBB58_85:                              ; =>This Inner Loop Header: Depth=1
	scratch_load_b64 v[150:151], v148, off
	v_dual_mov_b32 v152, s5 :: v_dual_add_nc_u32 v149, -1, v149
	v_add_nc_u32_e32 v148, 8, v148
	s_add_i32 s5, s5, 8
	ds_load_b64 v[152:153], v152
	v_cmp_eq_u32_e32 vcc_lo, 0, v149
	s_or_b32 s0, vcc_lo, s0
	s_waitcnt vmcnt(0) lgkmcnt(0)
	v_fma_f64 v[119:120], v[150:151], v[152:153], v[119:120]
	s_and_not1_b32 exec_lo, exec_lo, s0
	s_cbranch_execnz .LBB58_85
; %bb.86:
	s_or_b32 exec_lo, exec_lo, s0
.LBB58_87:
	s_delay_alu instid0(SALU_CYCLE_1)
	s_or_b32 exec_lo, exec_lo, s4
	v_mov_b32_e32 v148, 0
	ds_load_b64 v[148:149], v148 offset:392
	s_waitcnt lgkmcnt(0)
	v_mul_f64 v[119:120], v[119:120], v[148:149]
	scratch_store_b64 off, v[119:120], off offset:392
.LBB58_88:
	s_or_b32 exec_lo, exec_lo, s2
	scratch_load_b64 v[119:120], off, off offset:384
	v_cmp_lt_u32_e64 s0, 48, v0
	s_waitcnt vmcnt(0)
	ds_store_b64 v122, v[119:120]
	s_waitcnt lgkmcnt(0)
	s_waitcnt_vscnt null, 0x0
	s_barrier
	buffer_gl0_inv
	s_and_saveexec_b32 s2, s0
	s_cbranch_execz .LBB58_98
; %bb.89:
	s_and_not1_b32 vcc_lo, exec_lo, s3
	s_cbranch_vccnz .LBB58_91
; %bb.90:
	scratch_load_b64 v[119:120], v123, off
	ds_load_b64 v[148:149], v122
	s_waitcnt vmcnt(0) lgkmcnt(0)
	v_mul_f64 v[119:120], v[119:120], v[148:149]
	s_cbranch_execz .LBB58_92
	s_branch .LBB58_93
.LBB58_91:
                                        ; implicit-def: $vgpr119_vgpr120
.LBB58_92:
	ds_load_b64 v[119:120], v122
.LBB58_93:
	s_and_saveexec_b32 s4, s1
	s_cbranch_execz .LBB58_97
; %bb.94:
	v_mov_b32_e32 v148, 0
	v_subrev_nc_u32_e32 v149, 49, v0
	s_movk_i32 s5, 0x368
	s_mov_b32 s1, 0
	s_delay_alu instid0(VALU_DEP_2)
	v_add_nc_u32_e32 v148, 0x188, v148
.LBB58_95:                              ; =>This Inner Loop Header: Depth=1
	scratch_load_b64 v[150:151], v148, off
	v_dual_mov_b32 v152, s5 :: v_dual_add_nc_u32 v149, -1, v149
	v_add_nc_u32_e32 v148, 8, v148
	s_add_i32 s5, s5, 8
	ds_load_b64 v[152:153], v152
	v_cmp_eq_u32_e32 vcc_lo, 0, v149
	s_or_b32 s1, vcc_lo, s1
	s_waitcnt vmcnt(0) lgkmcnt(0)
	v_fma_f64 v[119:120], v[150:151], v[152:153], v[119:120]
	s_and_not1_b32 exec_lo, exec_lo, s1
	s_cbranch_execnz .LBB58_95
; %bb.96:
	s_or_b32 exec_lo, exec_lo, s1
.LBB58_97:
	s_delay_alu instid0(SALU_CYCLE_1)
	s_or_b32 exec_lo, exec_lo, s4
	v_mov_b32_e32 v148, 0
	ds_load_b64 v[148:149], v148 offset:384
	s_waitcnt lgkmcnt(0)
	v_mul_f64 v[119:120], v[119:120], v[148:149]
	scratch_store_b64 off, v[119:120], off offset:384
.LBB58_98:
	s_or_b32 exec_lo, exec_lo, s2
	scratch_load_b64 v[119:120], off, off offset:376
	v_cmp_lt_u32_e64 s1, 47, v0
	s_waitcnt vmcnt(0)
	ds_store_b64 v122, v[119:120]
	s_waitcnt lgkmcnt(0)
	s_waitcnt_vscnt null, 0x0
	s_barrier
	buffer_gl0_inv
	s_and_saveexec_b32 s2, s1
	s_cbranch_execz .LBB58_108
; %bb.99:
	s_and_not1_b32 vcc_lo, exec_lo, s3
	s_cbranch_vccnz .LBB58_101
; %bb.100:
	scratch_load_b64 v[119:120], v123, off
	ds_load_b64 v[148:149], v122
	s_waitcnt vmcnt(0) lgkmcnt(0)
	v_mul_f64 v[119:120], v[119:120], v[148:149]
	s_cbranch_execz .LBB58_102
	s_branch .LBB58_103
.LBB58_101:
                                        ; implicit-def: $vgpr119_vgpr120
.LBB58_102:
	ds_load_b64 v[119:120], v122
.LBB58_103:
	s_and_saveexec_b32 s4, s0
	s_cbranch_execz .LBB58_107
; %bb.104:
	v_subrev_nc_u32_e32 v148, 48, v0
	s_movk_i32 s5, 0x360
	s_mov_b32 s0, 0
.LBB58_105:                             ; =>This Inner Loop Header: Depth=1
	scratch_load_b64 v[149:150], v147, off
	v_dual_mov_b32 v151, s5 :: v_dual_add_nc_u32 v148, -1, v148
	v_add_nc_u32_e32 v147, 8, v147
	s_add_i32 s5, s5, 8
	ds_load_b64 v[151:152], v151
	v_cmp_eq_u32_e32 vcc_lo, 0, v148
	s_or_b32 s0, vcc_lo, s0
	s_waitcnt vmcnt(0) lgkmcnt(0)
	v_fma_f64 v[119:120], v[149:150], v[151:152], v[119:120]
	s_and_not1_b32 exec_lo, exec_lo, s0
	s_cbranch_execnz .LBB58_105
; %bb.106:
	s_or_b32 exec_lo, exec_lo, s0
.LBB58_107:
	s_delay_alu instid0(SALU_CYCLE_1)
	s_or_b32 exec_lo, exec_lo, s4
	v_mov_b32_e32 v147, 0
	ds_load_b64 v[147:148], v147 offset:376
	s_waitcnt lgkmcnt(0)
	v_mul_f64 v[119:120], v[119:120], v[147:148]
	scratch_store_b64 off, v[119:120], off offset:376
.LBB58_108:
	s_or_b32 exec_lo, exec_lo, s2
	scratch_load_b64 v[119:120], off, off offset:368
	v_cmp_lt_u32_e64 s0, 46, v0
	s_waitcnt vmcnt(0)
	ds_store_b64 v122, v[119:120]
	s_waitcnt lgkmcnt(0)
	s_waitcnt_vscnt null, 0x0
	s_barrier
	buffer_gl0_inv
	s_and_saveexec_b32 s2, s0
	s_cbranch_execz .LBB58_118
; %bb.109:
	s_and_not1_b32 vcc_lo, exec_lo, s3
	s_cbranch_vccnz .LBB58_111
; %bb.110:
	scratch_load_b64 v[119:120], v123, off
	ds_load_b64 v[147:148], v122
	s_waitcnt vmcnt(0) lgkmcnt(0)
	v_mul_f64 v[119:120], v[119:120], v[147:148]
	s_cbranch_execz .LBB58_112
	s_branch .LBB58_113
.LBB58_111:
                                        ; implicit-def: $vgpr119_vgpr120
.LBB58_112:
	ds_load_b64 v[119:120], v122
.LBB58_113:
	s_and_saveexec_b32 s4, s1
	s_cbranch_execz .LBB58_117
; %bb.114:
	v_mov_b32_e32 v147, 0
	v_subrev_nc_u32_e32 v148, 47, v0
	s_movk_i32 s5, 0x358
	s_mov_b32 s1, 0
	s_delay_alu instid0(VALU_DEP_2)
	v_add_nc_u32_e32 v147, 0x178, v147
.LBB58_115:                             ; =>This Inner Loop Header: Depth=1
	scratch_load_b64 v[149:150], v147, off
	v_dual_mov_b32 v151, s5 :: v_dual_add_nc_u32 v148, -1, v148
	v_add_nc_u32_e32 v147, 8, v147
	s_add_i32 s5, s5, 8
	ds_load_b64 v[151:152], v151
	v_cmp_eq_u32_e32 vcc_lo, 0, v148
	s_or_b32 s1, vcc_lo, s1
	s_waitcnt vmcnt(0) lgkmcnt(0)
	v_fma_f64 v[119:120], v[149:150], v[151:152], v[119:120]
	s_and_not1_b32 exec_lo, exec_lo, s1
	s_cbranch_execnz .LBB58_115
; %bb.116:
	s_or_b32 exec_lo, exec_lo, s1
.LBB58_117:
	s_delay_alu instid0(SALU_CYCLE_1)
	s_or_b32 exec_lo, exec_lo, s4
	v_mov_b32_e32 v147, 0
	ds_load_b64 v[147:148], v147 offset:368
	s_waitcnt lgkmcnt(0)
	v_mul_f64 v[119:120], v[119:120], v[147:148]
	scratch_store_b64 off, v[119:120], off offset:368
.LBB58_118:
	s_or_b32 exec_lo, exec_lo, s2
	scratch_load_b64 v[119:120], off, off offset:360
	v_cmp_lt_u32_e64 s1, 45, v0
	s_waitcnt vmcnt(0)
	ds_store_b64 v122, v[119:120]
	s_waitcnt lgkmcnt(0)
	s_waitcnt_vscnt null, 0x0
	s_barrier
	buffer_gl0_inv
	s_and_saveexec_b32 s2, s1
	s_cbranch_execz .LBB58_128
; %bb.119:
	s_and_not1_b32 vcc_lo, exec_lo, s3
	s_cbranch_vccnz .LBB58_121
; %bb.120:
	scratch_load_b64 v[119:120], v123, off
	ds_load_b64 v[147:148], v122
	s_waitcnt vmcnt(0) lgkmcnt(0)
	v_mul_f64 v[119:120], v[119:120], v[147:148]
	s_cbranch_execz .LBB58_122
	s_branch .LBB58_123
.LBB58_121:
                                        ; implicit-def: $vgpr119_vgpr120
.LBB58_122:
	ds_load_b64 v[119:120], v122
.LBB58_123:
	s_and_saveexec_b32 s4, s0
	s_cbranch_execz .LBB58_127
; %bb.124:
	v_subrev_nc_u32_e32 v147, 46, v0
	s_movk_i32 s5, 0x350
	s_mov_b32 s0, 0
.LBB58_125:                             ; =>This Inner Loop Header: Depth=1
	scratch_load_b64 v[148:149], v146, off
	v_dual_mov_b32 v150, s5 :: v_dual_add_nc_u32 v147, -1, v147
	v_add_nc_u32_e32 v146, 8, v146
	s_add_i32 s5, s5, 8
	ds_load_b64 v[150:151], v150
	v_cmp_eq_u32_e32 vcc_lo, 0, v147
	s_or_b32 s0, vcc_lo, s0
	s_waitcnt vmcnt(0) lgkmcnt(0)
	v_fma_f64 v[119:120], v[148:149], v[150:151], v[119:120]
	s_and_not1_b32 exec_lo, exec_lo, s0
	s_cbranch_execnz .LBB58_125
; %bb.126:
	s_or_b32 exec_lo, exec_lo, s0
.LBB58_127:
	s_delay_alu instid0(SALU_CYCLE_1)
	s_or_b32 exec_lo, exec_lo, s4
	v_mov_b32_e32 v146, 0
	ds_load_b64 v[146:147], v146 offset:360
	s_waitcnt lgkmcnt(0)
	v_mul_f64 v[119:120], v[119:120], v[146:147]
	scratch_store_b64 off, v[119:120], off offset:360
.LBB58_128:
	s_or_b32 exec_lo, exec_lo, s2
	scratch_load_b64 v[119:120], off, off offset:352
	v_cmp_lt_u32_e64 s0, 44, v0
	s_waitcnt vmcnt(0)
	ds_store_b64 v122, v[119:120]
	s_waitcnt lgkmcnt(0)
	s_waitcnt_vscnt null, 0x0
	s_barrier
	buffer_gl0_inv
	s_and_saveexec_b32 s2, s0
	s_cbranch_execz .LBB58_138
; %bb.129:
	s_and_not1_b32 vcc_lo, exec_lo, s3
	s_cbranch_vccnz .LBB58_131
; %bb.130:
	scratch_load_b64 v[119:120], v123, off
	ds_load_b64 v[146:147], v122
	s_waitcnt vmcnt(0) lgkmcnt(0)
	v_mul_f64 v[119:120], v[119:120], v[146:147]
	s_cbranch_execz .LBB58_132
	s_branch .LBB58_133
.LBB58_131:
                                        ; implicit-def: $vgpr119_vgpr120
.LBB58_132:
	ds_load_b64 v[119:120], v122
.LBB58_133:
	s_and_saveexec_b32 s4, s1
	s_cbranch_execz .LBB58_137
; %bb.134:
	v_mov_b32_e32 v146, 0
	v_subrev_nc_u32_e32 v147, 45, v0
	s_movk_i32 s5, 0x348
	s_mov_b32 s1, 0
	s_delay_alu instid0(VALU_DEP_2)
	v_add_nc_u32_e32 v146, 0x168, v146
.LBB58_135:                             ; =>This Inner Loop Header: Depth=1
	scratch_load_b64 v[148:149], v146, off
	v_dual_mov_b32 v150, s5 :: v_dual_add_nc_u32 v147, -1, v147
	v_add_nc_u32_e32 v146, 8, v146
	s_add_i32 s5, s5, 8
	ds_load_b64 v[150:151], v150
	v_cmp_eq_u32_e32 vcc_lo, 0, v147
	s_or_b32 s1, vcc_lo, s1
	s_waitcnt vmcnt(0) lgkmcnt(0)
	v_fma_f64 v[119:120], v[148:149], v[150:151], v[119:120]
	s_and_not1_b32 exec_lo, exec_lo, s1
	s_cbranch_execnz .LBB58_135
; %bb.136:
	s_or_b32 exec_lo, exec_lo, s1
.LBB58_137:
	s_delay_alu instid0(SALU_CYCLE_1)
	s_or_b32 exec_lo, exec_lo, s4
	v_mov_b32_e32 v146, 0
	ds_load_b64 v[146:147], v146 offset:352
	s_waitcnt lgkmcnt(0)
	v_mul_f64 v[119:120], v[119:120], v[146:147]
	scratch_store_b64 off, v[119:120], off offset:352
.LBB58_138:
	s_or_b32 exec_lo, exec_lo, s2
	scratch_load_b64 v[119:120], off, off offset:344
	v_cmp_lt_u32_e64 s1, 43, v0
	s_waitcnt vmcnt(0)
	ds_store_b64 v122, v[119:120]
	s_waitcnt lgkmcnt(0)
	s_waitcnt_vscnt null, 0x0
	s_barrier
	buffer_gl0_inv
	s_and_saveexec_b32 s2, s1
	s_cbranch_execz .LBB58_148
; %bb.139:
	s_and_not1_b32 vcc_lo, exec_lo, s3
	s_cbranch_vccnz .LBB58_141
; %bb.140:
	scratch_load_b64 v[119:120], v123, off
	ds_load_b64 v[146:147], v122
	s_waitcnt vmcnt(0) lgkmcnt(0)
	v_mul_f64 v[119:120], v[119:120], v[146:147]
	s_cbranch_execz .LBB58_142
	s_branch .LBB58_143
.LBB58_141:
                                        ; implicit-def: $vgpr119_vgpr120
.LBB58_142:
	ds_load_b64 v[119:120], v122
.LBB58_143:
	s_and_saveexec_b32 s4, s0
	s_cbranch_execz .LBB58_147
; %bb.144:
	v_subrev_nc_u32_e32 v146, 44, v0
	s_movk_i32 s5, 0x340
	s_mov_b32 s0, 0
.LBB58_145:                             ; =>This Inner Loop Header: Depth=1
	scratch_load_b64 v[147:148], v145, off
	v_dual_mov_b32 v149, s5 :: v_dual_add_nc_u32 v146, -1, v146
	v_add_nc_u32_e32 v145, 8, v145
	s_add_i32 s5, s5, 8
	ds_load_b64 v[149:150], v149
	v_cmp_eq_u32_e32 vcc_lo, 0, v146
	s_or_b32 s0, vcc_lo, s0
	s_waitcnt vmcnt(0) lgkmcnt(0)
	v_fma_f64 v[119:120], v[147:148], v[149:150], v[119:120]
	s_and_not1_b32 exec_lo, exec_lo, s0
	s_cbranch_execnz .LBB58_145
; %bb.146:
	s_or_b32 exec_lo, exec_lo, s0
.LBB58_147:
	s_delay_alu instid0(SALU_CYCLE_1)
	s_or_b32 exec_lo, exec_lo, s4
	v_mov_b32_e32 v145, 0
	ds_load_b64 v[145:146], v145 offset:344
	s_waitcnt lgkmcnt(0)
	v_mul_f64 v[119:120], v[119:120], v[145:146]
	scratch_store_b64 off, v[119:120], off offset:344
.LBB58_148:
	s_or_b32 exec_lo, exec_lo, s2
	scratch_load_b64 v[119:120], off, off offset:336
	v_cmp_lt_u32_e64 s0, 42, v0
	s_waitcnt vmcnt(0)
	ds_store_b64 v122, v[119:120]
	s_waitcnt lgkmcnt(0)
	s_waitcnt_vscnt null, 0x0
	s_barrier
	buffer_gl0_inv
	s_and_saveexec_b32 s2, s0
	s_cbranch_execz .LBB58_158
; %bb.149:
	s_and_not1_b32 vcc_lo, exec_lo, s3
	s_cbranch_vccnz .LBB58_151
; %bb.150:
	scratch_load_b64 v[119:120], v123, off
	ds_load_b64 v[145:146], v122
	s_waitcnt vmcnt(0) lgkmcnt(0)
	v_mul_f64 v[119:120], v[119:120], v[145:146]
	s_cbranch_execz .LBB58_152
	s_branch .LBB58_153
.LBB58_151:
                                        ; implicit-def: $vgpr119_vgpr120
.LBB58_152:
	ds_load_b64 v[119:120], v122
.LBB58_153:
	s_and_saveexec_b32 s4, s1
	s_cbranch_execz .LBB58_157
; %bb.154:
	v_mov_b32_e32 v145, 0
	v_subrev_nc_u32_e32 v146, 43, v0
	s_movk_i32 s5, 0x338
	s_mov_b32 s1, 0
	s_delay_alu instid0(VALU_DEP_2)
	v_add_nc_u32_e32 v145, 0x158, v145
.LBB58_155:                             ; =>This Inner Loop Header: Depth=1
	scratch_load_b64 v[147:148], v145, off
	v_dual_mov_b32 v149, s5 :: v_dual_add_nc_u32 v146, -1, v146
	v_add_nc_u32_e32 v145, 8, v145
	s_add_i32 s5, s5, 8
	ds_load_b64 v[149:150], v149
	v_cmp_eq_u32_e32 vcc_lo, 0, v146
	s_or_b32 s1, vcc_lo, s1
	s_waitcnt vmcnt(0) lgkmcnt(0)
	v_fma_f64 v[119:120], v[147:148], v[149:150], v[119:120]
	s_and_not1_b32 exec_lo, exec_lo, s1
	s_cbranch_execnz .LBB58_155
; %bb.156:
	s_or_b32 exec_lo, exec_lo, s1
.LBB58_157:
	s_delay_alu instid0(SALU_CYCLE_1)
	s_or_b32 exec_lo, exec_lo, s4
	v_mov_b32_e32 v145, 0
	ds_load_b64 v[145:146], v145 offset:336
	s_waitcnt lgkmcnt(0)
	v_mul_f64 v[119:120], v[119:120], v[145:146]
	scratch_store_b64 off, v[119:120], off offset:336
.LBB58_158:
	s_or_b32 exec_lo, exec_lo, s2
	scratch_load_b64 v[119:120], off, off offset:328
	v_cmp_lt_u32_e64 s1, 41, v0
	s_waitcnt vmcnt(0)
	ds_store_b64 v122, v[119:120]
	s_waitcnt lgkmcnt(0)
	s_waitcnt_vscnt null, 0x0
	s_barrier
	buffer_gl0_inv
	s_and_saveexec_b32 s2, s1
	s_cbranch_execz .LBB58_168
; %bb.159:
	s_and_not1_b32 vcc_lo, exec_lo, s3
	s_cbranch_vccnz .LBB58_161
; %bb.160:
	scratch_load_b64 v[119:120], v123, off
	ds_load_b64 v[145:146], v122
	s_waitcnt vmcnt(0) lgkmcnt(0)
	v_mul_f64 v[119:120], v[119:120], v[145:146]
	s_cbranch_execz .LBB58_162
	s_branch .LBB58_163
.LBB58_161:
                                        ; implicit-def: $vgpr119_vgpr120
.LBB58_162:
	ds_load_b64 v[119:120], v122
.LBB58_163:
	s_and_saveexec_b32 s4, s0
	s_cbranch_execz .LBB58_167
; %bb.164:
	v_subrev_nc_u32_e32 v145, 42, v0
	s_movk_i32 s5, 0x330
	s_mov_b32 s0, 0
.LBB58_165:                             ; =>This Inner Loop Header: Depth=1
	scratch_load_b64 v[146:147], v144, off
	v_dual_mov_b32 v148, s5 :: v_dual_add_nc_u32 v145, -1, v145
	v_add_nc_u32_e32 v144, 8, v144
	s_add_i32 s5, s5, 8
	ds_load_b64 v[148:149], v148
	v_cmp_eq_u32_e32 vcc_lo, 0, v145
	s_or_b32 s0, vcc_lo, s0
	s_waitcnt vmcnt(0) lgkmcnt(0)
	v_fma_f64 v[119:120], v[146:147], v[148:149], v[119:120]
	s_and_not1_b32 exec_lo, exec_lo, s0
	s_cbranch_execnz .LBB58_165
; %bb.166:
	s_or_b32 exec_lo, exec_lo, s0
.LBB58_167:
	s_delay_alu instid0(SALU_CYCLE_1)
	s_or_b32 exec_lo, exec_lo, s4
	v_mov_b32_e32 v144, 0
	ds_load_b64 v[144:145], v144 offset:328
	s_waitcnt lgkmcnt(0)
	v_mul_f64 v[119:120], v[119:120], v[144:145]
	scratch_store_b64 off, v[119:120], off offset:328
.LBB58_168:
	s_or_b32 exec_lo, exec_lo, s2
	scratch_load_b64 v[119:120], off, off offset:320
	v_cmp_lt_u32_e64 s0, 40, v0
	s_waitcnt vmcnt(0)
	ds_store_b64 v122, v[119:120]
	s_waitcnt lgkmcnt(0)
	s_waitcnt_vscnt null, 0x0
	s_barrier
	buffer_gl0_inv
	s_and_saveexec_b32 s2, s0
	s_cbranch_execz .LBB58_178
; %bb.169:
	s_and_not1_b32 vcc_lo, exec_lo, s3
	s_cbranch_vccnz .LBB58_171
; %bb.170:
	scratch_load_b64 v[119:120], v123, off
	ds_load_b64 v[144:145], v122
	s_waitcnt vmcnt(0) lgkmcnt(0)
	v_mul_f64 v[119:120], v[119:120], v[144:145]
	s_cbranch_execz .LBB58_172
	s_branch .LBB58_173
.LBB58_171:
                                        ; implicit-def: $vgpr119_vgpr120
.LBB58_172:
	ds_load_b64 v[119:120], v122
.LBB58_173:
	s_and_saveexec_b32 s4, s1
	s_cbranch_execz .LBB58_177
; %bb.174:
	v_mov_b32_e32 v144, 0
	v_subrev_nc_u32_e32 v145, 41, v0
	s_movk_i32 s5, 0x328
	s_mov_b32 s1, 0
	s_delay_alu instid0(VALU_DEP_2)
	v_add_nc_u32_e32 v144, 0x148, v144
.LBB58_175:                             ; =>This Inner Loop Header: Depth=1
	scratch_load_b64 v[146:147], v144, off
	v_dual_mov_b32 v148, s5 :: v_dual_add_nc_u32 v145, -1, v145
	v_add_nc_u32_e32 v144, 8, v144
	s_add_i32 s5, s5, 8
	ds_load_b64 v[148:149], v148
	v_cmp_eq_u32_e32 vcc_lo, 0, v145
	s_or_b32 s1, vcc_lo, s1
	s_waitcnt vmcnt(0) lgkmcnt(0)
	v_fma_f64 v[119:120], v[146:147], v[148:149], v[119:120]
	s_and_not1_b32 exec_lo, exec_lo, s1
	s_cbranch_execnz .LBB58_175
; %bb.176:
	s_or_b32 exec_lo, exec_lo, s1
.LBB58_177:
	s_delay_alu instid0(SALU_CYCLE_1)
	s_or_b32 exec_lo, exec_lo, s4
	v_mov_b32_e32 v144, 0
	ds_load_b64 v[144:145], v144 offset:320
	s_waitcnt lgkmcnt(0)
	v_mul_f64 v[119:120], v[119:120], v[144:145]
	scratch_store_b64 off, v[119:120], off offset:320
.LBB58_178:
	s_or_b32 exec_lo, exec_lo, s2
	scratch_load_b64 v[119:120], off, off offset:312
	v_cmp_lt_u32_e64 s1, 39, v0
	s_waitcnt vmcnt(0)
	ds_store_b64 v122, v[119:120]
	s_waitcnt lgkmcnt(0)
	s_waitcnt_vscnt null, 0x0
	s_barrier
	buffer_gl0_inv
	s_and_saveexec_b32 s2, s1
	s_cbranch_execz .LBB58_188
; %bb.179:
	s_and_not1_b32 vcc_lo, exec_lo, s3
	s_cbranch_vccnz .LBB58_181
; %bb.180:
	scratch_load_b64 v[119:120], v123, off
	ds_load_b64 v[144:145], v122
	s_waitcnt vmcnt(0) lgkmcnt(0)
	v_mul_f64 v[119:120], v[119:120], v[144:145]
	s_cbranch_execz .LBB58_182
	s_branch .LBB58_183
.LBB58_181:
                                        ; implicit-def: $vgpr119_vgpr120
.LBB58_182:
	ds_load_b64 v[119:120], v122
.LBB58_183:
	s_and_saveexec_b32 s4, s0
	s_cbranch_execz .LBB58_187
; %bb.184:
	v_subrev_nc_u32_e32 v144, 40, v0
	s_movk_i32 s5, 0x320
	s_mov_b32 s0, 0
.LBB58_185:                             ; =>This Inner Loop Header: Depth=1
	scratch_load_b64 v[145:146], v143, off
	v_dual_mov_b32 v147, s5 :: v_dual_add_nc_u32 v144, -1, v144
	v_add_nc_u32_e32 v143, 8, v143
	s_add_i32 s5, s5, 8
	ds_load_b64 v[147:148], v147
	v_cmp_eq_u32_e32 vcc_lo, 0, v144
	s_or_b32 s0, vcc_lo, s0
	s_waitcnt vmcnt(0) lgkmcnt(0)
	v_fma_f64 v[119:120], v[145:146], v[147:148], v[119:120]
	s_and_not1_b32 exec_lo, exec_lo, s0
	s_cbranch_execnz .LBB58_185
; %bb.186:
	s_or_b32 exec_lo, exec_lo, s0
.LBB58_187:
	s_delay_alu instid0(SALU_CYCLE_1)
	s_or_b32 exec_lo, exec_lo, s4
	v_mov_b32_e32 v143, 0
	ds_load_b64 v[143:144], v143 offset:312
	s_waitcnt lgkmcnt(0)
	v_mul_f64 v[119:120], v[119:120], v[143:144]
	scratch_store_b64 off, v[119:120], off offset:312
.LBB58_188:
	s_or_b32 exec_lo, exec_lo, s2
	scratch_load_b64 v[119:120], off, off offset:304
	v_cmp_lt_u32_e64 s0, 38, v0
	s_waitcnt vmcnt(0)
	ds_store_b64 v122, v[119:120]
	s_waitcnt lgkmcnt(0)
	s_waitcnt_vscnt null, 0x0
	s_barrier
	buffer_gl0_inv
	s_and_saveexec_b32 s2, s0
	s_cbranch_execz .LBB58_198
; %bb.189:
	s_and_not1_b32 vcc_lo, exec_lo, s3
	s_cbranch_vccnz .LBB58_191
; %bb.190:
	scratch_load_b64 v[119:120], v123, off
	ds_load_b64 v[143:144], v122
	s_waitcnt vmcnt(0) lgkmcnt(0)
	v_mul_f64 v[119:120], v[119:120], v[143:144]
	s_cbranch_execz .LBB58_192
	s_branch .LBB58_193
.LBB58_191:
                                        ; implicit-def: $vgpr119_vgpr120
.LBB58_192:
	ds_load_b64 v[119:120], v122
.LBB58_193:
	s_and_saveexec_b32 s4, s1
	s_cbranch_execz .LBB58_197
; %bb.194:
	v_mov_b32_e32 v143, 0
	v_subrev_nc_u32_e32 v144, 39, v0
	s_movk_i32 s5, 0x318
	s_mov_b32 s1, 0
	s_delay_alu instid0(VALU_DEP_2)
	v_add_nc_u32_e32 v143, 0x138, v143
.LBB58_195:                             ; =>This Inner Loop Header: Depth=1
	scratch_load_b64 v[145:146], v143, off
	v_dual_mov_b32 v147, s5 :: v_dual_add_nc_u32 v144, -1, v144
	v_add_nc_u32_e32 v143, 8, v143
	s_add_i32 s5, s5, 8
	ds_load_b64 v[147:148], v147
	v_cmp_eq_u32_e32 vcc_lo, 0, v144
	s_or_b32 s1, vcc_lo, s1
	s_waitcnt vmcnt(0) lgkmcnt(0)
	v_fma_f64 v[119:120], v[145:146], v[147:148], v[119:120]
	s_and_not1_b32 exec_lo, exec_lo, s1
	s_cbranch_execnz .LBB58_195
; %bb.196:
	s_or_b32 exec_lo, exec_lo, s1
.LBB58_197:
	s_delay_alu instid0(SALU_CYCLE_1)
	s_or_b32 exec_lo, exec_lo, s4
	v_mov_b32_e32 v143, 0
	ds_load_b64 v[143:144], v143 offset:304
	s_waitcnt lgkmcnt(0)
	v_mul_f64 v[119:120], v[119:120], v[143:144]
	scratch_store_b64 off, v[119:120], off offset:304
.LBB58_198:
	s_or_b32 exec_lo, exec_lo, s2
	scratch_load_b64 v[119:120], off, off offset:296
	v_cmp_lt_u32_e64 s1, 37, v0
	s_waitcnt vmcnt(0)
	ds_store_b64 v122, v[119:120]
	s_waitcnt lgkmcnt(0)
	s_waitcnt_vscnt null, 0x0
	s_barrier
	buffer_gl0_inv
	s_and_saveexec_b32 s2, s1
	s_cbranch_execz .LBB58_208
; %bb.199:
	s_and_not1_b32 vcc_lo, exec_lo, s3
	s_cbranch_vccnz .LBB58_201
; %bb.200:
	scratch_load_b64 v[119:120], v123, off
	ds_load_b64 v[143:144], v122
	s_waitcnt vmcnt(0) lgkmcnt(0)
	v_mul_f64 v[119:120], v[119:120], v[143:144]
	s_cbranch_execz .LBB58_202
	s_branch .LBB58_203
.LBB58_201:
                                        ; implicit-def: $vgpr119_vgpr120
.LBB58_202:
	ds_load_b64 v[119:120], v122
.LBB58_203:
	s_and_saveexec_b32 s4, s0
	s_cbranch_execz .LBB58_207
; %bb.204:
	v_subrev_nc_u32_e32 v143, 38, v0
	s_movk_i32 s5, 0x310
	s_mov_b32 s0, 0
.LBB58_205:                             ; =>This Inner Loop Header: Depth=1
	scratch_load_b64 v[144:145], v142, off
	v_dual_mov_b32 v146, s5 :: v_dual_add_nc_u32 v143, -1, v143
	v_add_nc_u32_e32 v142, 8, v142
	s_add_i32 s5, s5, 8
	ds_load_b64 v[146:147], v146
	v_cmp_eq_u32_e32 vcc_lo, 0, v143
	s_or_b32 s0, vcc_lo, s0
	s_waitcnt vmcnt(0) lgkmcnt(0)
	v_fma_f64 v[119:120], v[144:145], v[146:147], v[119:120]
	s_and_not1_b32 exec_lo, exec_lo, s0
	s_cbranch_execnz .LBB58_205
; %bb.206:
	s_or_b32 exec_lo, exec_lo, s0
.LBB58_207:
	s_delay_alu instid0(SALU_CYCLE_1)
	s_or_b32 exec_lo, exec_lo, s4
	v_mov_b32_e32 v142, 0
	ds_load_b64 v[142:143], v142 offset:296
	s_waitcnt lgkmcnt(0)
	v_mul_f64 v[119:120], v[119:120], v[142:143]
	scratch_store_b64 off, v[119:120], off offset:296
.LBB58_208:
	s_or_b32 exec_lo, exec_lo, s2
	scratch_load_b64 v[119:120], off, off offset:288
	v_cmp_lt_u32_e64 s0, 36, v0
	s_waitcnt vmcnt(0)
	ds_store_b64 v122, v[119:120]
	s_waitcnt lgkmcnt(0)
	s_waitcnt_vscnt null, 0x0
	s_barrier
	buffer_gl0_inv
	s_and_saveexec_b32 s2, s0
	s_cbranch_execz .LBB58_218
; %bb.209:
	s_and_not1_b32 vcc_lo, exec_lo, s3
	s_cbranch_vccnz .LBB58_211
; %bb.210:
	scratch_load_b64 v[119:120], v123, off
	ds_load_b64 v[142:143], v122
	s_waitcnt vmcnt(0) lgkmcnt(0)
	v_mul_f64 v[119:120], v[119:120], v[142:143]
	s_cbranch_execz .LBB58_212
	s_branch .LBB58_213
.LBB58_211:
                                        ; implicit-def: $vgpr119_vgpr120
.LBB58_212:
	ds_load_b64 v[119:120], v122
.LBB58_213:
	s_and_saveexec_b32 s4, s1
	s_cbranch_execz .LBB58_217
; %bb.214:
	v_mov_b32_e32 v142, 0
	v_subrev_nc_u32_e32 v143, 37, v0
	s_movk_i32 s5, 0x308
	s_mov_b32 s1, 0
	s_delay_alu instid0(VALU_DEP_2)
	v_add_nc_u32_e32 v142, 0x128, v142
.LBB58_215:                             ; =>This Inner Loop Header: Depth=1
	scratch_load_b64 v[144:145], v142, off
	v_dual_mov_b32 v146, s5 :: v_dual_add_nc_u32 v143, -1, v143
	v_add_nc_u32_e32 v142, 8, v142
	s_add_i32 s5, s5, 8
	ds_load_b64 v[146:147], v146
	v_cmp_eq_u32_e32 vcc_lo, 0, v143
	s_or_b32 s1, vcc_lo, s1
	s_waitcnt vmcnt(0) lgkmcnt(0)
	v_fma_f64 v[119:120], v[144:145], v[146:147], v[119:120]
	s_and_not1_b32 exec_lo, exec_lo, s1
	s_cbranch_execnz .LBB58_215
; %bb.216:
	s_or_b32 exec_lo, exec_lo, s1
.LBB58_217:
	s_delay_alu instid0(SALU_CYCLE_1)
	s_or_b32 exec_lo, exec_lo, s4
	v_mov_b32_e32 v142, 0
	ds_load_b64 v[142:143], v142 offset:288
	s_waitcnt lgkmcnt(0)
	v_mul_f64 v[119:120], v[119:120], v[142:143]
	scratch_store_b64 off, v[119:120], off offset:288
.LBB58_218:
	s_or_b32 exec_lo, exec_lo, s2
	scratch_load_b64 v[119:120], off, off offset:280
	v_cmp_lt_u32_e64 s1, 35, v0
	s_waitcnt vmcnt(0)
	ds_store_b64 v122, v[119:120]
	s_waitcnt lgkmcnt(0)
	s_waitcnt_vscnt null, 0x0
	s_barrier
	buffer_gl0_inv
	s_and_saveexec_b32 s2, s1
	s_cbranch_execz .LBB58_228
; %bb.219:
	s_and_not1_b32 vcc_lo, exec_lo, s3
	s_cbranch_vccnz .LBB58_221
; %bb.220:
	scratch_load_b64 v[119:120], v123, off
	ds_load_b64 v[142:143], v122
	s_waitcnt vmcnt(0) lgkmcnt(0)
	v_mul_f64 v[119:120], v[119:120], v[142:143]
	s_cbranch_execz .LBB58_222
	s_branch .LBB58_223
.LBB58_221:
                                        ; implicit-def: $vgpr119_vgpr120
.LBB58_222:
	ds_load_b64 v[119:120], v122
.LBB58_223:
	s_and_saveexec_b32 s4, s0
	s_cbranch_execz .LBB58_227
; %bb.224:
	v_subrev_nc_u32_e32 v142, 36, v0
	s_movk_i32 s5, 0x300
	s_mov_b32 s0, 0
.LBB58_225:                             ; =>This Inner Loop Header: Depth=1
	scratch_load_b64 v[143:144], v141, off
	v_dual_mov_b32 v145, s5 :: v_dual_add_nc_u32 v142, -1, v142
	v_add_nc_u32_e32 v141, 8, v141
	s_add_i32 s5, s5, 8
	ds_load_b64 v[145:146], v145
	v_cmp_eq_u32_e32 vcc_lo, 0, v142
	s_or_b32 s0, vcc_lo, s0
	s_waitcnt vmcnt(0) lgkmcnt(0)
	v_fma_f64 v[119:120], v[143:144], v[145:146], v[119:120]
	s_and_not1_b32 exec_lo, exec_lo, s0
	s_cbranch_execnz .LBB58_225
; %bb.226:
	s_or_b32 exec_lo, exec_lo, s0
.LBB58_227:
	s_delay_alu instid0(SALU_CYCLE_1)
	s_or_b32 exec_lo, exec_lo, s4
	v_mov_b32_e32 v141, 0
	ds_load_b64 v[141:142], v141 offset:280
	s_waitcnt lgkmcnt(0)
	v_mul_f64 v[119:120], v[119:120], v[141:142]
	scratch_store_b64 off, v[119:120], off offset:280
.LBB58_228:
	s_or_b32 exec_lo, exec_lo, s2
	scratch_load_b64 v[119:120], off, off offset:272
	v_cmp_lt_u32_e64 s0, 34, v0
	s_waitcnt vmcnt(0)
	ds_store_b64 v122, v[119:120]
	s_waitcnt lgkmcnt(0)
	s_waitcnt_vscnt null, 0x0
	s_barrier
	buffer_gl0_inv
	s_and_saveexec_b32 s2, s0
	s_cbranch_execz .LBB58_238
; %bb.229:
	s_and_not1_b32 vcc_lo, exec_lo, s3
	s_cbranch_vccnz .LBB58_231
; %bb.230:
	scratch_load_b64 v[119:120], v123, off
	ds_load_b64 v[141:142], v122
	s_waitcnt vmcnt(0) lgkmcnt(0)
	v_mul_f64 v[119:120], v[119:120], v[141:142]
	s_cbranch_execz .LBB58_232
	s_branch .LBB58_233
.LBB58_231:
                                        ; implicit-def: $vgpr119_vgpr120
.LBB58_232:
	ds_load_b64 v[119:120], v122
.LBB58_233:
	s_and_saveexec_b32 s4, s1
	s_cbranch_execz .LBB58_237
; %bb.234:
	v_mov_b32_e32 v141, 0
	v_subrev_nc_u32_e32 v142, 35, v0
	s_movk_i32 s5, 0x2f8
	s_mov_b32 s1, 0
	s_delay_alu instid0(VALU_DEP_2)
	v_add_nc_u32_e32 v141, 0x118, v141
.LBB58_235:                             ; =>This Inner Loop Header: Depth=1
	scratch_load_b64 v[143:144], v141, off
	v_dual_mov_b32 v145, s5 :: v_dual_add_nc_u32 v142, -1, v142
	v_add_nc_u32_e32 v141, 8, v141
	s_add_i32 s5, s5, 8
	ds_load_b64 v[145:146], v145
	v_cmp_eq_u32_e32 vcc_lo, 0, v142
	s_or_b32 s1, vcc_lo, s1
	s_waitcnt vmcnt(0) lgkmcnt(0)
	v_fma_f64 v[119:120], v[143:144], v[145:146], v[119:120]
	s_and_not1_b32 exec_lo, exec_lo, s1
	s_cbranch_execnz .LBB58_235
; %bb.236:
	s_or_b32 exec_lo, exec_lo, s1
.LBB58_237:
	s_delay_alu instid0(SALU_CYCLE_1)
	s_or_b32 exec_lo, exec_lo, s4
	v_mov_b32_e32 v141, 0
	ds_load_b64 v[141:142], v141 offset:272
	s_waitcnt lgkmcnt(0)
	v_mul_f64 v[119:120], v[119:120], v[141:142]
	scratch_store_b64 off, v[119:120], off offset:272
.LBB58_238:
	s_or_b32 exec_lo, exec_lo, s2
	scratch_load_b64 v[119:120], off, off offset:264
	v_cmp_lt_u32_e64 s1, 33, v0
	s_waitcnt vmcnt(0)
	ds_store_b64 v122, v[119:120]
	s_waitcnt lgkmcnt(0)
	s_waitcnt_vscnt null, 0x0
	s_barrier
	buffer_gl0_inv
	s_and_saveexec_b32 s2, s1
	s_cbranch_execz .LBB58_248
; %bb.239:
	s_and_not1_b32 vcc_lo, exec_lo, s3
	s_cbranch_vccnz .LBB58_241
; %bb.240:
	scratch_load_b64 v[119:120], v123, off
	ds_load_b64 v[141:142], v122
	s_waitcnt vmcnt(0) lgkmcnt(0)
	v_mul_f64 v[119:120], v[119:120], v[141:142]
	s_cbranch_execz .LBB58_242
	s_branch .LBB58_243
.LBB58_241:
                                        ; implicit-def: $vgpr119_vgpr120
.LBB58_242:
	ds_load_b64 v[119:120], v122
.LBB58_243:
	s_and_saveexec_b32 s4, s0
	s_cbranch_execz .LBB58_247
; %bb.244:
	v_subrev_nc_u32_e32 v141, 34, v0
	s_movk_i32 s5, 0x2f0
	s_mov_b32 s0, 0
.LBB58_245:                             ; =>This Inner Loop Header: Depth=1
	scratch_load_b64 v[142:143], v140, off
	v_dual_mov_b32 v144, s5 :: v_dual_add_nc_u32 v141, -1, v141
	v_add_nc_u32_e32 v140, 8, v140
	s_add_i32 s5, s5, 8
	ds_load_b64 v[144:145], v144
	v_cmp_eq_u32_e32 vcc_lo, 0, v141
	s_or_b32 s0, vcc_lo, s0
	s_waitcnt vmcnt(0) lgkmcnt(0)
	v_fma_f64 v[119:120], v[142:143], v[144:145], v[119:120]
	s_and_not1_b32 exec_lo, exec_lo, s0
	s_cbranch_execnz .LBB58_245
; %bb.246:
	s_or_b32 exec_lo, exec_lo, s0
.LBB58_247:
	s_delay_alu instid0(SALU_CYCLE_1)
	s_or_b32 exec_lo, exec_lo, s4
	v_mov_b32_e32 v140, 0
	ds_load_b64 v[140:141], v140 offset:264
	s_waitcnt lgkmcnt(0)
	v_mul_f64 v[119:120], v[119:120], v[140:141]
	scratch_store_b64 off, v[119:120], off offset:264
.LBB58_248:
	s_or_b32 exec_lo, exec_lo, s2
	scratch_load_b64 v[119:120], off, off offset:256
	v_cmp_lt_u32_e64 s0, 32, v0
	s_waitcnt vmcnt(0)
	ds_store_b64 v122, v[119:120]
	s_waitcnt lgkmcnt(0)
	s_waitcnt_vscnt null, 0x0
	s_barrier
	buffer_gl0_inv
	s_and_saveexec_b32 s2, s0
	s_cbranch_execz .LBB58_258
; %bb.249:
	s_and_not1_b32 vcc_lo, exec_lo, s3
	s_cbranch_vccnz .LBB58_251
; %bb.250:
	scratch_load_b64 v[119:120], v123, off
	ds_load_b64 v[140:141], v122
	s_waitcnt vmcnt(0) lgkmcnt(0)
	v_mul_f64 v[119:120], v[119:120], v[140:141]
	s_cbranch_execz .LBB58_252
	s_branch .LBB58_253
.LBB58_251:
                                        ; implicit-def: $vgpr119_vgpr120
.LBB58_252:
	ds_load_b64 v[119:120], v122
.LBB58_253:
	s_and_saveexec_b32 s4, s1
	s_cbranch_execz .LBB58_257
; %bb.254:
	v_mov_b32_e32 v140, 0
	v_subrev_nc_u32_e32 v141, 33, v0
	s_movk_i32 s5, 0x2e8
	s_mov_b32 s1, 0
	s_delay_alu instid0(VALU_DEP_2)
	v_add_nc_u32_e32 v140, 0x108, v140
.LBB58_255:                             ; =>This Inner Loop Header: Depth=1
	scratch_load_b64 v[142:143], v140, off
	v_dual_mov_b32 v144, s5 :: v_dual_add_nc_u32 v141, -1, v141
	v_add_nc_u32_e32 v140, 8, v140
	s_add_i32 s5, s5, 8
	ds_load_b64 v[144:145], v144
	v_cmp_eq_u32_e32 vcc_lo, 0, v141
	s_or_b32 s1, vcc_lo, s1
	s_waitcnt vmcnt(0) lgkmcnt(0)
	v_fma_f64 v[119:120], v[142:143], v[144:145], v[119:120]
	s_and_not1_b32 exec_lo, exec_lo, s1
	s_cbranch_execnz .LBB58_255
; %bb.256:
	s_or_b32 exec_lo, exec_lo, s1
.LBB58_257:
	s_delay_alu instid0(SALU_CYCLE_1)
	s_or_b32 exec_lo, exec_lo, s4
	v_mov_b32_e32 v140, 0
	ds_load_b64 v[140:141], v140 offset:256
	s_waitcnt lgkmcnt(0)
	v_mul_f64 v[119:120], v[119:120], v[140:141]
	scratch_store_b64 off, v[119:120], off offset:256
.LBB58_258:
	s_or_b32 exec_lo, exec_lo, s2
	scratch_load_b64 v[119:120], off, off offset:248
	v_cmp_lt_u32_e64 s1, 31, v0
	s_waitcnt vmcnt(0)
	ds_store_b64 v122, v[119:120]
	s_waitcnt lgkmcnt(0)
	s_waitcnt_vscnt null, 0x0
	s_barrier
	buffer_gl0_inv
	s_and_saveexec_b32 s2, s1
	s_cbranch_execz .LBB58_268
; %bb.259:
	s_and_not1_b32 vcc_lo, exec_lo, s3
	s_cbranch_vccnz .LBB58_261
; %bb.260:
	scratch_load_b64 v[119:120], v123, off
	ds_load_b64 v[140:141], v122
	s_waitcnt vmcnt(0) lgkmcnt(0)
	v_mul_f64 v[119:120], v[119:120], v[140:141]
	s_cbranch_execz .LBB58_262
	s_branch .LBB58_263
.LBB58_261:
                                        ; implicit-def: $vgpr119_vgpr120
.LBB58_262:
	ds_load_b64 v[119:120], v122
.LBB58_263:
	s_and_saveexec_b32 s4, s0
	s_cbranch_execz .LBB58_267
; %bb.264:
	v_subrev_nc_u32_e32 v140, 32, v0
	s_movk_i32 s5, 0x2e0
	s_mov_b32 s0, 0
.LBB58_265:                             ; =>This Inner Loop Header: Depth=1
	scratch_load_b64 v[141:142], v139, off
	v_dual_mov_b32 v143, s5 :: v_dual_add_nc_u32 v140, -1, v140
	v_add_nc_u32_e32 v139, 8, v139
	s_add_i32 s5, s5, 8
	ds_load_b64 v[143:144], v143
	v_cmp_eq_u32_e32 vcc_lo, 0, v140
	s_or_b32 s0, vcc_lo, s0
	s_waitcnt vmcnt(0) lgkmcnt(0)
	v_fma_f64 v[119:120], v[141:142], v[143:144], v[119:120]
	s_and_not1_b32 exec_lo, exec_lo, s0
	s_cbranch_execnz .LBB58_265
; %bb.266:
	s_or_b32 exec_lo, exec_lo, s0
.LBB58_267:
	s_delay_alu instid0(SALU_CYCLE_1)
	s_or_b32 exec_lo, exec_lo, s4
	v_mov_b32_e32 v139, 0
	ds_load_b64 v[139:140], v139 offset:248
	s_waitcnt lgkmcnt(0)
	v_mul_f64 v[119:120], v[119:120], v[139:140]
	scratch_store_b64 off, v[119:120], off offset:248
.LBB58_268:
	s_or_b32 exec_lo, exec_lo, s2
	scratch_load_b64 v[119:120], off, off offset:240
	v_cmp_lt_u32_e64 s0, 30, v0
	s_waitcnt vmcnt(0)
	ds_store_b64 v122, v[119:120]
	s_waitcnt lgkmcnt(0)
	s_waitcnt_vscnt null, 0x0
	s_barrier
	buffer_gl0_inv
	s_and_saveexec_b32 s2, s0
	s_cbranch_execz .LBB58_278
; %bb.269:
	s_and_not1_b32 vcc_lo, exec_lo, s3
	s_cbranch_vccnz .LBB58_271
; %bb.270:
	scratch_load_b64 v[119:120], v123, off
	ds_load_b64 v[139:140], v122
	s_waitcnt vmcnt(0) lgkmcnt(0)
	v_mul_f64 v[119:120], v[119:120], v[139:140]
	s_cbranch_execz .LBB58_272
	s_branch .LBB58_273
.LBB58_271:
                                        ; implicit-def: $vgpr119_vgpr120
.LBB58_272:
	ds_load_b64 v[119:120], v122
.LBB58_273:
	s_and_saveexec_b32 s4, s1
	s_cbranch_execz .LBB58_277
; %bb.274:
	v_mov_b32_e32 v139, 0
	v_subrev_nc_u32_e32 v140, 31, v0
	s_movk_i32 s5, 0x2d8
	s_mov_b32 s1, 0
	s_delay_alu instid0(VALU_DEP_2)
	v_add_nc_u32_e32 v139, 0xf8, v139
.LBB58_275:                             ; =>This Inner Loop Header: Depth=1
	scratch_load_b64 v[141:142], v139, off
	v_dual_mov_b32 v143, s5 :: v_dual_add_nc_u32 v140, -1, v140
	v_add_nc_u32_e32 v139, 8, v139
	s_add_i32 s5, s5, 8
	ds_load_b64 v[143:144], v143
	v_cmp_eq_u32_e32 vcc_lo, 0, v140
	s_or_b32 s1, vcc_lo, s1
	s_waitcnt vmcnt(0) lgkmcnt(0)
	v_fma_f64 v[119:120], v[141:142], v[143:144], v[119:120]
	s_and_not1_b32 exec_lo, exec_lo, s1
	s_cbranch_execnz .LBB58_275
; %bb.276:
	s_or_b32 exec_lo, exec_lo, s1
.LBB58_277:
	s_delay_alu instid0(SALU_CYCLE_1)
	s_or_b32 exec_lo, exec_lo, s4
	v_mov_b32_e32 v139, 0
	ds_load_b64 v[139:140], v139 offset:240
	s_waitcnt lgkmcnt(0)
	v_mul_f64 v[119:120], v[119:120], v[139:140]
	scratch_store_b64 off, v[119:120], off offset:240
.LBB58_278:
	s_or_b32 exec_lo, exec_lo, s2
	scratch_load_b64 v[119:120], off, off offset:232
	v_cmp_lt_u32_e64 s1, 29, v0
	s_waitcnt vmcnt(0)
	ds_store_b64 v122, v[119:120]
	s_waitcnt lgkmcnt(0)
	s_waitcnt_vscnt null, 0x0
	s_barrier
	buffer_gl0_inv
	s_and_saveexec_b32 s2, s1
	s_cbranch_execz .LBB58_288
; %bb.279:
	s_and_not1_b32 vcc_lo, exec_lo, s3
	s_cbranch_vccnz .LBB58_281
; %bb.280:
	scratch_load_b64 v[119:120], v123, off
	ds_load_b64 v[139:140], v122
	s_waitcnt vmcnt(0) lgkmcnt(0)
	v_mul_f64 v[119:120], v[119:120], v[139:140]
	s_cbranch_execz .LBB58_282
	s_branch .LBB58_283
.LBB58_281:
                                        ; implicit-def: $vgpr119_vgpr120
.LBB58_282:
	ds_load_b64 v[119:120], v122
.LBB58_283:
	s_and_saveexec_b32 s4, s0
	s_cbranch_execz .LBB58_287
; %bb.284:
	v_subrev_nc_u32_e32 v139, 30, v0
	s_movk_i32 s5, 0x2d0
	s_mov_b32 s0, 0
.LBB58_285:                             ; =>This Inner Loop Header: Depth=1
	scratch_load_b64 v[140:141], v138, off
	v_dual_mov_b32 v142, s5 :: v_dual_add_nc_u32 v139, -1, v139
	v_add_nc_u32_e32 v138, 8, v138
	s_add_i32 s5, s5, 8
	ds_load_b64 v[142:143], v142
	v_cmp_eq_u32_e32 vcc_lo, 0, v139
	s_or_b32 s0, vcc_lo, s0
	s_waitcnt vmcnt(0) lgkmcnt(0)
	v_fma_f64 v[119:120], v[140:141], v[142:143], v[119:120]
	s_and_not1_b32 exec_lo, exec_lo, s0
	s_cbranch_execnz .LBB58_285
; %bb.286:
	s_or_b32 exec_lo, exec_lo, s0
.LBB58_287:
	s_delay_alu instid0(SALU_CYCLE_1)
	s_or_b32 exec_lo, exec_lo, s4
	v_mov_b32_e32 v138, 0
	ds_load_b64 v[138:139], v138 offset:232
	s_waitcnt lgkmcnt(0)
	v_mul_f64 v[119:120], v[119:120], v[138:139]
	scratch_store_b64 off, v[119:120], off offset:232
.LBB58_288:
	s_or_b32 exec_lo, exec_lo, s2
	scratch_load_b64 v[119:120], off, off offset:224
	v_cmp_lt_u32_e64 s0, 28, v0
	s_waitcnt vmcnt(0)
	ds_store_b64 v122, v[119:120]
	s_waitcnt lgkmcnt(0)
	s_waitcnt_vscnt null, 0x0
	s_barrier
	buffer_gl0_inv
	s_and_saveexec_b32 s2, s0
	s_cbranch_execz .LBB58_298
; %bb.289:
	s_and_not1_b32 vcc_lo, exec_lo, s3
	s_cbranch_vccnz .LBB58_291
; %bb.290:
	scratch_load_b64 v[119:120], v123, off
	ds_load_b64 v[138:139], v122
	s_waitcnt vmcnt(0) lgkmcnt(0)
	v_mul_f64 v[119:120], v[119:120], v[138:139]
	s_cbranch_execz .LBB58_292
	s_branch .LBB58_293
.LBB58_291:
                                        ; implicit-def: $vgpr119_vgpr120
.LBB58_292:
	ds_load_b64 v[119:120], v122
.LBB58_293:
	s_and_saveexec_b32 s4, s1
	s_cbranch_execz .LBB58_297
; %bb.294:
	v_mov_b32_e32 v138, 0
	v_subrev_nc_u32_e32 v139, 29, v0
	s_movk_i32 s5, 0x2c8
	s_mov_b32 s1, 0
	s_delay_alu instid0(VALU_DEP_2)
	v_add_nc_u32_e32 v138, 0xe8, v138
.LBB58_295:                             ; =>This Inner Loop Header: Depth=1
	scratch_load_b64 v[140:141], v138, off
	v_dual_mov_b32 v142, s5 :: v_dual_add_nc_u32 v139, -1, v139
	v_add_nc_u32_e32 v138, 8, v138
	s_add_i32 s5, s5, 8
	ds_load_b64 v[142:143], v142
	v_cmp_eq_u32_e32 vcc_lo, 0, v139
	s_or_b32 s1, vcc_lo, s1
	s_waitcnt vmcnt(0) lgkmcnt(0)
	v_fma_f64 v[119:120], v[140:141], v[142:143], v[119:120]
	s_and_not1_b32 exec_lo, exec_lo, s1
	s_cbranch_execnz .LBB58_295
; %bb.296:
	s_or_b32 exec_lo, exec_lo, s1
.LBB58_297:
	s_delay_alu instid0(SALU_CYCLE_1)
	s_or_b32 exec_lo, exec_lo, s4
	v_mov_b32_e32 v138, 0
	ds_load_b64 v[138:139], v138 offset:224
	s_waitcnt lgkmcnt(0)
	v_mul_f64 v[119:120], v[119:120], v[138:139]
	scratch_store_b64 off, v[119:120], off offset:224
.LBB58_298:
	s_or_b32 exec_lo, exec_lo, s2
	scratch_load_b64 v[119:120], off, off offset:216
	v_cmp_lt_u32_e64 s1, 27, v0
	s_waitcnt vmcnt(0)
	ds_store_b64 v122, v[119:120]
	s_waitcnt lgkmcnt(0)
	s_waitcnt_vscnt null, 0x0
	s_barrier
	buffer_gl0_inv
	s_and_saveexec_b32 s2, s1
	s_cbranch_execz .LBB58_308
; %bb.299:
	s_and_not1_b32 vcc_lo, exec_lo, s3
	s_cbranch_vccnz .LBB58_301
; %bb.300:
	scratch_load_b64 v[119:120], v123, off
	ds_load_b64 v[138:139], v122
	s_waitcnt vmcnt(0) lgkmcnt(0)
	v_mul_f64 v[119:120], v[119:120], v[138:139]
	s_cbranch_execz .LBB58_302
	s_branch .LBB58_303
.LBB58_301:
                                        ; implicit-def: $vgpr119_vgpr120
.LBB58_302:
	ds_load_b64 v[119:120], v122
.LBB58_303:
	s_and_saveexec_b32 s4, s0
	s_cbranch_execz .LBB58_307
; %bb.304:
	v_subrev_nc_u32_e32 v138, 28, v0
	s_movk_i32 s5, 0x2c0
	s_mov_b32 s0, 0
.LBB58_305:                             ; =>This Inner Loop Header: Depth=1
	scratch_load_b64 v[139:140], v137, off
	v_dual_mov_b32 v141, s5 :: v_dual_add_nc_u32 v138, -1, v138
	v_add_nc_u32_e32 v137, 8, v137
	s_add_i32 s5, s5, 8
	ds_load_b64 v[141:142], v141
	v_cmp_eq_u32_e32 vcc_lo, 0, v138
	s_or_b32 s0, vcc_lo, s0
	s_waitcnt vmcnt(0) lgkmcnt(0)
	v_fma_f64 v[119:120], v[139:140], v[141:142], v[119:120]
	s_and_not1_b32 exec_lo, exec_lo, s0
	s_cbranch_execnz .LBB58_305
; %bb.306:
	s_or_b32 exec_lo, exec_lo, s0
.LBB58_307:
	s_delay_alu instid0(SALU_CYCLE_1)
	s_or_b32 exec_lo, exec_lo, s4
	v_mov_b32_e32 v137, 0
	ds_load_b64 v[137:138], v137 offset:216
	s_waitcnt lgkmcnt(0)
	v_mul_f64 v[119:120], v[119:120], v[137:138]
	scratch_store_b64 off, v[119:120], off offset:216
.LBB58_308:
	s_or_b32 exec_lo, exec_lo, s2
	scratch_load_b64 v[119:120], off, off offset:208
	v_cmp_lt_u32_e64 s0, 26, v0
	s_waitcnt vmcnt(0)
	ds_store_b64 v122, v[119:120]
	s_waitcnt lgkmcnt(0)
	s_waitcnt_vscnt null, 0x0
	s_barrier
	buffer_gl0_inv
	s_and_saveexec_b32 s2, s0
	s_cbranch_execz .LBB58_318
; %bb.309:
	s_and_not1_b32 vcc_lo, exec_lo, s3
	s_cbranch_vccnz .LBB58_311
; %bb.310:
	scratch_load_b64 v[119:120], v123, off
	ds_load_b64 v[137:138], v122
	s_waitcnt vmcnt(0) lgkmcnt(0)
	v_mul_f64 v[119:120], v[119:120], v[137:138]
	s_cbranch_execz .LBB58_312
	s_branch .LBB58_313
.LBB58_311:
                                        ; implicit-def: $vgpr119_vgpr120
.LBB58_312:
	ds_load_b64 v[119:120], v122
.LBB58_313:
	s_and_saveexec_b32 s4, s1
	s_cbranch_execz .LBB58_317
; %bb.314:
	v_mov_b32_e32 v137, 0
	v_subrev_nc_u32_e32 v138, 27, v0
	s_movk_i32 s5, 0x2b8
	s_mov_b32 s1, 0
	s_delay_alu instid0(VALU_DEP_2)
	v_add_nc_u32_e32 v137, 0xd8, v137
.LBB58_315:                             ; =>This Inner Loop Header: Depth=1
	scratch_load_b64 v[139:140], v137, off
	v_dual_mov_b32 v141, s5 :: v_dual_add_nc_u32 v138, -1, v138
	v_add_nc_u32_e32 v137, 8, v137
	s_add_i32 s5, s5, 8
	ds_load_b64 v[141:142], v141
	v_cmp_eq_u32_e32 vcc_lo, 0, v138
	s_or_b32 s1, vcc_lo, s1
	s_waitcnt vmcnt(0) lgkmcnt(0)
	v_fma_f64 v[119:120], v[139:140], v[141:142], v[119:120]
	s_and_not1_b32 exec_lo, exec_lo, s1
	s_cbranch_execnz .LBB58_315
; %bb.316:
	s_or_b32 exec_lo, exec_lo, s1
.LBB58_317:
	s_delay_alu instid0(SALU_CYCLE_1)
	s_or_b32 exec_lo, exec_lo, s4
	v_mov_b32_e32 v137, 0
	ds_load_b64 v[137:138], v137 offset:208
	s_waitcnt lgkmcnt(0)
	v_mul_f64 v[119:120], v[119:120], v[137:138]
	scratch_store_b64 off, v[119:120], off offset:208
.LBB58_318:
	s_or_b32 exec_lo, exec_lo, s2
	scratch_load_b64 v[119:120], off, off offset:200
	v_cmp_lt_u32_e64 s1, 25, v0
	s_waitcnt vmcnt(0)
	ds_store_b64 v122, v[119:120]
	s_waitcnt lgkmcnt(0)
	s_waitcnt_vscnt null, 0x0
	s_barrier
	buffer_gl0_inv
	s_and_saveexec_b32 s2, s1
	s_cbranch_execz .LBB58_328
; %bb.319:
	s_and_not1_b32 vcc_lo, exec_lo, s3
	s_cbranch_vccnz .LBB58_321
; %bb.320:
	scratch_load_b64 v[119:120], v123, off
	ds_load_b64 v[137:138], v122
	s_waitcnt vmcnt(0) lgkmcnt(0)
	v_mul_f64 v[119:120], v[119:120], v[137:138]
	s_cbranch_execz .LBB58_322
	s_branch .LBB58_323
.LBB58_321:
                                        ; implicit-def: $vgpr119_vgpr120
.LBB58_322:
	ds_load_b64 v[119:120], v122
.LBB58_323:
	s_and_saveexec_b32 s4, s0
	s_cbranch_execz .LBB58_327
; %bb.324:
	v_subrev_nc_u32_e32 v137, 26, v0
	s_movk_i32 s5, 0x2b0
	s_mov_b32 s0, 0
.LBB58_325:                             ; =>This Inner Loop Header: Depth=1
	scratch_load_b64 v[138:139], v136, off
	v_dual_mov_b32 v140, s5 :: v_dual_add_nc_u32 v137, -1, v137
	v_add_nc_u32_e32 v136, 8, v136
	s_add_i32 s5, s5, 8
	ds_load_b64 v[140:141], v140
	v_cmp_eq_u32_e32 vcc_lo, 0, v137
	s_or_b32 s0, vcc_lo, s0
	s_waitcnt vmcnt(0) lgkmcnt(0)
	v_fma_f64 v[119:120], v[138:139], v[140:141], v[119:120]
	s_and_not1_b32 exec_lo, exec_lo, s0
	s_cbranch_execnz .LBB58_325
; %bb.326:
	s_or_b32 exec_lo, exec_lo, s0
.LBB58_327:
	s_delay_alu instid0(SALU_CYCLE_1)
	s_or_b32 exec_lo, exec_lo, s4
	v_mov_b32_e32 v136, 0
	ds_load_b64 v[136:137], v136 offset:200
	s_waitcnt lgkmcnt(0)
	v_mul_f64 v[119:120], v[119:120], v[136:137]
	scratch_store_b64 off, v[119:120], off offset:200
.LBB58_328:
	s_or_b32 exec_lo, exec_lo, s2
	scratch_load_b64 v[119:120], off, off offset:192
	v_cmp_lt_u32_e64 s0, 24, v0
	s_waitcnt vmcnt(0)
	ds_store_b64 v122, v[119:120]
	s_waitcnt lgkmcnt(0)
	s_waitcnt_vscnt null, 0x0
	s_barrier
	buffer_gl0_inv
	s_and_saveexec_b32 s2, s0
	s_cbranch_execz .LBB58_338
; %bb.329:
	s_and_not1_b32 vcc_lo, exec_lo, s3
	s_cbranch_vccnz .LBB58_331
; %bb.330:
	scratch_load_b64 v[119:120], v123, off
	ds_load_b64 v[136:137], v122
	s_waitcnt vmcnt(0) lgkmcnt(0)
	v_mul_f64 v[119:120], v[119:120], v[136:137]
	s_cbranch_execz .LBB58_332
	s_branch .LBB58_333
.LBB58_331:
                                        ; implicit-def: $vgpr119_vgpr120
.LBB58_332:
	ds_load_b64 v[119:120], v122
.LBB58_333:
	s_and_saveexec_b32 s4, s1
	s_cbranch_execz .LBB58_337
; %bb.334:
	v_mov_b32_e32 v136, 0
	v_subrev_nc_u32_e32 v137, 25, v0
	s_movk_i32 s5, 0x2a8
	s_mov_b32 s1, 0
	s_delay_alu instid0(VALU_DEP_2)
	v_add_nc_u32_e32 v136, 0xc8, v136
.LBB58_335:                             ; =>This Inner Loop Header: Depth=1
	scratch_load_b64 v[138:139], v136, off
	v_dual_mov_b32 v140, s5 :: v_dual_add_nc_u32 v137, -1, v137
	v_add_nc_u32_e32 v136, 8, v136
	s_add_i32 s5, s5, 8
	ds_load_b64 v[140:141], v140
	v_cmp_eq_u32_e32 vcc_lo, 0, v137
	s_or_b32 s1, vcc_lo, s1
	s_waitcnt vmcnt(0) lgkmcnt(0)
	v_fma_f64 v[119:120], v[138:139], v[140:141], v[119:120]
	s_and_not1_b32 exec_lo, exec_lo, s1
	s_cbranch_execnz .LBB58_335
; %bb.336:
	s_or_b32 exec_lo, exec_lo, s1
.LBB58_337:
	s_delay_alu instid0(SALU_CYCLE_1)
	s_or_b32 exec_lo, exec_lo, s4
	v_mov_b32_e32 v136, 0
	ds_load_b64 v[136:137], v136 offset:192
	s_waitcnt lgkmcnt(0)
	v_mul_f64 v[119:120], v[119:120], v[136:137]
	scratch_store_b64 off, v[119:120], off offset:192
.LBB58_338:
	s_or_b32 exec_lo, exec_lo, s2
	scratch_load_b64 v[119:120], off, off offset:184
	v_cmp_lt_u32_e64 s1, 23, v0
	s_waitcnt vmcnt(0)
	ds_store_b64 v122, v[119:120]
	s_waitcnt lgkmcnt(0)
	s_waitcnt_vscnt null, 0x0
	s_barrier
	buffer_gl0_inv
	s_and_saveexec_b32 s2, s1
	s_cbranch_execz .LBB58_348
; %bb.339:
	s_and_not1_b32 vcc_lo, exec_lo, s3
	s_cbranch_vccnz .LBB58_341
; %bb.340:
	scratch_load_b64 v[119:120], v123, off
	ds_load_b64 v[136:137], v122
	s_waitcnt vmcnt(0) lgkmcnt(0)
	v_mul_f64 v[119:120], v[119:120], v[136:137]
	s_cbranch_execz .LBB58_342
	s_branch .LBB58_343
.LBB58_341:
                                        ; implicit-def: $vgpr119_vgpr120
.LBB58_342:
	ds_load_b64 v[119:120], v122
.LBB58_343:
	s_and_saveexec_b32 s4, s0
	s_cbranch_execz .LBB58_347
; %bb.344:
	v_subrev_nc_u32_e32 v136, 24, v0
	s_movk_i32 s5, 0x2a0
	s_mov_b32 s0, 0
.LBB58_345:                             ; =>This Inner Loop Header: Depth=1
	scratch_load_b64 v[137:138], v135, off
	v_dual_mov_b32 v139, s5 :: v_dual_add_nc_u32 v136, -1, v136
	v_add_nc_u32_e32 v135, 8, v135
	s_add_i32 s5, s5, 8
	ds_load_b64 v[139:140], v139
	v_cmp_eq_u32_e32 vcc_lo, 0, v136
	s_or_b32 s0, vcc_lo, s0
	s_waitcnt vmcnt(0) lgkmcnt(0)
	v_fma_f64 v[119:120], v[137:138], v[139:140], v[119:120]
	s_and_not1_b32 exec_lo, exec_lo, s0
	s_cbranch_execnz .LBB58_345
; %bb.346:
	s_or_b32 exec_lo, exec_lo, s0
.LBB58_347:
	s_delay_alu instid0(SALU_CYCLE_1)
	s_or_b32 exec_lo, exec_lo, s4
	v_mov_b32_e32 v135, 0
	ds_load_b64 v[135:136], v135 offset:184
	s_waitcnt lgkmcnt(0)
	v_mul_f64 v[119:120], v[119:120], v[135:136]
	scratch_store_b64 off, v[119:120], off offset:184
.LBB58_348:
	s_or_b32 exec_lo, exec_lo, s2
	scratch_load_b64 v[119:120], off, off offset:176
	v_cmp_lt_u32_e64 s0, 22, v0
	s_waitcnt vmcnt(0)
	ds_store_b64 v122, v[119:120]
	s_waitcnt lgkmcnt(0)
	s_waitcnt_vscnt null, 0x0
	s_barrier
	buffer_gl0_inv
	s_and_saveexec_b32 s2, s0
	s_cbranch_execz .LBB58_358
; %bb.349:
	s_and_not1_b32 vcc_lo, exec_lo, s3
	s_cbranch_vccnz .LBB58_351
; %bb.350:
	scratch_load_b64 v[119:120], v123, off
	ds_load_b64 v[135:136], v122
	s_waitcnt vmcnt(0) lgkmcnt(0)
	v_mul_f64 v[119:120], v[119:120], v[135:136]
	s_cbranch_execz .LBB58_352
	s_branch .LBB58_353
.LBB58_351:
                                        ; implicit-def: $vgpr119_vgpr120
.LBB58_352:
	ds_load_b64 v[119:120], v122
.LBB58_353:
	s_and_saveexec_b32 s4, s1
	s_cbranch_execz .LBB58_357
; %bb.354:
	v_mov_b32_e32 v135, 0
	v_subrev_nc_u32_e32 v136, 23, v0
	s_movk_i32 s5, 0x298
	s_mov_b32 s1, 0
	s_delay_alu instid0(VALU_DEP_2)
	v_add_nc_u32_e32 v135, 0xb8, v135
.LBB58_355:                             ; =>This Inner Loop Header: Depth=1
	scratch_load_b64 v[137:138], v135, off
	v_dual_mov_b32 v139, s5 :: v_dual_add_nc_u32 v136, -1, v136
	v_add_nc_u32_e32 v135, 8, v135
	s_add_i32 s5, s5, 8
	ds_load_b64 v[139:140], v139
	v_cmp_eq_u32_e32 vcc_lo, 0, v136
	s_or_b32 s1, vcc_lo, s1
	s_waitcnt vmcnt(0) lgkmcnt(0)
	v_fma_f64 v[119:120], v[137:138], v[139:140], v[119:120]
	s_and_not1_b32 exec_lo, exec_lo, s1
	s_cbranch_execnz .LBB58_355
; %bb.356:
	s_or_b32 exec_lo, exec_lo, s1
.LBB58_357:
	s_delay_alu instid0(SALU_CYCLE_1)
	s_or_b32 exec_lo, exec_lo, s4
	v_mov_b32_e32 v135, 0
	ds_load_b64 v[135:136], v135 offset:176
	s_waitcnt lgkmcnt(0)
	v_mul_f64 v[119:120], v[119:120], v[135:136]
	scratch_store_b64 off, v[119:120], off offset:176
.LBB58_358:
	s_or_b32 exec_lo, exec_lo, s2
	scratch_load_b64 v[119:120], off, off offset:168
	v_cmp_lt_u32_e64 s1, 21, v0
	s_waitcnt vmcnt(0)
	ds_store_b64 v122, v[119:120]
	s_waitcnt lgkmcnt(0)
	s_waitcnt_vscnt null, 0x0
	s_barrier
	buffer_gl0_inv
	s_and_saveexec_b32 s2, s1
	s_cbranch_execz .LBB58_368
; %bb.359:
	s_and_not1_b32 vcc_lo, exec_lo, s3
	s_cbranch_vccnz .LBB58_361
; %bb.360:
	scratch_load_b64 v[119:120], v123, off
	ds_load_b64 v[135:136], v122
	s_waitcnt vmcnt(0) lgkmcnt(0)
	v_mul_f64 v[119:120], v[119:120], v[135:136]
	s_cbranch_execz .LBB58_362
	s_branch .LBB58_363
.LBB58_361:
                                        ; implicit-def: $vgpr119_vgpr120
.LBB58_362:
	ds_load_b64 v[119:120], v122
.LBB58_363:
	s_and_saveexec_b32 s4, s0
	s_cbranch_execz .LBB58_367
; %bb.364:
	v_subrev_nc_u32_e32 v135, 22, v0
	s_movk_i32 s5, 0x290
	s_mov_b32 s0, 0
.LBB58_365:                             ; =>This Inner Loop Header: Depth=1
	scratch_load_b64 v[136:137], v134, off
	v_dual_mov_b32 v138, s5 :: v_dual_add_nc_u32 v135, -1, v135
	v_add_nc_u32_e32 v134, 8, v134
	s_add_i32 s5, s5, 8
	ds_load_b64 v[138:139], v138
	v_cmp_eq_u32_e32 vcc_lo, 0, v135
	s_or_b32 s0, vcc_lo, s0
	s_waitcnt vmcnt(0) lgkmcnt(0)
	v_fma_f64 v[119:120], v[136:137], v[138:139], v[119:120]
	s_and_not1_b32 exec_lo, exec_lo, s0
	s_cbranch_execnz .LBB58_365
; %bb.366:
	s_or_b32 exec_lo, exec_lo, s0
.LBB58_367:
	s_delay_alu instid0(SALU_CYCLE_1)
	s_or_b32 exec_lo, exec_lo, s4
	v_mov_b32_e32 v134, 0
	ds_load_b64 v[134:135], v134 offset:168
	s_waitcnt lgkmcnt(0)
	v_mul_f64 v[119:120], v[119:120], v[134:135]
	scratch_store_b64 off, v[119:120], off offset:168
.LBB58_368:
	s_or_b32 exec_lo, exec_lo, s2
	scratch_load_b64 v[119:120], off, off offset:160
	v_cmp_lt_u32_e64 s0, 20, v0
	s_waitcnt vmcnt(0)
	ds_store_b64 v122, v[119:120]
	s_waitcnt lgkmcnt(0)
	s_waitcnt_vscnt null, 0x0
	s_barrier
	buffer_gl0_inv
	s_and_saveexec_b32 s2, s0
	s_cbranch_execz .LBB58_378
; %bb.369:
	s_and_not1_b32 vcc_lo, exec_lo, s3
	s_cbranch_vccnz .LBB58_371
; %bb.370:
	scratch_load_b64 v[119:120], v123, off
	ds_load_b64 v[134:135], v122
	s_waitcnt vmcnt(0) lgkmcnt(0)
	v_mul_f64 v[119:120], v[119:120], v[134:135]
	s_cbranch_execz .LBB58_372
	s_branch .LBB58_373
.LBB58_371:
                                        ; implicit-def: $vgpr119_vgpr120
.LBB58_372:
	ds_load_b64 v[119:120], v122
.LBB58_373:
	s_and_saveexec_b32 s4, s1
	s_cbranch_execz .LBB58_377
; %bb.374:
	v_mov_b32_e32 v134, 0
	v_subrev_nc_u32_e32 v135, 21, v0
	s_movk_i32 s5, 0x288
	s_mov_b32 s1, 0
	s_delay_alu instid0(VALU_DEP_2)
	v_add_nc_u32_e32 v134, 0xa8, v134
.LBB58_375:                             ; =>This Inner Loop Header: Depth=1
	scratch_load_b64 v[136:137], v134, off
	v_dual_mov_b32 v138, s5 :: v_dual_add_nc_u32 v135, -1, v135
	v_add_nc_u32_e32 v134, 8, v134
	s_add_i32 s5, s5, 8
	ds_load_b64 v[138:139], v138
	v_cmp_eq_u32_e32 vcc_lo, 0, v135
	s_or_b32 s1, vcc_lo, s1
	s_waitcnt vmcnt(0) lgkmcnt(0)
	v_fma_f64 v[119:120], v[136:137], v[138:139], v[119:120]
	s_and_not1_b32 exec_lo, exec_lo, s1
	s_cbranch_execnz .LBB58_375
; %bb.376:
	s_or_b32 exec_lo, exec_lo, s1
.LBB58_377:
	s_delay_alu instid0(SALU_CYCLE_1)
	s_or_b32 exec_lo, exec_lo, s4
	v_mov_b32_e32 v134, 0
	ds_load_b64 v[134:135], v134 offset:160
	s_waitcnt lgkmcnt(0)
	v_mul_f64 v[119:120], v[119:120], v[134:135]
	scratch_store_b64 off, v[119:120], off offset:160
.LBB58_378:
	s_or_b32 exec_lo, exec_lo, s2
	scratch_load_b64 v[119:120], off, off offset:152
	v_cmp_lt_u32_e64 s1, 19, v0
	s_waitcnt vmcnt(0)
	ds_store_b64 v122, v[119:120]
	s_waitcnt lgkmcnt(0)
	s_waitcnt_vscnt null, 0x0
	s_barrier
	buffer_gl0_inv
	s_and_saveexec_b32 s2, s1
	s_cbranch_execz .LBB58_388
; %bb.379:
	s_and_not1_b32 vcc_lo, exec_lo, s3
	s_cbranch_vccnz .LBB58_381
; %bb.380:
	scratch_load_b64 v[119:120], v123, off
	ds_load_b64 v[134:135], v122
	s_waitcnt vmcnt(0) lgkmcnt(0)
	v_mul_f64 v[119:120], v[119:120], v[134:135]
	s_cbranch_execz .LBB58_382
	s_branch .LBB58_383
.LBB58_381:
                                        ; implicit-def: $vgpr119_vgpr120
.LBB58_382:
	ds_load_b64 v[119:120], v122
.LBB58_383:
	s_and_saveexec_b32 s4, s0
	s_cbranch_execz .LBB58_387
; %bb.384:
	v_subrev_nc_u32_e32 v134, 20, v0
	s_movk_i32 s5, 0x280
	s_mov_b32 s0, 0
.LBB58_385:                             ; =>This Inner Loop Header: Depth=1
	scratch_load_b64 v[135:136], v133, off
	v_dual_mov_b32 v137, s5 :: v_dual_add_nc_u32 v134, -1, v134
	v_add_nc_u32_e32 v133, 8, v133
	s_add_i32 s5, s5, 8
	ds_load_b64 v[137:138], v137
	v_cmp_eq_u32_e32 vcc_lo, 0, v134
	s_or_b32 s0, vcc_lo, s0
	s_waitcnt vmcnt(0) lgkmcnt(0)
	v_fma_f64 v[119:120], v[135:136], v[137:138], v[119:120]
	s_and_not1_b32 exec_lo, exec_lo, s0
	s_cbranch_execnz .LBB58_385
; %bb.386:
	s_or_b32 exec_lo, exec_lo, s0
.LBB58_387:
	s_delay_alu instid0(SALU_CYCLE_1)
	s_or_b32 exec_lo, exec_lo, s4
	v_mov_b32_e32 v133, 0
	ds_load_b64 v[133:134], v133 offset:152
	s_waitcnt lgkmcnt(0)
	v_mul_f64 v[119:120], v[119:120], v[133:134]
	scratch_store_b64 off, v[119:120], off offset:152
.LBB58_388:
	s_or_b32 exec_lo, exec_lo, s2
	scratch_load_b64 v[119:120], off, off offset:144
	v_cmp_lt_u32_e64 s0, 18, v0
	s_waitcnt vmcnt(0)
	ds_store_b64 v122, v[119:120]
	s_waitcnt lgkmcnt(0)
	s_waitcnt_vscnt null, 0x0
	s_barrier
	buffer_gl0_inv
	s_and_saveexec_b32 s2, s0
	s_cbranch_execz .LBB58_398
; %bb.389:
	s_and_not1_b32 vcc_lo, exec_lo, s3
	s_cbranch_vccnz .LBB58_391
; %bb.390:
	scratch_load_b64 v[119:120], v123, off
	ds_load_b64 v[133:134], v122
	s_waitcnt vmcnt(0) lgkmcnt(0)
	v_mul_f64 v[119:120], v[119:120], v[133:134]
	s_cbranch_execz .LBB58_392
	s_branch .LBB58_393
.LBB58_391:
                                        ; implicit-def: $vgpr119_vgpr120
.LBB58_392:
	ds_load_b64 v[119:120], v122
.LBB58_393:
	s_and_saveexec_b32 s4, s1
	s_cbranch_execz .LBB58_397
; %bb.394:
	v_mov_b32_e32 v133, 0
	v_subrev_nc_u32_e32 v134, 19, v0
	s_movk_i32 s5, 0x278
	s_mov_b32 s1, 0
	s_delay_alu instid0(VALU_DEP_2)
	v_add_nc_u32_e32 v133, 0x98, v133
.LBB58_395:                             ; =>This Inner Loop Header: Depth=1
	scratch_load_b64 v[135:136], v133, off
	v_dual_mov_b32 v137, s5 :: v_dual_add_nc_u32 v134, -1, v134
	v_add_nc_u32_e32 v133, 8, v133
	s_add_i32 s5, s5, 8
	ds_load_b64 v[137:138], v137
	v_cmp_eq_u32_e32 vcc_lo, 0, v134
	s_or_b32 s1, vcc_lo, s1
	s_waitcnt vmcnt(0) lgkmcnt(0)
	v_fma_f64 v[119:120], v[135:136], v[137:138], v[119:120]
	s_and_not1_b32 exec_lo, exec_lo, s1
	s_cbranch_execnz .LBB58_395
; %bb.396:
	s_or_b32 exec_lo, exec_lo, s1
.LBB58_397:
	s_delay_alu instid0(SALU_CYCLE_1)
	s_or_b32 exec_lo, exec_lo, s4
	v_mov_b32_e32 v133, 0
	ds_load_b64 v[133:134], v133 offset:144
	s_waitcnt lgkmcnt(0)
	v_mul_f64 v[119:120], v[119:120], v[133:134]
	scratch_store_b64 off, v[119:120], off offset:144
.LBB58_398:
	s_or_b32 exec_lo, exec_lo, s2
	scratch_load_b64 v[119:120], off, off offset:136
	v_cmp_lt_u32_e64 s1, 17, v0
	s_waitcnt vmcnt(0)
	ds_store_b64 v122, v[119:120]
	s_waitcnt lgkmcnt(0)
	s_waitcnt_vscnt null, 0x0
	s_barrier
	buffer_gl0_inv
	s_and_saveexec_b32 s2, s1
	s_cbranch_execz .LBB58_408
; %bb.399:
	s_and_not1_b32 vcc_lo, exec_lo, s3
	s_cbranch_vccnz .LBB58_401
; %bb.400:
	scratch_load_b64 v[119:120], v123, off
	ds_load_b64 v[133:134], v122
	s_waitcnt vmcnt(0) lgkmcnt(0)
	v_mul_f64 v[119:120], v[119:120], v[133:134]
	s_cbranch_execz .LBB58_402
	s_branch .LBB58_403
.LBB58_401:
                                        ; implicit-def: $vgpr119_vgpr120
.LBB58_402:
	ds_load_b64 v[119:120], v122
.LBB58_403:
	s_and_saveexec_b32 s4, s0
	s_cbranch_execz .LBB58_407
; %bb.404:
	v_subrev_nc_u32_e32 v133, 18, v0
	s_movk_i32 s5, 0x270
	s_mov_b32 s0, 0
.LBB58_405:                             ; =>This Inner Loop Header: Depth=1
	scratch_load_b64 v[134:135], v132, off
	v_dual_mov_b32 v136, s5 :: v_dual_add_nc_u32 v133, -1, v133
	v_add_nc_u32_e32 v132, 8, v132
	s_add_i32 s5, s5, 8
	ds_load_b64 v[136:137], v136
	v_cmp_eq_u32_e32 vcc_lo, 0, v133
	s_or_b32 s0, vcc_lo, s0
	s_waitcnt vmcnt(0) lgkmcnt(0)
	v_fma_f64 v[119:120], v[134:135], v[136:137], v[119:120]
	s_and_not1_b32 exec_lo, exec_lo, s0
	s_cbranch_execnz .LBB58_405
; %bb.406:
	s_or_b32 exec_lo, exec_lo, s0
.LBB58_407:
	s_delay_alu instid0(SALU_CYCLE_1)
	s_or_b32 exec_lo, exec_lo, s4
	v_mov_b32_e32 v132, 0
	ds_load_b64 v[132:133], v132 offset:136
	s_waitcnt lgkmcnt(0)
	v_mul_f64 v[119:120], v[119:120], v[132:133]
	scratch_store_b64 off, v[119:120], off offset:136
.LBB58_408:
	s_or_b32 exec_lo, exec_lo, s2
	scratch_load_b64 v[119:120], off, off offset:128
	v_cmp_lt_u32_e64 s0, 16, v0
	s_waitcnt vmcnt(0)
	ds_store_b64 v122, v[119:120]
	s_waitcnt lgkmcnt(0)
	s_waitcnt_vscnt null, 0x0
	s_barrier
	buffer_gl0_inv
	s_and_saveexec_b32 s2, s0
	s_cbranch_execz .LBB58_418
; %bb.409:
	s_and_not1_b32 vcc_lo, exec_lo, s3
	s_cbranch_vccnz .LBB58_411
; %bb.410:
	scratch_load_b64 v[119:120], v123, off
	ds_load_b64 v[132:133], v122
	s_waitcnt vmcnt(0) lgkmcnt(0)
	v_mul_f64 v[119:120], v[119:120], v[132:133]
	s_cbranch_execz .LBB58_412
	s_branch .LBB58_413
.LBB58_411:
                                        ; implicit-def: $vgpr119_vgpr120
.LBB58_412:
	ds_load_b64 v[119:120], v122
.LBB58_413:
	s_and_saveexec_b32 s4, s1
	s_cbranch_execz .LBB58_417
; %bb.414:
	v_mov_b32_e32 v132, 0
	v_subrev_nc_u32_e32 v133, 17, v0
	s_movk_i32 s5, 0x268
	s_mov_b32 s1, 0
	s_delay_alu instid0(VALU_DEP_2)
	v_add_nc_u32_e32 v132, 0x88, v132
.LBB58_415:                             ; =>This Inner Loop Header: Depth=1
	scratch_load_b64 v[134:135], v132, off
	v_dual_mov_b32 v136, s5 :: v_dual_add_nc_u32 v133, -1, v133
	v_add_nc_u32_e32 v132, 8, v132
	s_add_i32 s5, s5, 8
	ds_load_b64 v[136:137], v136
	v_cmp_eq_u32_e32 vcc_lo, 0, v133
	s_or_b32 s1, vcc_lo, s1
	s_waitcnt vmcnt(0) lgkmcnt(0)
	v_fma_f64 v[119:120], v[134:135], v[136:137], v[119:120]
	s_and_not1_b32 exec_lo, exec_lo, s1
	s_cbranch_execnz .LBB58_415
; %bb.416:
	s_or_b32 exec_lo, exec_lo, s1
.LBB58_417:
	s_delay_alu instid0(SALU_CYCLE_1)
	s_or_b32 exec_lo, exec_lo, s4
	v_mov_b32_e32 v132, 0
	ds_load_b64 v[132:133], v132 offset:128
	s_waitcnt lgkmcnt(0)
	v_mul_f64 v[119:120], v[119:120], v[132:133]
	scratch_store_b64 off, v[119:120], off offset:128
.LBB58_418:
	s_or_b32 exec_lo, exec_lo, s2
	scratch_load_b64 v[119:120], off, off offset:120
	v_cmp_lt_u32_e64 s1, 15, v0
	s_waitcnt vmcnt(0)
	ds_store_b64 v122, v[119:120]
	s_waitcnt lgkmcnt(0)
	s_waitcnt_vscnt null, 0x0
	s_barrier
	buffer_gl0_inv
	s_and_saveexec_b32 s2, s1
	s_cbranch_execz .LBB58_428
; %bb.419:
	s_and_not1_b32 vcc_lo, exec_lo, s3
	s_cbranch_vccnz .LBB58_421
; %bb.420:
	scratch_load_b64 v[119:120], v123, off
	ds_load_b64 v[132:133], v122
	s_waitcnt vmcnt(0) lgkmcnt(0)
	v_mul_f64 v[119:120], v[119:120], v[132:133]
	s_cbranch_execz .LBB58_422
	s_branch .LBB58_423
.LBB58_421:
                                        ; implicit-def: $vgpr119_vgpr120
.LBB58_422:
	ds_load_b64 v[119:120], v122
.LBB58_423:
	s_and_saveexec_b32 s4, s0
	s_cbranch_execz .LBB58_427
; %bb.424:
	v_add_nc_u32_e32 v132, -16, v0
	s_movk_i32 s5, 0x260
	s_mov_b32 s0, 0
.LBB58_425:                             ; =>This Inner Loop Header: Depth=1
	scratch_load_b64 v[133:134], v131, off
	v_dual_mov_b32 v135, s5 :: v_dual_add_nc_u32 v132, -1, v132
	v_add_nc_u32_e32 v131, 8, v131
	s_add_i32 s5, s5, 8
	ds_load_b64 v[135:136], v135
	v_cmp_eq_u32_e32 vcc_lo, 0, v132
	s_or_b32 s0, vcc_lo, s0
	s_waitcnt vmcnt(0) lgkmcnt(0)
	v_fma_f64 v[119:120], v[133:134], v[135:136], v[119:120]
	s_and_not1_b32 exec_lo, exec_lo, s0
	s_cbranch_execnz .LBB58_425
; %bb.426:
	s_or_b32 exec_lo, exec_lo, s0
.LBB58_427:
	s_delay_alu instid0(SALU_CYCLE_1)
	s_or_b32 exec_lo, exec_lo, s4
	v_mov_b32_e32 v131, 0
	ds_load_b64 v[131:132], v131 offset:120
	s_waitcnt lgkmcnt(0)
	v_mul_f64 v[119:120], v[119:120], v[131:132]
	scratch_store_b64 off, v[119:120], off offset:120
.LBB58_428:
	s_or_b32 exec_lo, exec_lo, s2
	scratch_load_b64 v[119:120], off, off offset:112
	v_cmp_lt_u32_e64 s0, 14, v0
	s_waitcnt vmcnt(0)
	ds_store_b64 v122, v[119:120]
	s_waitcnt lgkmcnt(0)
	s_waitcnt_vscnt null, 0x0
	s_barrier
	buffer_gl0_inv
	s_and_saveexec_b32 s2, s0
	s_cbranch_execz .LBB58_438
; %bb.429:
	s_and_not1_b32 vcc_lo, exec_lo, s3
	s_cbranch_vccnz .LBB58_431
; %bb.430:
	scratch_load_b64 v[119:120], v123, off
	ds_load_b64 v[131:132], v122
	s_waitcnt vmcnt(0) lgkmcnt(0)
	v_mul_f64 v[119:120], v[119:120], v[131:132]
	s_cbranch_execz .LBB58_432
	s_branch .LBB58_433
.LBB58_431:
                                        ; implicit-def: $vgpr119_vgpr120
.LBB58_432:
	ds_load_b64 v[119:120], v122
.LBB58_433:
	s_and_saveexec_b32 s4, s1
	s_cbranch_execz .LBB58_437
; %bb.434:
	v_dual_mov_b32 v131, 0 :: v_dual_add_nc_u32 v132, -15, v0
	s_movk_i32 s5, 0x258
	s_mov_b32 s1, 0
	s_delay_alu instid0(VALU_DEP_1)
	v_add_nc_u32_e32 v131, 0x78, v131
.LBB58_435:                             ; =>This Inner Loop Header: Depth=1
	scratch_load_b64 v[133:134], v131, off
	v_dual_mov_b32 v135, s5 :: v_dual_add_nc_u32 v132, -1, v132
	v_add_nc_u32_e32 v131, 8, v131
	s_add_i32 s5, s5, 8
	ds_load_b64 v[135:136], v135
	v_cmp_eq_u32_e32 vcc_lo, 0, v132
	s_or_b32 s1, vcc_lo, s1
	s_waitcnt vmcnt(0) lgkmcnt(0)
	v_fma_f64 v[119:120], v[133:134], v[135:136], v[119:120]
	s_and_not1_b32 exec_lo, exec_lo, s1
	s_cbranch_execnz .LBB58_435
; %bb.436:
	s_or_b32 exec_lo, exec_lo, s1
.LBB58_437:
	s_delay_alu instid0(SALU_CYCLE_1)
	s_or_b32 exec_lo, exec_lo, s4
	v_mov_b32_e32 v131, 0
	ds_load_b64 v[131:132], v131 offset:112
	s_waitcnt lgkmcnt(0)
	v_mul_f64 v[119:120], v[119:120], v[131:132]
	scratch_store_b64 off, v[119:120], off offset:112
.LBB58_438:
	s_or_b32 exec_lo, exec_lo, s2
	scratch_load_b64 v[119:120], off, off offset:104
	v_cmp_lt_u32_e64 s1, 13, v0
	s_waitcnt vmcnt(0)
	ds_store_b64 v122, v[119:120]
	s_waitcnt lgkmcnt(0)
	s_waitcnt_vscnt null, 0x0
	s_barrier
	buffer_gl0_inv
	s_and_saveexec_b32 s2, s1
	s_cbranch_execz .LBB58_448
; %bb.439:
	s_and_not1_b32 vcc_lo, exec_lo, s3
	s_cbranch_vccnz .LBB58_441
; %bb.440:
	scratch_load_b64 v[119:120], v123, off
	ds_load_b64 v[131:132], v122
	s_waitcnt vmcnt(0) lgkmcnt(0)
	v_mul_f64 v[119:120], v[119:120], v[131:132]
	s_cbranch_execz .LBB58_442
	s_branch .LBB58_443
.LBB58_441:
                                        ; implicit-def: $vgpr119_vgpr120
.LBB58_442:
	ds_load_b64 v[119:120], v122
.LBB58_443:
	s_and_saveexec_b32 s4, s0
	s_cbranch_execz .LBB58_447
; %bb.444:
	v_add_nc_u32_e32 v131, -14, v0
	s_movk_i32 s5, 0x250
	s_mov_b32 s0, 0
.LBB58_445:                             ; =>This Inner Loop Header: Depth=1
	scratch_load_b64 v[132:133], v130, off
	v_dual_mov_b32 v134, s5 :: v_dual_add_nc_u32 v131, -1, v131
	v_add_nc_u32_e32 v130, 8, v130
	s_add_i32 s5, s5, 8
	ds_load_b64 v[134:135], v134
	v_cmp_eq_u32_e32 vcc_lo, 0, v131
	s_or_b32 s0, vcc_lo, s0
	s_waitcnt vmcnt(0) lgkmcnt(0)
	v_fma_f64 v[119:120], v[132:133], v[134:135], v[119:120]
	s_and_not1_b32 exec_lo, exec_lo, s0
	s_cbranch_execnz .LBB58_445
; %bb.446:
	s_or_b32 exec_lo, exec_lo, s0
.LBB58_447:
	s_delay_alu instid0(SALU_CYCLE_1)
	s_or_b32 exec_lo, exec_lo, s4
	v_mov_b32_e32 v130, 0
	ds_load_b64 v[130:131], v130 offset:104
	s_waitcnt lgkmcnt(0)
	v_mul_f64 v[119:120], v[119:120], v[130:131]
	scratch_store_b64 off, v[119:120], off offset:104
.LBB58_448:
	s_or_b32 exec_lo, exec_lo, s2
	scratch_load_b64 v[119:120], off, off offset:96
	v_cmp_lt_u32_e64 s0, 12, v0
	s_waitcnt vmcnt(0)
	ds_store_b64 v122, v[119:120]
	s_waitcnt lgkmcnt(0)
	s_waitcnt_vscnt null, 0x0
	s_barrier
	buffer_gl0_inv
	s_and_saveexec_b32 s2, s0
	s_cbranch_execz .LBB58_458
; %bb.449:
	s_and_not1_b32 vcc_lo, exec_lo, s3
	s_cbranch_vccnz .LBB58_451
; %bb.450:
	scratch_load_b64 v[119:120], v123, off
	ds_load_b64 v[130:131], v122
	s_waitcnt vmcnt(0) lgkmcnt(0)
	v_mul_f64 v[119:120], v[119:120], v[130:131]
	s_cbranch_execz .LBB58_452
	s_branch .LBB58_453
.LBB58_451:
                                        ; implicit-def: $vgpr119_vgpr120
.LBB58_452:
	ds_load_b64 v[119:120], v122
.LBB58_453:
	s_and_saveexec_b32 s4, s1
	s_cbranch_execz .LBB58_457
; %bb.454:
	v_dual_mov_b32 v130, 0 :: v_dual_add_nc_u32 v131, -13, v0
	s_movk_i32 s5, 0x248
	s_mov_b32 s1, 0
	s_delay_alu instid0(VALU_DEP_1)
	v_add_nc_u32_e32 v130, 0x68, v130
.LBB58_455:                             ; =>This Inner Loop Header: Depth=1
	scratch_load_b64 v[132:133], v130, off
	v_dual_mov_b32 v134, s5 :: v_dual_add_nc_u32 v131, -1, v131
	v_add_nc_u32_e32 v130, 8, v130
	s_add_i32 s5, s5, 8
	ds_load_b64 v[134:135], v134
	v_cmp_eq_u32_e32 vcc_lo, 0, v131
	s_or_b32 s1, vcc_lo, s1
	s_waitcnt vmcnt(0) lgkmcnt(0)
	v_fma_f64 v[119:120], v[132:133], v[134:135], v[119:120]
	s_and_not1_b32 exec_lo, exec_lo, s1
	s_cbranch_execnz .LBB58_455
; %bb.456:
	s_or_b32 exec_lo, exec_lo, s1
.LBB58_457:
	s_delay_alu instid0(SALU_CYCLE_1)
	s_or_b32 exec_lo, exec_lo, s4
	v_mov_b32_e32 v130, 0
	ds_load_b64 v[130:131], v130 offset:96
	s_waitcnt lgkmcnt(0)
	v_mul_f64 v[119:120], v[119:120], v[130:131]
	scratch_store_b64 off, v[119:120], off offset:96
.LBB58_458:
	s_or_b32 exec_lo, exec_lo, s2
	scratch_load_b64 v[119:120], off, off offset:88
	v_cmp_lt_u32_e64 s1, 11, v0
	s_waitcnt vmcnt(0)
	ds_store_b64 v122, v[119:120]
	s_waitcnt lgkmcnt(0)
	s_waitcnt_vscnt null, 0x0
	s_barrier
	buffer_gl0_inv
	s_and_saveexec_b32 s2, s1
	s_cbranch_execz .LBB58_468
; %bb.459:
	s_and_not1_b32 vcc_lo, exec_lo, s3
	s_cbranch_vccnz .LBB58_461
; %bb.460:
	scratch_load_b64 v[119:120], v123, off
	ds_load_b64 v[130:131], v122
	s_waitcnt vmcnt(0) lgkmcnt(0)
	v_mul_f64 v[119:120], v[119:120], v[130:131]
	s_cbranch_execz .LBB58_462
	s_branch .LBB58_463
.LBB58_461:
                                        ; implicit-def: $vgpr119_vgpr120
.LBB58_462:
	ds_load_b64 v[119:120], v122
.LBB58_463:
	s_and_saveexec_b32 s4, s0
	s_cbranch_execz .LBB58_467
; %bb.464:
	v_add_nc_u32_e32 v130, -12, v0
	s_movk_i32 s5, 0x240
	s_mov_b32 s0, 0
.LBB58_465:                             ; =>This Inner Loop Header: Depth=1
	scratch_load_b64 v[131:132], v129, off
	v_dual_mov_b32 v133, s5 :: v_dual_add_nc_u32 v130, -1, v130
	v_add_nc_u32_e32 v129, 8, v129
	s_add_i32 s5, s5, 8
	ds_load_b64 v[133:134], v133
	v_cmp_eq_u32_e32 vcc_lo, 0, v130
	s_or_b32 s0, vcc_lo, s0
	s_waitcnt vmcnt(0) lgkmcnt(0)
	v_fma_f64 v[119:120], v[131:132], v[133:134], v[119:120]
	s_and_not1_b32 exec_lo, exec_lo, s0
	s_cbranch_execnz .LBB58_465
; %bb.466:
	s_or_b32 exec_lo, exec_lo, s0
.LBB58_467:
	s_delay_alu instid0(SALU_CYCLE_1)
	s_or_b32 exec_lo, exec_lo, s4
	v_mov_b32_e32 v129, 0
	ds_load_b64 v[129:130], v129 offset:88
	s_waitcnt lgkmcnt(0)
	v_mul_f64 v[119:120], v[119:120], v[129:130]
	scratch_store_b64 off, v[119:120], off offset:88
.LBB58_468:
	s_or_b32 exec_lo, exec_lo, s2
	scratch_load_b64 v[119:120], off, off offset:80
	v_cmp_lt_u32_e64 s0, 10, v0
	s_waitcnt vmcnt(0)
	ds_store_b64 v122, v[119:120]
	s_waitcnt lgkmcnt(0)
	s_waitcnt_vscnt null, 0x0
	s_barrier
	buffer_gl0_inv
	s_and_saveexec_b32 s2, s0
	s_cbranch_execz .LBB58_478
; %bb.469:
	s_and_not1_b32 vcc_lo, exec_lo, s3
	s_cbranch_vccnz .LBB58_471
; %bb.470:
	scratch_load_b64 v[119:120], v123, off
	ds_load_b64 v[129:130], v122
	s_waitcnt vmcnt(0) lgkmcnt(0)
	v_mul_f64 v[119:120], v[119:120], v[129:130]
	s_cbranch_execz .LBB58_472
	s_branch .LBB58_473
.LBB58_471:
                                        ; implicit-def: $vgpr119_vgpr120
.LBB58_472:
	ds_load_b64 v[119:120], v122
.LBB58_473:
	s_and_saveexec_b32 s4, s1
	s_cbranch_execz .LBB58_477
; %bb.474:
	v_dual_mov_b32 v129, 0 :: v_dual_add_nc_u32 v130, -11, v0
	s_movk_i32 s5, 0x238
	s_mov_b32 s1, 0
	s_delay_alu instid0(VALU_DEP_1)
	v_add_nc_u32_e32 v129, 0x58, v129
.LBB58_475:                             ; =>This Inner Loop Header: Depth=1
	scratch_load_b64 v[131:132], v129, off
	v_dual_mov_b32 v133, s5 :: v_dual_add_nc_u32 v130, -1, v130
	v_add_nc_u32_e32 v129, 8, v129
	s_add_i32 s5, s5, 8
	ds_load_b64 v[133:134], v133
	v_cmp_eq_u32_e32 vcc_lo, 0, v130
	s_or_b32 s1, vcc_lo, s1
	s_waitcnt vmcnt(0) lgkmcnt(0)
	v_fma_f64 v[119:120], v[131:132], v[133:134], v[119:120]
	s_and_not1_b32 exec_lo, exec_lo, s1
	s_cbranch_execnz .LBB58_475
; %bb.476:
	s_or_b32 exec_lo, exec_lo, s1
.LBB58_477:
	s_delay_alu instid0(SALU_CYCLE_1)
	s_or_b32 exec_lo, exec_lo, s4
	v_mov_b32_e32 v129, 0
	ds_load_b64 v[129:130], v129 offset:80
	s_waitcnt lgkmcnt(0)
	v_mul_f64 v[119:120], v[119:120], v[129:130]
	scratch_store_b64 off, v[119:120], off offset:80
.LBB58_478:
	s_or_b32 exec_lo, exec_lo, s2
	scratch_load_b64 v[119:120], off, off offset:72
	v_cmp_lt_u32_e64 s1, 9, v0
	s_waitcnt vmcnt(0)
	ds_store_b64 v122, v[119:120]
	s_waitcnt lgkmcnt(0)
	s_waitcnt_vscnt null, 0x0
	s_barrier
	buffer_gl0_inv
	s_and_saveexec_b32 s2, s1
	s_cbranch_execz .LBB58_488
; %bb.479:
	s_and_not1_b32 vcc_lo, exec_lo, s3
	s_cbranch_vccnz .LBB58_481
; %bb.480:
	scratch_load_b64 v[119:120], v123, off
	ds_load_b64 v[129:130], v122
	s_waitcnt vmcnt(0) lgkmcnt(0)
	v_mul_f64 v[119:120], v[119:120], v[129:130]
	s_cbranch_execz .LBB58_482
	s_branch .LBB58_483
.LBB58_481:
                                        ; implicit-def: $vgpr119_vgpr120
.LBB58_482:
	ds_load_b64 v[119:120], v122
.LBB58_483:
	s_and_saveexec_b32 s4, s0
	s_cbranch_execz .LBB58_487
; %bb.484:
	v_add_nc_u32_e32 v129, -10, v0
	s_movk_i32 s5, 0x230
	s_mov_b32 s0, 0
.LBB58_485:                             ; =>This Inner Loop Header: Depth=1
	scratch_load_b64 v[130:131], v128, off
	v_dual_mov_b32 v132, s5 :: v_dual_add_nc_u32 v129, -1, v129
	v_add_nc_u32_e32 v128, 8, v128
	s_add_i32 s5, s5, 8
	ds_load_b64 v[132:133], v132
	v_cmp_eq_u32_e32 vcc_lo, 0, v129
	s_or_b32 s0, vcc_lo, s0
	s_waitcnt vmcnt(0) lgkmcnt(0)
	v_fma_f64 v[119:120], v[130:131], v[132:133], v[119:120]
	s_and_not1_b32 exec_lo, exec_lo, s0
	s_cbranch_execnz .LBB58_485
; %bb.486:
	s_or_b32 exec_lo, exec_lo, s0
.LBB58_487:
	s_delay_alu instid0(SALU_CYCLE_1)
	s_or_b32 exec_lo, exec_lo, s4
	v_mov_b32_e32 v128, 0
	ds_load_b64 v[128:129], v128 offset:72
	s_waitcnt lgkmcnt(0)
	v_mul_f64 v[119:120], v[119:120], v[128:129]
	scratch_store_b64 off, v[119:120], off offset:72
.LBB58_488:
	s_or_b32 exec_lo, exec_lo, s2
	scratch_load_b64 v[119:120], off, off offset:64
	v_cmp_lt_u32_e64 s0, 8, v0
	s_waitcnt vmcnt(0)
	ds_store_b64 v122, v[119:120]
	s_waitcnt lgkmcnt(0)
	s_waitcnt_vscnt null, 0x0
	s_barrier
	buffer_gl0_inv
	s_and_saveexec_b32 s2, s0
	s_cbranch_execz .LBB58_498
; %bb.489:
	s_and_not1_b32 vcc_lo, exec_lo, s3
	s_cbranch_vccnz .LBB58_491
; %bb.490:
	scratch_load_b64 v[119:120], v123, off
	ds_load_b64 v[128:129], v122
	s_waitcnt vmcnt(0) lgkmcnt(0)
	v_mul_f64 v[119:120], v[119:120], v[128:129]
	s_cbranch_execz .LBB58_492
	s_branch .LBB58_493
.LBB58_491:
                                        ; implicit-def: $vgpr119_vgpr120
.LBB58_492:
	ds_load_b64 v[119:120], v122
.LBB58_493:
	s_and_saveexec_b32 s4, s1
	s_cbranch_execz .LBB58_497
; %bb.494:
	v_dual_mov_b32 v128, 0 :: v_dual_add_nc_u32 v129, -9, v0
	s_movk_i32 s5, 0x228
	s_mov_b32 s1, 0
	s_delay_alu instid0(VALU_DEP_1)
	v_add_nc_u32_e32 v128, 0x48, v128
.LBB58_495:                             ; =>This Inner Loop Header: Depth=1
	scratch_load_b64 v[130:131], v128, off
	v_dual_mov_b32 v132, s5 :: v_dual_add_nc_u32 v129, -1, v129
	v_add_nc_u32_e32 v128, 8, v128
	s_add_i32 s5, s5, 8
	ds_load_b64 v[132:133], v132
	v_cmp_eq_u32_e32 vcc_lo, 0, v129
	s_or_b32 s1, vcc_lo, s1
	s_waitcnt vmcnt(0) lgkmcnt(0)
	v_fma_f64 v[119:120], v[130:131], v[132:133], v[119:120]
	s_and_not1_b32 exec_lo, exec_lo, s1
	s_cbranch_execnz .LBB58_495
; %bb.496:
	s_or_b32 exec_lo, exec_lo, s1
.LBB58_497:
	s_delay_alu instid0(SALU_CYCLE_1)
	s_or_b32 exec_lo, exec_lo, s4
	v_mov_b32_e32 v128, 0
	ds_load_b64 v[128:129], v128 offset:64
	s_waitcnt lgkmcnt(0)
	v_mul_f64 v[119:120], v[119:120], v[128:129]
	scratch_store_b64 off, v[119:120], off offset:64
.LBB58_498:
	s_or_b32 exec_lo, exec_lo, s2
	scratch_load_b64 v[119:120], off, off offset:56
	v_cmp_lt_u32_e64 s1, 7, v0
	s_waitcnt vmcnt(0)
	ds_store_b64 v122, v[119:120]
	s_waitcnt lgkmcnt(0)
	s_waitcnt_vscnt null, 0x0
	s_barrier
	buffer_gl0_inv
	s_and_saveexec_b32 s2, s1
	s_cbranch_execz .LBB58_508
; %bb.499:
	s_and_not1_b32 vcc_lo, exec_lo, s3
	s_cbranch_vccnz .LBB58_501
; %bb.500:
	scratch_load_b64 v[119:120], v123, off
	ds_load_b64 v[128:129], v122
	s_waitcnt vmcnt(0) lgkmcnt(0)
	v_mul_f64 v[119:120], v[119:120], v[128:129]
	s_cbranch_execz .LBB58_502
	s_branch .LBB58_503
.LBB58_501:
                                        ; implicit-def: $vgpr119_vgpr120
.LBB58_502:
	ds_load_b64 v[119:120], v122
.LBB58_503:
	s_and_saveexec_b32 s4, s0
	s_cbranch_execz .LBB58_507
; %bb.504:
	v_add_nc_u32_e32 v128, -8, v0
	s_movk_i32 s5, 0x220
	s_mov_b32 s0, 0
.LBB58_505:                             ; =>This Inner Loop Header: Depth=1
	scratch_load_b64 v[129:130], v127, off
	v_dual_mov_b32 v131, s5 :: v_dual_add_nc_u32 v128, -1, v128
	v_add_nc_u32_e32 v127, 8, v127
	s_add_i32 s5, s5, 8
	ds_load_b64 v[131:132], v131
	v_cmp_eq_u32_e32 vcc_lo, 0, v128
	s_or_b32 s0, vcc_lo, s0
	s_waitcnt vmcnt(0) lgkmcnt(0)
	v_fma_f64 v[119:120], v[129:130], v[131:132], v[119:120]
	s_and_not1_b32 exec_lo, exec_lo, s0
	s_cbranch_execnz .LBB58_505
; %bb.506:
	s_or_b32 exec_lo, exec_lo, s0
.LBB58_507:
	s_delay_alu instid0(SALU_CYCLE_1)
	s_or_b32 exec_lo, exec_lo, s4
	v_mov_b32_e32 v127, 0
	ds_load_b64 v[127:128], v127 offset:56
	s_waitcnt lgkmcnt(0)
	v_mul_f64 v[119:120], v[119:120], v[127:128]
	scratch_store_b64 off, v[119:120], off offset:56
.LBB58_508:
	s_or_b32 exec_lo, exec_lo, s2
	scratch_load_b64 v[119:120], off, off offset:48
	v_cmp_lt_u32_e64 s0, 6, v0
	s_waitcnt vmcnt(0)
	ds_store_b64 v122, v[119:120]
	s_waitcnt lgkmcnt(0)
	s_waitcnt_vscnt null, 0x0
	s_barrier
	buffer_gl0_inv
	s_and_saveexec_b32 s2, s0
	s_cbranch_execz .LBB58_518
; %bb.509:
	s_and_not1_b32 vcc_lo, exec_lo, s3
	s_cbranch_vccnz .LBB58_511
; %bb.510:
	scratch_load_b64 v[119:120], v123, off
	ds_load_b64 v[127:128], v122
	s_waitcnt vmcnt(0) lgkmcnt(0)
	v_mul_f64 v[119:120], v[119:120], v[127:128]
	s_cbranch_execz .LBB58_512
	s_branch .LBB58_513
.LBB58_511:
                                        ; implicit-def: $vgpr119_vgpr120
.LBB58_512:
	ds_load_b64 v[119:120], v122
.LBB58_513:
	s_and_saveexec_b32 s4, s1
	s_cbranch_execz .LBB58_517
; %bb.514:
	v_add_nc_u32_e64 v127, 0, 56
	v_add_nc_u32_e32 v128, -7, v0
	s_movk_i32 s5, 0x218
	s_mov_b32 s1, 0
.LBB58_515:                             ; =>This Inner Loop Header: Depth=1
	scratch_load_b64 v[129:130], v127, off
	v_dual_mov_b32 v131, s5 :: v_dual_add_nc_u32 v128, -1, v128
	v_add_nc_u32_e32 v127, 8, v127
	s_add_i32 s5, s5, 8
	ds_load_b64 v[131:132], v131
	v_cmp_eq_u32_e32 vcc_lo, 0, v128
	s_or_b32 s1, vcc_lo, s1
	s_waitcnt vmcnt(0) lgkmcnt(0)
	v_fma_f64 v[119:120], v[129:130], v[131:132], v[119:120]
	s_and_not1_b32 exec_lo, exec_lo, s1
	s_cbranch_execnz .LBB58_515
; %bb.516:
	s_or_b32 exec_lo, exec_lo, s1
.LBB58_517:
	s_delay_alu instid0(SALU_CYCLE_1)
	s_or_b32 exec_lo, exec_lo, s4
	v_mov_b32_e32 v127, 0
	ds_load_b64 v[127:128], v127 offset:48
	s_waitcnt lgkmcnt(0)
	v_mul_f64 v[119:120], v[119:120], v[127:128]
	scratch_store_b64 off, v[119:120], off offset:48
.LBB58_518:
	s_or_b32 exec_lo, exec_lo, s2
	scratch_load_b64 v[119:120], off, off offset:40
	v_cmp_lt_u32_e64 s1, 5, v0
	s_waitcnt vmcnt(0)
	ds_store_b64 v122, v[119:120]
	s_waitcnt lgkmcnt(0)
	s_waitcnt_vscnt null, 0x0
	s_barrier
	buffer_gl0_inv
	s_and_saveexec_b32 s2, s1
	s_cbranch_execz .LBB58_528
; %bb.519:
	s_and_not1_b32 vcc_lo, exec_lo, s3
	s_cbranch_vccnz .LBB58_521
; %bb.520:
	scratch_load_b64 v[119:120], v123, off
	ds_load_b64 v[127:128], v122
	s_waitcnt vmcnt(0) lgkmcnt(0)
	v_mul_f64 v[119:120], v[119:120], v[127:128]
	s_cbranch_execz .LBB58_522
	s_branch .LBB58_523
.LBB58_521:
                                        ; implicit-def: $vgpr119_vgpr120
.LBB58_522:
	ds_load_b64 v[119:120], v122
.LBB58_523:
	s_and_saveexec_b32 s4, s0
	s_cbranch_execz .LBB58_527
; %bb.524:
	v_add_nc_u32_e32 v127, -6, v0
	s_movk_i32 s5, 0x210
	s_mov_b32 s0, 0
.LBB58_525:                             ; =>This Inner Loop Header: Depth=1
	scratch_load_b64 v[128:129], v126, off
	v_dual_mov_b32 v130, s5 :: v_dual_add_nc_u32 v127, -1, v127
	v_add_nc_u32_e32 v126, 8, v126
	s_add_i32 s5, s5, 8
	ds_load_b64 v[130:131], v130
	v_cmp_eq_u32_e32 vcc_lo, 0, v127
	s_or_b32 s0, vcc_lo, s0
	s_waitcnt vmcnt(0) lgkmcnt(0)
	v_fma_f64 v[119:120], v[128:129], v[130:131], v[119:120]
	s_and_not1_b32 exec_lo, exec_lo, s0
	s_cbranch_execnz .LBB58_525
; %bb.526:
	s_or_b32 exec_lo, exec_lo, s0
.LBB58_527:
	s_delay_alu instid0(SALU_CYCLE_1)
	s_or_b32 exec_lo, exec_lo, s4
	v_mov_b32_e32 v126, 0
	ds_load_b64 v[126:127], v126 offset:40
	s_waitcnt lgkmcnt(0)
	v_mul_f64 v[119:120], v[119:120], v[126:127]
	scratch_store_b64 off, v[119:120], off offset:40
.LBB58_528:
	s_or_b32 exec_lo, exec_lo, s2
	scratch_load_b64 v[119:120], off, off offset:32
	v_cmp_lt_u32_e64 s0, 4, v0
	s_waitcnt vmcnt(0)
	ds_store_b64 v122, v[119:120]
	s_waitcnt lgkmcnt(0)
	s_waitcnt_vscnt null, 0x0
	s_barrier
	buffer_gl0_inv
	s_and_saveexec_b32 s2, s0
	s_cbranch_execz .LBB58_538
; %bb.529:
	s_and_not1_b32 vcc_lo, exec_lo, s3
	s_cbranch_vccnz .LBB58_531
; %bb.530:
	scratch_load_b64 v[119:120], v123, off
	ds_load_b64 v[126:127], v122
	s_waitcnt vmcnt(0) lgkmcnt(0)
	v_mul_f64 v[119:120], v[119:120], v[126:127]
	s_cbranch_execz .LBB58_532
	s_branch .LBB58_533
.LBB58_531:
                                        ; implicit-def: $vgpr119_vgpr120
.LBB58_532:
	ds_load_b64 v[119:120], v122
.LBB58_533:
	s_and_saveexec_b32 s4, s1
	s_cbranch_execz .LBB58_537
; %bb.534:
	v_add_nc_u32_e64 v126, 0, 40
	v_add_nc_u32_e32 v127, -5, v0
	s_movk_i32 s5, 0x208
	s_mov_b32 s1, 0
.LBB58_535:                             ; =>This Inner Loop Header: Depth=1
	scratch_load_b64 v[128:129], v126, off
	v_dual_mov_b32 v130, s5 :: v_dual_add_nc_u32 v127, -1, v127
	v_add_nc_u32_e32 v126, 8, v126
	s_add_i32 s5, s5, 8
	ds_load_b64 v[130:131], v130
	v_cmp_eq_u32_e32 vcc_lo, 0, v127
	s_or_b32 s1, vcc_lo, s1
	s_waitcnt vmcnt(0) lgkmcnt(0)
	v_fma_f64 v[119:120], v[128:129], v[130:131], v[119:120]
	s_and_not1_b32 exec_lo, exec_lo, s1
	s_cbranch_execnz .LBB58_535
; %bb.536:
	s_or_b32 exec_lo, exec_lo, s1
.LBB58_537:
	s_delay_alu instid0(SALU_CYCLE_1)
	s_or_b32 exec_lo, exec_lo, s4
	v_mov_b32_e32 v126, 0
	ds_load_b64 v[126:127], v126 offset:32
	s_waitcnt lgkmcnt(0)
	v_mul_f64 v[119:120], v[119:120], v[126:127]
	scratch_store_b64 off, v[119:120], off offset:32
.LBB58_538:
	s_or_b32 exec_lo, exec_lo, s2
	scratch_load_b64 v[119:120], off, off offset:24
	v_cmp_lt_u32_e64 s1, 3, v0
	s_waitcnt vmcnt(0)
	ds_store_b64 v122, v[119:120]
	s_waitcnt lgkmcnt(0)
	s_waitcnt_vscnt null, 0x0
	s_barrier
	buffer_gl0_inv
	s_and_saveexec_b32 s2, s1
	s_cbranch_execz .LBB58_548
; %bb.539:
	s_and_not1_b32 vcc_lo, exec_lo, s3
	s_cbranch_vccnz .LBB58_541
; %bb.540:
	scratch_load_b64 v[119:120], v123, off
	ds_load_b64 v[126:127], v122
	s_waitcnt vmcnt(0) lgkmcnt(0)
	v_mul_f64 v[119:120], v[119:120], v[126:127]
	s_cbranch_execz .LBB58_542
	s_branch .LBB58_543
.LBB58_541:
                                        ; implicit-def: $vgpr119_vgpr120
.LBB58_542:
	ds_load_b64 v[119:120], v122
.LBB58_543:
	s_and_saveexec_b32 s4, s0
	s_cbranch_execz .LBB58_547
; %bb.544:
	v_add_nc_u32_e32 v126, -4, v0
	s_movk_i32 s5, 0x200
	s_mov_b32 s0, 0
.LBB58_545:                             ; =>This Inner Loop Header: Depth=1
	scratch_load_b64 v[127:128], v125, off
	v_dual_mov_b32 v129, s5 :: v_dual_add_nc_u32 v126, -1, v126
	v_add_nc_u32_e32 v125, 8, v125
	s_add_i32 s5, s5, 8
	ds_load_b64 v[129:130], v129
	v_cmp_eq_u32_e32 vcc_lo, 0, v126
	s_or_b32 s0, vcc_lo, s0
	s_waitcnt vmcnt(0) lgkmcnt(0)
	v_fma_f64 v[119:120], v[127:128], v[129:130], v[119:120]
	s_and_not1_b32 exec_lo, exec_lo, s0
	s_cbranch_execnz .LBB58_545
; %bb.546:
	s_or_b32 exec_lo, exec_lo, s0
.LBB58_547:
	s_delay_alu instid0(SALU_CYCLE_1)
	s_or_b32 exec_lo, exec_lo, s4
	v_mov_b32_e32 v125, 0
	ds_load_b64 v[125:126], v125 offset:24
	s_waitcnt lgkmcnt(0)
	v_mul_f64 v[119:120], v[119:120], v[125:126]
	scratch_store_b64 off, v[119:120], off offset:24
.LBB58_548:
	s_or_b32 exec_lo, exec_lo, s2
	scratch_load_b64 v[119:120], off, off offset:16
	v_cmp_lt_u32_e64 s0, 2, v0
	s_waitcnt vmcnt(0)
	ds_store_b64 v122, v[119:120]
	s_waitcnt lgkmcnt(0)
	s_waitcnt_vscnt null, 0x0
	s_barrier
	buffer_gl0_inv
	s_and_saveexec_b32 s2, s0
	s_cbranch_execz .LBB58_558
; %bb.549:
	s_and_not1_b32 vcc_lo, exec_lo, s3
	s_cbranch_vccnz .LBB58_551
; %bb.550:
	scratch_load_b64 v[119:120], v123, off
	ds_load_b64 v[125:126], v122
	s_waitcnt vmcnt(0) lgkmcnt(0)
	v_mul_f64 v[119:120], v[119:120], v[125:126]
	s_cbranch_execz .LBB58_552
	s_branch .LBB58_553
.LBB58_551:
                                        ; implicit-def: $vgpr119_vgpr120
.LBB58_552:
	ds_load_b64 v[119:120], v122
.LBB58_553:
	s_and_saveexec_b32 s4, s1
	s_cbranch_execz .LBB58_557
; %bb.554:
	v_add_nc_u32_e64 v125, 0, 24
	v_add_nc_u32_e32 v126, -3, v0
	s_movk_i32 s5, 0x1f8
	s_mov_b32 s1, 0
.LBB58_555:                             ; =>This Inner Loop Header: Depth=1
	scratch_load_b64 v[127:128], v125, off
	v_dual_mov_b32 v129, s5 :: v_dual_add_nc_u32 v126, -1, v126
	v_add_nc_u32_e32 v125, 8, v125
	s_add_i32 s5, s5, 8
	ds_load_b64 v[129:130], v129
	v_cmp_eq_u32_e32 vcc_lo, 0, v126
	s_or_b32 s1, vcc_lo, s1
	s_waitcnt vmcnt(0) lgkmcnt(0)
	v_fma_f64 v[119:120], v[127:128], v[129:130], v[119:120]
	s_and_not1_b32 exec_lo, exec_lo, s1
	s_cbranch_execnz .LBB58_555
; %bb.556:
	s_or_b32 exec_lo, exec_lo, s1
.LBB58_557:
	s_delay_alu instid0(SALU_CYCLE_1)
	s_or_b32 exec_lo, exec_lo, s4
	v_mov_b32_e32 v125, 0
	ds_load_b64 v[125:126], v125 offset:16
	s_waitcnt lgkmcnt(0)
	v_mul_f64 v[119:120], v[119:120], v[125:126]
	scratch_store_b64 off, v[119:120], off offset:16
.LBB58_558:
	s_or_b32 exec_lo, exec_lo, s2
	scratch_load_b64 v[119:120], off, off offset:8
	v_cmp_lt_u32_e64 s1, 1, v0
	s_waitcnt vmcnt(0)
	ds_store_b64 v122, v[119:120]
	s_waitcnt lgkmcnt(0)
	s_waitcnt_vscnt null, 0x0
	s_barrier
	buffer_gl0_inv
	s_and_saveexec_b32 s2, s1
	s_cbranch_execz .LBB58_568
; %bb.559:
	s_and_not1_b32 vcc_lo, exec_lo, s3
	s_cbranch_vccnz .LBB58_561
; %bb.560:
	scratch_load_b64 v[119:120], v123, off
	ds_load_b64 v[125:126], v122
	s_waitcnt vmcnt(0) lgkmcnt(0)
	v_mul_f64 v[119:120], v[119:120], v[125:126]
	s_cbranch_execz .LBB58_562
	s_branch .LBB58_563
.LBB58_561:
                                        ; implicit-def: $vgpr119_vgpr120
.LBB58_562:
	ds_load_b64 v[119:120], v122
.LBB58_563:
	s_and_saveexec_b32 s4, s0
	s_cbranch_execz .LBB58_567
; %bb.564:
	v_add_nc_u32_e32 v125, -2, v0
	s_movk_i32 s5, 0x1f0
	s_mov_b32 s0, 0
.LBB58_565:                             ; =>This Inner Loop Header: Depth=1
	scratch_load_b64 v[126:127], v124, off
	v_dual_mov_b32 v128, s5 :: v_dual_add_nc_u32 v125, -1, v125
	v_add_nc_u32_e32 v124, 8, v124
	s_add_i32 s5, s5, 8
	ds_load_b64 v[128:129], v128
	v_cmp_eq_u32_e32 vcc_lo, 0, v125
	s_or_b32 s0, vcc_lo, s0
	s_waitcnt vmcnt(0) lgkmcnt(0)
	v_fma_f64 v[119:120], v[126:127], v[128:129], v[119:120]
	s_and_not1_b32 exec_lo, exec_lo, s0
	s_cbranch_execnz .LBB58_565
; %bb.566:
	s_or_b32 exec_lo, exec_lo, s0
.LBB58_567:
	s_delay_alu instid0(SALU_CYCLE_1)
	s_or_b32 exec_lo, exec_lo, s4
	v_mov_b32_e32 v124, 0
	ds_load_b64 v[124:125], v124 offset:8
	s_waitcnt lgkmcnt(0)
	v_mul_f64 v[119:120], v[119:120], v[124:125]
	scratch_store_b64 off, v[119:120], off offset:8
.LBB58_568:
	s_or_b32 exec_lo, exec_lo, s2
	scratch_load_b64 v[119:120], off, off
	s_mov_b32 s0, 0
	s_mov_b32 s2, exec_lo
	s_waitcnt vmcnt(0)
	ds_store_b64 v122, v[119:120]
	s_waitcnt lgkmcnt(0)
	s_waitcnt_vscnt null, 0x0
	s_barrier
	buffer_gl0_inv
	v_cmpx_ne_u32_e32 0, v0
	s_cbranch_execz .LBB58_578
; %bb.569:
	s_and_not1_b32 vcc_lo, exec_lo, s3
	s_cbranch_vccnz .LBB58_571
; %bb.570:
	scratch_load_b64 v[119:120], v123, off
	ds_load_b64 v[124:125], v122
	s_waitcnt vmcnt(0) lgkmcnt(0)
	v_mul_f64 v[119:120], v[119:120], v[124:125]
	s_cbranch_execz .LBB58_572
	s_branch .LBB58_573
.LBB58_571:
                                        ; implicit-def: $vgpr119_vgpr120
.LBB58_572:
	ds_load_b64 v[119:120], v122
.LBB58_573:
	s_and_saveexec_b32 s4, s1
	s_cbranch_execz .LBB58_577
; %bb.574:
	v_or_b32_e64 v124, 0, 8
	v_add_nc_u32_e32 v125, -1, v0
	s_movk_i32 s5, 0x1e8
	s_mov_b32 s1, 0
.LBB58_575:                             ; =>This Inner Loop Header: Depth=1
	scratch_load_b64 v[126:127], v124, off
	v_dual_mov_b32 v128, s5 :: v_dual_add_nc_u32 v125, -1, v125
	v_add_nc_u32_e32 v124, 8, v124
	s_add_i32 s5, s5, 8
	ds_load_b64 v[128:129], v128
	v_cmp_eq_u32_e32 vcc_lo, 0, v125
	s_or_b32 s1, vcc_lo, s1
	s_waitcnt vmcnt(0) lgkmcnt(0)
	v_fma_f64 v[119:120], v[126:127], v[128:129], v[119:120]
	s_and_not1_b32 exec_lo, exec_lo, s1
	s_cbranch_execnz .LBB58_575
; %bb.576:
	s_or_b32 exec_lo, exec_lo, s1
.LBB58_577:
	s_delay_alu instid0(SALU_CYCLE_1)
	s_or_b32 exec_lo, exec_lo, s4
	v_mov_b32_e32 v124, 0
	ds_load_b64 v[124:125], v124
	s_waitcnt lgkmcnt(0)
	v_mul_f64 v[119:120], v[119:120], v[124:125]
	scratch_store_b64 off, v[119:120], off
.LBB58_578:
	s_or_b32 exec_lo, exec_lo, s2
.LBB58_579:
	s_delay_alu instid0(SALU_CYCLE_1)
	s_and_b32 vcc_lo, exec_lo, s0
	s_cbranch_vccz .LBB58_1155
; %bb.580:
	scratch_load_b64 v[119:120], off, off offset:8
	v_cmp_eq_u32_e64 s0, 0, v0
	s_waitcnt vmcnt(0)
	ds_store_b64 v122, v[119:120]
	s_waitcnt lgkmcnt(0)
	s_waitcnt_vscnt null, 0x0
	s_barrier
	buffer_gl0_inv
	s_and_saveexec_b32 s1, s0
	s_cbranch_execz .LBB58_586
; %bb.581:
	s_and_b32 vcc_lo, exec_lo, s3
	s_cbranch_vccz .LBB58_583
; %bb.582:
	scratch_load_b64 v[119:120], v123, off
	ds_load_b64 v[124:125], v122
	s_waitcnt vmcnt(0) lgkmcnt(0)
	v_mul_f64 v[119:120], v[119:120], v[124:125]
	s_cbranch_execz .LBB58_584
	s_branch .LBB58_585
.LBB58_583:
                                        ; implicit-def: $vgpr119_vgpr120
.LBB58_584:
	ds_load_b64 v[119:120], v122
.LBB58_585:
	v_mov_b32_e32 v124, 0
	ds_load_b64 v[124:125], v124 offset:8
	s_waitcnt lgkmcnt(0)
	v_mul_f64 v[119:120], v[119:120], v[124:125]
	scratch_store_b64 off, v[119:120], off offset:8
.LBB58_586:
	s_or_b32 exec_lo, exec_lo, s1
	scratch_load_b64 v[119:120], off, off offset:16
	v_cndmask_b32_e64 v124, 0, 1, s3
	s_mov_b32 s1, exec_lo
	s_waitcnt vmcnt(0)
	ds_store_b64 v122, v[119:120]
	s_waitcnt lgkmcnt(0)
	s_waitcnt_vscnt null, 0x0
	s_barrier
	buffer_gl0_inv
	v_cmpx_gt_u32_e32 2, v0
	s_cbranch_execz .LBB58_594
; %bb.587:
	s_and_not1_b32 vcc_lo, exec_lo, s3
	s_cbranch_vccnz .LBB58_589
; %bb.588:
	scratch_load_b64 v[119:120], v123, off
	ds_load_b64 v[125:126], v122
	s_waitcnt vmcnt(0) lgkmcnt(0)
	v_mul_f64 v[119:120], v[119:120], v[125:126]
	s_cbranch_execz .LBB58_590
	s_branch .LBB58_591
.LBB58_589:
                                        ; implicit-def: $vgpr119_vgpr120
.LBB58_590:
	ds_load_b64 v[119:120], v122
.LBB58_591:
	s_and_saveexec_b32 s2, s0
	s_cbranch_execz .LBB58_593
; %bb.592:
	scratch_load_b64 v[125:126], v123, off offset:8
	ds_load_b64 v[127:128], v122 offset:8
	s_waitcnt vmcnt(0) lgkmcnt(0)
	v_fma_f64 v[119:120], v[125:126], v[127:128], v[119:120]
.LBB58_593:
	s_or_b32 exec_lo, exec_lo, s2
	v_mov_b32_e32 v125, 0
	ds_load_b64 v[125:126], v125 offset:16
	s_waitcnt lgkmcnt(0)
	v_mul_f64 v[119:120], v[119:120], v[125:126]
	scratch_store_b64 off, v[119:120], off offset:16
.LBB58_594:
	s_or_b32 exec_lo, exec_lo, s1
	scratch_load_b64 v[119:120], off, off offset:24
	s_mov_b32 s1, exec_lo
	s_waitcnt vmcnt(0)
	ds_store_b64 v122, v[119:120]
	s_waitcnt lgkmcnt(0)
	s_waitcnt_vscnt null, 0x0
	s_barrier
	buffer_gl0_inv
	v_cmpx_gt_u32_e32 3, v0
	s_cbranch_execz .LBB58_604
; %bb.595:
	v_cmp_ne_u32_e32 vcc_lo, 1, v124
	s_cbranch_vccnz .LBB58_597
; %bb.596:
	scratch_load_b64 v[119:120], v123, off
	ds_load_b64 v[125:126], v122
	s_waitcnt vmcnt(0) lgkmcnt(0)
	v_mul_f64 v[119:120], v[119:120], v[125:126]
	s_cbranch_execz .LBB58_598
	s_branch .LBB58_599
.LBB58_597:
                                        ; implicit-def: $vgpr119_vgpr120
.LBB58_598:
	ds_load_b64 v[119:120], v122
.LBB58_599:
	s_mov_b32 s2, exec_lo
	v_cmpx_ne_u32_e32 2, v0
	s_cbranch_execz .LBB58_603
; %bb.600:
	scratch_load_b64 v[125:126], v123, off offset:8
	ds_load_b64 v[127:128], v122 offset:8
	s_waitcnt vmcnt(0) lgkmcnt(0)
	v_fma_f64 v[119:120], v[125:126], v[127:128], v[119:120]
	s_and_saveexec_b32 s3, s0
	s_cbranch_execz .LBB58_602
; %bb.601:
	scratch_load_b64 v[125:126], off, off offset:16
	v_mov_b32_e32 v127, 0
	ds_load_b64 v[127:128], v127 offset:496
	s_waitcnt vmcnt(0) lgkmcnt(0)
	v_fma_f64 v[119:120], v[125:126], v[127:128], v[119:120]
.LBB58_602:
	s_or_b32 exec_lo, exec_lo, s3
.LBB58_603:
	s_delay_alu instid0(SALU_CYCLE_1)
	s_or_b32 exec_lo, exec_lo, s2
	v_mov_b32_e32 v125, 0
	ds_load_b64 v[125:126], v125 offset:24
	s_waitcnt lgkmcnt(0)
	v_mul_f64 v[119:120], v[119:120], v[125:126]
	scratch_store_b64 off, v[119:120], off offset:24
.LBB58_604:
	s_or_b32 exec_lo, exec_lo, s1
	scratch_load_b64 v[119:120], off, off offset:32
	s_mov_b32 s0, exec_lo
	s_waitcnt vmcnt(0)
	ds_store_b64 v122, v[119:120]
	s_waitcnt lgkmcnt(0)
	s_waitcnt_vscnt null, 0x0
	s_barrier
	buffer_gl0_inv
	v_cmpx_gt_u32_e32 4, v0
	s_cbranch_execz .LBB58_614
; %bb.605:
	v_cmp_ne_u32_e32 vcc_lo, 1, v124
	s_cbranch_vccnz .LBB58_607
; %bb.606:
	scratch_load_b64 v[119:120], v123, off
	ds_load_b64 v[125:126], v122
	s_waitcnt vmcnt(0) lgkmcnt(0)
	v_mul_f64 v[119:120], v[119:120], v[125:126]
	s_cbranch_execz .LBB58_608
	s_branch .LBB58_609
.LBB58_607:
                                        ; implicit-def: $vgpr119_vgpr120
.LBB58_608:
	ds_load_b64 v[119:120], v122
.LBB58_609:
	s_mov_b32 s1, exec_lo
	v_cmpx_ne_u32_e32 3, v0
	s_cbranch_execz .LBB58_613
; %bb.610:
	v_add_nc_u32_e32 v125, 0x1e8, v121
	v_add3_u32 v126, 0, v121, 8
	v_mov_b32_e32 v127, v0
	s_mov_b32 s2, 0
.LBB58_611:                             ; =>This Inner Loop Header: Depth=1
	scratch_load_b64 v[128:129], v126, off
	ds_load_b64 v[130:131], v125
	v_add_nc_u32_e32 v127, 1, v127
	v_add_nc_u32_e32 v125, 8, v125
	v_add_nc_u32_e32 v126, 8, v126
	s_delay_alu instid0(VALU_DEP_3)
	v_cmp_lt_u32_e32 vcc_lo, 2, v127
	s_or_b32 s2, vcc_lo, s2
	s_waitcnt vmcnt(0) lgkmcnt(0)
	v_fma_f64 v[119:120], v[128:129], v[130:131], v[119:120]
	s_and_not1_b32 exec_lo, exec_lo, s2
	s_cbranch_execnz .LBB58_611
; %bb.612:
	s_or_b32 exec_lo, exec_lo, s2
.LBB58_613:
	s_delay_alu instid0(SALU_CYCLE_1)
	s_or_b32 exec_lo, exec_lo, s1
	v_mov_b32_e32 v125, 0
	ds_load_b64 v[125:126], v125 offset:32
	s_waitcnt lgkmcnt(0)
	v_mul_f64 v[119:120], v[119:120], v[125:126]
	scratch_store_b64 off, v[119:120], off offset:32
.LBB58_614:
	s_or_b32 exec_lo, exec_lo, s0
	scratch_load_b64 v[119:120], off, off offset:40
	s_mov_b32 s0, exec_lo
	s_waitcnt vmcnt(0)
	ds_store_b64 v122, v[119:120]
	s_waitcnt lgkmcnt(0)
	s_waitcnt_vscnt null, 0x0
	s_barrier
	buffer_gl0_inv
	v_cmpx_gt_u32_e32 5, v0
	s_cbranch_execz .LBB58_624
; %bb.615:
	v_cmp_ne_u32_e32 vcc_lo, 1, v124
	s_cbranch_vccnz .LBB58_617
; %bb.616:
	scratch_load_b64 v[119:120], v123, off
	ds_load_b64 v[125:126], v122
	s_waitcnt vmcnt(0) lgkmcnt(0)
	v_mul_f64 v[119:120], v[119:120], v[125:126]
	s_cbranch_execz .LBB58_618
	s_branch .LBB58_619
.LBB58_617:
                                        ; implicit-def: $vgpr119_vgpr120
.LBB58_618:
	ds_load_b64 v[119:120], v122
.LBB58_619:
	s_mov_b32 s1, exec_lo
	v_cmpx_ne_u32_e32 4, v0
	s_cbranch_execz .LBB58_623
; %bb.620:
	v_add_nc_u32_e32 v125, 0x1e8, v121
	v_add3_u32 v126, 0, v121, 8
	v_mov_b32_e32 v127, v0
	s_mov_b32 s2, 0
.LBB58_621:                             ; =>This Inner Loop Header: Depth=1
	scratch_load_b64 v[128:129], v126, off
	ds_load_b64 v[130:131], v125
	v_add_nc_u32_e32 v127, 1, v127
	v_add_nc_u32_e32 v125, 8, v125
	v_add_nc_u32_e32 v126, 8, v126
	s_delay_alu instid0(VALU_DEP_3)
	v_cmp_lt_u32_e32 vcc_lo, 3, v127
	s_or_b32 s2, vcc_lo, s2
	s_waitcnt vmcnt(0) lgkmcnt(0)
	v_fma_f64 v[119:120], v[128:129], v[130:131], v[119:120]
	s_and_not1_b32 exec_lo, exec_lo, s2
	s_cbranch_execnz .LBB58_621
; %bb.622:
	s_or_b32 exec_lo, exec_lo, s2
.LBB58_623:
	s_delay_alu instid0(SALU_CYCLE_1)
	s_or_b32 exec_lo, exec_lo, s1
	v_mov_b32_e32 v125, 0
	ds_load_b64 v[125:126], v125 offset:40
	s_waitcnt lgkmcnt(0)
	v_mul_f64 v[119:120], v[119:120], v[125:126]
	scratch_store_b64 off, v[119:120], off offset:40
.LBB58_624:
	;; [unrolled: 58-line block ×39, first 2 shown]
	s_or_b32 exec_lo, exec_lo, s0
	scratch_load_b64 v[119:120], off, off offset:344
	s_mov_b32 s0, exec_lo
	s_waitcnt vmcnt(0)
	ds_store_b64 v122, v[119:120]
	s_waitcnt lgkmcnt(0)
	s_waitcnt_vscnt null, 0x0
	s_barrier
	buffer_gl0_inv
	v_cmpx_gt_u32_e32 43, v0
	s_cbranch_execz .LBB58_1004
; %bb.995:
	v_cmp_ne_u32_e32 vcc_lo, 1, v124
	s_cbranch_vccnz .LBB58_997
; %bb.996:
	scratch_load_b64 v[119:120], v123, off
	ds_load_b64 v[125:126], v122
	s_waitcnt vmcnt(0) lgkmcnt(0)
	v_mul_f64 v[119:120], v[119:120], v[125:126]
	s_cbranch_execz .LBB58_998
	s_branch .LBB58_999
.LBB58_997:
                                        ; implicit-def: $vgpr119_vgpr120
.LBB58_998:
	ds_load_b64 v[119:120], v122
.LBB58_999:
	s_mov_b32 s1, exec_lo
	v_cmpx_ne_u32_e32 42, v0
	s_cbranch_execz .LBB58_1003
; %bb.1000:
	v_add_nc_u32_e32 v125, 0x1e8, v121
	v_add3_u32 v126, 0, v121, 8
	v_mov_b32_e32 v127, v0
	s_mov_b32 s2, 0
.LBB58_1001:                            ; =>This Inner Loop Header: Depth=1
	scratch_load_b64 v[128:129], v126, off
	ds_load_b64 v[130:131], v125
	v_add_nc_u32_e32 v127, 1, v127
	v_add_nc_u32_e32 v125, 8, v125
	v_add_nc_u32_e32 v126, 8, v126
	s_delay_alu instid0(VALU_DEP_3)
	v_cmp_lt_u32_e32 vcc_lo, 41, v127
	s_or_b32 s2, vcc_lo, s2
	s_waitcnt vmcnt(0) lgkmcnt(0)
	v_fma_f64 v[119:120], v[128:129], v[130:131], v[119:120]
	s_and_not1_b32 exec_lo, exec_lo, s2
	s_cbranch_execnz .LBB58_1001
; %bb.1002:
	s_or_b32 exec_lo, exec_lo, s2
.LBB58_1003:
	s_delay_alu instid0(SALU_CYCLE_1)
	s_or_b32 exec_lo, exec_lo, s1
	v_mov_b32_e32 v125, 0
	ds_load_b64 v[125:126], v125 offset:344
	s_waitcnt lgkmcnt(0)
	v_mul_f64 v[119:120], v[119:120], v[125:126]
	scratch_store_b64 off, v[119:120], off offset:344
.LBB58_1004:
	s_or_b32 exec_lo, exec_lo, s0
	scratch_load_b64 v[119:120], off, off offset:352
	s_mov_b32 s0, exec_lo
	s_waitcnt vmcnt(0)
	ds_store_b64 v122, v[119:120]
	s_waitcnt lgkmcnt(0)
	s_waitcnt_vscnt null, 0x0
	s_barrier
	buffer_gl0_inv
	v_cmpx_gt_u32_e32 44, v0
	s_cbranch_execz .LBB58_1014
; %bb.1005:
	v_cmp_ne_u32_e32 vcc_lo, 1, v124
	s_cbranch_vccnz .LBB58_1007
; %bb.1006:
	scratch_load_b64 v[119:120], v123, off
	ds_load_b64 v[125:126], v122
	s_waitcnt vmcnt(0) lgkmcnt(0)
	v_mul_f64 v[119:120], v[119:120], v[125:126]
	s_cbranch_execz .LBB58_1008
	s_branch .LBB58_1009
.LBB58_1007:
                                        ; implicit-def: $vgpr119_vgpr120
.LBB58_1008:
	ds_load_b64 v[119:120], v122
.LBB58_1009:
	s_mov_b32 s1, exec_lo
	v_cmpx_ne_u32_e32 43, v0
	s_cbranch_execz .LBB58_1013
; %bb.1010:
	v_add_nc_u32_e32 v125, 0x1e8, v121
	v_add3_u32 v126, 0, v121, 8
	v_mov_b32_e32 v127, v0
	s_mov_b32 s2, 0
.LBB58_1011:                            ; =>This Inner Loop Header: Depth=1
	scratch_load_b64 v[128:129], v126, off
	ds_load_b64 v[130:131], v125
	v_add_nc_u32_e32 v127, 1, v127
	v_add_nc_u32_e32 v125, 8, v125
	v_add_nc_u32_e32 v126, 8, v126
	s_delay_alu instid0(VALU_DEP_3)
	v_cmp_lt_u32_e32 vcc_lo, 42, v127
	s_or_b32 s2, vcc_lo, s2
	s_waitcnt vmcnt(0) lgkmcnt(0)
	v_fma_f64 v[119:120], v[128:129], v[130:131], v[119:120]
	s_and_not1_b32 exec_lo, exec_lo, s2
	s_cbranch_execnz .LBB58_1011
; %bb.1012:
	s_or_b32 exec_lo, exec_lo, s2
.LBB58_1013:
	s_delay_alu instid0(SALU_CYCLE_1)
	s_or_b32 exec_lo, exec_lo, s1
	v_mov_b32_e32 v125, 0
	ds_load_b64 v[125:126], v125 offset:352
	s_waitcnt lgkmcnt(0)
	v_mul_f64 v[119:120], v[119:120], v[125:126]
	scratch_store_b64 off, v[119:120], off offset:352
.LBB58_1014:
	;; [unrolled: 58-line block ×14, first 2 shown]
	s_or_b32 exec_lo, exec_lo, s0
	scratch_load_b64 v[119:120], off, off offset:456
	v_cmp_gt_u32_e64 s0, 57, v0
	s_waitcnt vmcnt(0)
	ds_store_b64 v122, v[119:120]
	s_waitcnt lgkmcnt(0)
	s_waitcnt_vscnt null, 0x0
	s_barrier
	buffer_gl0_inv
	s_and_saveexec_b32 s1, s0
	s_cbranch_execz .LBB58_1144
; %bb.1135:
	v_cmp_ne_u32_e32 vcc_lo, 1, v124
	s_cbranch_vccnz .LBB58_1137
; %bb.1136:
	scratch_load_b64 v[119:120], v123, off
	ds_load_b64 v[125:126], v122
	s_waitcnt vmcnt(0) lgkmcnt(0)
	v_mul_f64 v[119:120], v[119:120], v[125:126]
	s_cbranch_execz .LBB58_1138
	s_branch .LBB58_1139
.LBB58_1137:
                                        ; implicit-def: $vgpr119_vgpr120
.LBB58_1138:
	ds_load_b64 v[119:120], v122
.LBB58_1139:
	s_mov_b32 s2, exec_lo
	v_cmpx_ne_u32_e32 56, v0
	s_cbranch_execz .LBB58_1143
; %bb.1140:
	v_add_nc_u32_e32 v125, 0x1e8, v121
	v_add3_u32 v126, 0, v121, 8
	v_mov_b32_e32 v127, v0
	s_mov_b32 s3, 0
.LBB58_1141:                            ; =>This Inner Loop Header: Depth=1
	scratch_load_b64 v[128:129], v126, off
	ds_load_b64 v[130:131], v125
	v_add_nc_u32_e32 v127, 1, v127
	v_add_nc_u32_e32 v125, 8, v125
	;; [unrolled: 1-line block ×3, first 2 shown]
	s_delay_alu instid0(VALU_DEP_3)
	v_cmp_lt_u32_e32 vcc_lo, 55, v127
	s_or_b32 s3, vcc_lo, s3
	s_waitcnt vmcnt(0) lgkmcnt(0)
	v_fma_f64 v[119:120], v[128:129], v[130:131], v[119:120]
	s_and_not1_b32 exec_lo, exec_lo, s3
	s_cbranch_execnz .LBB58_1141
; %bb.1142:
	s_or_b32 exec_lo, exec_lo, s3
.LBB58_1143:
	s_delay_alu instid0(SALU_CYCLE_1)
	s_or_b32 exec_lo, exec_lo, s2
	v_mov_b32_e32 v125, 0
	ds_load_b64 v[125:126], v125 offset:456
	s_waitcnt lgkmcnt(0)
	v_mul_f64 v[119:120], v[119:120], v[125:126]
	scratch_store_b64 off, v[119:120], off offset:456
.LBB58_1144:
	s_or_b32 exec_lo, exec_lo, s1
	scratch_load_b64 v[119:120], off, off offset:464
	s_mov_b32 s1, exec_lo
	s_waitcnt vmcnt(0)
	ds_store_b64 v122, v[119:120]
	s_waitcnt lgkmcnt(0)
	s_waitcnt_vscnt null, 0x0
	s_barrier
	buffer_gl0_inv
	v_cmpx_ne_u32_e32 58, v0
	s_cbranch_execz .LBB58_1154
; %bb.1145:
	v_cmp_ne_u32_e32 vcc_lo, 1, v124
	s_cbranch_vccnz .LBB58_1147
; %bb.1146:
	scratch_load_b64 v[119:120], v123, off
	ds_load_b64 v[123:124], v122
	s_waitcnt vmcnt(0) lgkmcnt(0)
	v_mul_f64 v[119:120], v[119:120], v[123:124]
	s_cbranch_execz .LBB58_1148
	s_branch .LBB58_1149
.LBB58_1147:
                                        ; implicit-def: $vgpr119_vgpr120
.LBB58_1148:
	ds_load_b64 v[119:120], v122
.LBB58_1149:
	s_and_saveexec_b32 s2, s0
	s_cbranch_execz .LBB58_1153
; %bb.1150:
	v_add_nc_u32_e32 v122, 0x1e8, v121
	v_add3_u32 v121, 0, v121, 8
	s_mov_b32 s0, 0
.LBB58_1151:                            ; =>This Inner Loop Header: Depth=1
	scratch_load_b64 v[123:124], v121, off
	ds_load_b64 v[125:126], v122
	v_add_nc_u32_e32 v0, 1, v0
	v_add_nc_u32_e32 v122, 8, v122
	;; [unrolled: 1-line block ×3, first 2 shown]
	s_delay_alu instid0(VALU_DEP_3)
	v_cmp_lt_u32_e32 vcc_lo, 56, v0
	s_or_b32 s0, vcc_lo, s0
	s_waitcnt vmcnt(0) lgkmcnt(0)
	v_fma_f64 v[119:120], v[123:124], v[125:126], v[119:120]
	s_and_not1_b32 exec_lo, exec_lo, s0
	s_cbranch_execnz .LBB58_1151
; %bb.1152:
	s_or_b32 exec_lo, exec_lo, s0
.LBB58_1153:
	s_delay_alu instid0(SALU_CYCLE_1)
	s_or_b32 exec_lo, exec_lo, s2
	v_mov_b32_e32 v0, 0
	ds_load_b64 v[121:122], v0 offset:464
	s_waitcnt lgkmcnt(0)
	v_mul_f64 v[119:120], v[119:120], v[121:122]
	scratch_store_b64 off, v[119:120], off offset:464
.LBB58_1154:
	s_or_b32 exec_lo, exec_lo, s1
.LBB58_1155:
	s_clause 0xd
	scratch_load_b128 v[119:122], off, off
	scratch_load_b128 v[123:126], off, off offset:16
	scratch_load_b128 v[127:130], off, off offset:32
	;; [unrolled: 1-line block ×13, first 2 shown]
	s_waitcnt vmcnt(13)
	s_clause 0x1
	global_store_b64 v[43:44], v[119:120], off
	global_store_b64 v[39:40], v[121:122], off
	s_waitcnt vmcnt(12)
	s_clause 0x1
	global_store_b64 v[33:34], v[123:124], off
	global_store_b64 v[35:36], v[125:126], off
	;; [unrolled: 4-line block ×4, first 2 shown]
	scratch_load_b128 v[23:26], off, off offset:288
	s_waitcnt vmcnt(10)
	s_clause 0x1
	global_store_b64 v[21:22], v[135:136], off
	global_store_b64 v[15:16], v[137:138], off
	s_waitcnt vmcnt(9)
	s_clause 0x1
	global_store_b64 v[19:20], v[139:140], off
	global_store_b64 v[17:18], v[141:142], off
	;; [unrolled: 4-line block ×5, first 2 shown]
	s_clause 0xe
	scratch_load_b128 v[119:122], off, off offset:192
	scratch_load_b128 v[33:36], off, off offset:224
	;; [unrolled: 1-line block ×14, first 2 shown]
	scratch_load_b64 v[27:28], off, off offset:464
	s_waitcnt vmcnt(20)
	s_clause 0x1
	global_store_b64 v[29:30], v[155:156], off
	global_store_b64 v[37:38], v[157:158], off
	s_waitcnt vmcnt(19)
	s_clause 0x1
	global_store_b64 v[41:42], v[159:160], off
	global_store_b64 v[45:46], v[161:162], off
	;; [unrolled: 4-line block ×4, first 2 shown]
	global_store_b64 v[55:56], v[167:168], off
	global_store_b64 v[57:58], v[169:170], off
	s_waitcnt vmcnt(13)
	s_clause 0x1
	global_store_b64 v[59:60], v[33:34], off
	global_store_b64 v[61:62], v[35:36], off
	s_waitcnt vmcnt(12)
	s_clause 0x1
	;; [unrolled: 4-line block ×3, first 2 shown]
	global_store_b64 v[67:68], v[127:128], off
	global_store_b64 v[69:70], v[129:130], off
	;; [unrolled: 1-line block ×6, first 2 shown]
	s_waitcnt vmcnt(10)
	s_clause 0x1
	global_store_b64 v[79:80], v[131:132], off
	global_store_b64 v[81:82], v[133:134], off
	s_waitcnt vmcnt(9)
	s_clause 0x1
	global_store_b64 v[83:84], v[135:136], off
	global_store_b64 v[85:86], v[137:138], off
	;; [unrolled: 4-line block ×10, first 2 shown]
	s_waitcnt vmcnt(0)
	global_store_b64 v[9:10], v[27:28], off
.LBB58_1156:
	s_endpgm
	.section	.rodata,"a",@progbits
	.p2align	6, 0x0
	.amdhsa_kernel _ZN9rocsolver6v33100L18trti2_kernel_smallILi59EdPdEEv13rocblas_fill_17rocblas_diagonal_T1_iil
		.amdhsa_group_segment_fixed_size 952
		.amdhsa_private_segment_fixed_size 480
		.amdhsa_kernarg_size 32
		.amdhsa_user_sgpr_count 15
		.amdhsa_user_sgpr_dispatch_ptr 0
		.amdhsa_user_sgpr_queue_ptr 0
		.amdhsa_user_sgpr_kernarg_segment_ptr 1
		.amdhsa_user_sgpr_dispatch_id 0
		.amdhsa_user_sgpr_private_segment_size 0
		.amdhsa_wavefront_size32 1
		.amdhsa_uses_dynamic_stack 0
		.amdhsa_enable_private_segment 1
		.amdhsa_system_sgpr_workgroup_id_x 1
		.amdhsa_system_sgpr_workgroup_id_y 0
		.amdhsa_system_sgpr_workgroup_id_z 0
		.amdhsa_system_sgpr_workgroup_info 0
		.amdhsa_system_vgpr_workitem_id 0
		.amdhsa_next_free_vgpr 175
		.amdhsa_next_free_sgpr 27
		.amdhsa_reserve_vcc 1
		.amdhsa_float_round_mode_32 0
		.amdhsa_float_round_mode_16_64 0
		.amdhsa_float_denorm_mode_32 3
		.amdhsa_float_denorm_mode_16_64 3
		.amdhsa_dx10_clamp 1
		.amdhsa_ieee_mode 1
		.amdhsa_fp16_overflow 0
		.amdhsa_workgroup_processor_mode 1
		.amdhsa_memory_ordered 1
		.amdhsa_forward_progress 0
		.amdhsa_shared_vgpr_count 0
		.amdhsa_exception_fp_ieee_invalid_op 0
		.amdhsa_exception_fp_denorm_src 0
		.amdhsa_exception_fp_ieee_div_zero 0
		.amdhsa_exception_fp_ieee_overflow 0
		.amdhsa_exception_fp_ieee_underflow 0
		.amdhsa_exception_fp_ieee_inexact 0
		.amdhsa_exception_int_div_zero 0
	.end_amdhsa_kernel
	.section	.text._ZN9rocsolver6v33100L18trti2_kernel_smallILi59EdPdEEv13rocblas_fill_17rocblas_diagonal_T1_iil,"axG",@progbits,_ZN9rocsolver6v33100L18trti2_kernel_smallILi59EdPdEEv13rocblas_fill_17rocblas_diagonal_T1_iil,comdat
.Lfunc_end58:
	.size	_ZN9rocsolver6v33100L18trti2_kernel_smallILi59EdPdEEv13rocblas_fill_17rocblas_diagonal_T1_iil, .Lfunc_end58-_ZN9rocsolver6v33100L18trti2_kernel_smallILi59EdPdEEv13rocblas_fill_17rocblas_diagonal_T1_iil
                                        ; -- End function
	.section	.AMDGPU.csdata,"",@progbits
; Kernel info:
; codeLenInByte = 32360
; NumSgprs: 29
; NumVgprs: 175
; ScratchSize: 480
; MemoryBound: 0
; FloatMode: 240
; IeeeMode: 1
; LDSByteSize: 952 bytes/workgroup (compile time only)
; SGPRBlocks: 3
; VGPRBlocks: 21
; NumSGPRsForWavesPerEU: 29
; NumVGPRsForWavesPerEU: 175
; Occupancy: 8
; WaveLimiterHint : 0
; COMPUTE_PGM_RSRC2:SCRATCH_EN: 1
; COMPUTE_PGM_RSRC2:USER_SGPR: 15
; COMPUTE_PGM_RSRC2:TRAP_HANDLER: 0
; COMPUTE_PGM_RSRC2:TGID_X_EN: 1
; COMPUTE_PGM_RSRC2:TGID_Y_EN: 0
; COMPUTE_PGM_RSRC2:TGID_Z_EN: 0
; COMPUTE_PGM_RSRC2:TIDIG_COMP_CNT: 0
	.section	.text._ZN9rocsolver6v33100L18trti2_kernel_smallILi60EdPdEEv13rocblas_fill_17rocblas_diagonal_T1_iil,"axG",@progbits,_ZN9rocsolver6v33100L18trti2_kernel_smallILi60EdPdEEv13rocblas_fill_17rocblas_diagonal_T1_iil,comdat
	.globl	_ZN9rocsolver6v33100L18trti2_kernel_smallILi60EdPdEEv13rocblas_fill_17rocblas_diagonal_T1_iil ; -- Begin function _ZN9rocsolver6v33100L18trti2_kernel_smallILi60EdPdEEv13rocblas_fill_17rocblas_diagonal_T1_iil
	.p2align	8
	.type	_ZN9rocsolver6v33100L18trti2_kernel_smallILi60EdPdEEv13rocblas_fill_17rocblas_diagonal_T1_iil,@function
_ZN9rocsolver6v33100L18trti2_kernel_smallILi60EdPdEEv13rocblas_fill_17rocblas_diagonal_T1_iil: ; @_ZN9rocsolver6v33100L18trti2_kernel_smallILi60EdPdEEv13rocblas_fill_17rocblas_diagonal_T1_iil
; %bb.0:
	s_mov_b32 s2, exec_lo
	v_cmpx_gt_u32_e32 60, v0
	s_cbranch_execz .LBB59_1176
; %bb.1:
	s_load_b256 s[0:7], s[0:1], 0x0
	s_ashr_i32 s8, s15, 31
	v_lshlrev_b32_e32 v123, 3, v0
	s_waitcnt lgkmcnt(0)
	s_mul_i32 s7, s15, s7
	s_mul_hi_u32 s10, s15, s6
	s_mul_i32 s11, s8, s6
	s_add_i32 s7, s10, s7
	s_mul_i32 s6, s15, s6
	s_add_i32 s7, s7, s11
	s_ashr_i32 s9, s4, 31
	s_lshl_b64 s[6:7], s[6:7], 3
	s_mov_b32 s8, s4
	v_add3_u32 v1, s5, s5, v0
	s_add_u32 s4, s2, s6
	s_addc_u32 s6, s3, s7
	s_lshl_b64 s[2:3], s[8:9], 3
	s_mov_b32 s10, s5
	s_add_u32 s2, s4, s2
	v_add_nc_u32_e32 v3, s5, v1
	s_addc_u32 s3, s6, s3
	v_add_co_u32 v27, s4, s2, v123
	s_ashr_i32 s11, s5, 31
	v_ashrrev_i32_e32 v2, 31, v1
	v_add_co_ci_u32_e64 v28, null, s3, 0, s4
	s_lshl_b64 s[6:7], s[10:11], 3
	v_ashrrev_i32_e32 v4, 31, v3
	v_add_co_u32 v15, vcc_lo, v27, s6
	s_delay_alu instid0(VALU_DEP_3)
	v_add_co_ci_u32_e32 v16, vcc_lo, s7, v28, vcc_lo
	v_lshlrev_b64 v[1:2], 3, v[1:2]
	v_add_nc_u32_e32 v5, s5, v3
	v_lshlrev_b64 v[3:4], 3, v[3:4]
	s_clause 0x1
	global_load_b64 v[11:12], v123, s[2:3]
	global_load_b64 v[13:14], v[15:16], off
	s_cmpk_lg_i32 s1, 0x84
	v_add_co_u32 v9, vcc_lo, s2, v1
	v_add_co_ci_u32_e32 v10, vcc_lo, s3, v2, vcc_lo
	v_add_co_u32 v3, vcc_lo, s2, v3
	v_add_co_ci_u32_e32 v4, vcc_lo, s3, v4, vcc_lo
	s_clause 0x1
	global_load_b64 v[51:52], v[9:10], off
	global_load_b64 v[53:54], v[3:4], off
	v_add_nc_u32_e32 v7, s5, v5
	v_ashrrev_i32_e32 v6, 31, v5
	s_delay_alu instid0(VALU_DEP_2) | instskip(NEXT) | instid1(VALU_DEP_2)
	v_add_nc_u32_e32 v1, s5, v7
	v_lshlrev_b64 v[5:6], 3, v[5:6]
	v_ashrrev_i32_e32 v8, 31, v7
	s_delay_alu instid0(VALU_DEP_3) | instskip(SKIP_1) | instid1(VALU_DEP_4)
	v_add_nc_u32_e32 v17, s5, v1
	v_ashrrev_i32_e32 v2, 31, v1
	v_add_co_u32 v49, vcc_lo, s2, v5
	v_add_co_ci_u32_e32 v50, vcc_lo, s3, v6, vcc_lo
	s_delay_alu instid0(VALU_DEP_4)
	v_add_nc_u32_e32 v19, s5, v17
	v_lshlrev_b64 v[5:6], 3, v[7:8]
	v_lshlrev_b64 v[1:2], 3, v[1:2]
	v_ashrrev_i32_e32 v18, 31, v17
	global_load_b64 v[55:56], v[49:50], off
	v_add_nc_u32_e32 v21, s5, v19
	v_ashrrev_i32_e32 v20, 31, v19
	v_add_co_u32 v47, vcc_lo, s2, v5
	v_add_co_ci_u32_e32 v48, vcc_lo, s3, v6, vcc_lo
	s_delay_alu instid0(VALU_DEP_4)
	v_add_nc_u32_e32 v23, s5, v21
	v_lshlrev_b64 v[5:6], 3, v[17:18]
	v_add_co_u32 v39, vcc_lo, s2, v1
	global_load_b64 v[57:58], v[47:48], off
	v_add_nc_u32_e32 v25, s5, v23
	v_add_co_ci_u32_e32 v40, vcc_lo, s3, v2, vcc_lo
	v_lshlrev_b64 v[1:2], 3, v[19:20]
	v_ashrrev_i32_e32 v22, 31, v21
	s_delay_alu instid0(VALU_DEP_4) | instskip(SKIP_3) | instid1(VALU_DEP_4)
	v_add_nc_u32_e32 v29, s5, v25
	v_add_co_u32 v45, vcc_lo, s2, v5
	v_ashrrev_i32_e32 v24, 31, v23
	v_add_co_ci_u32_e32 v46, vcc_lo, s3, v6, vcc_lo
	v_add_nc_u32_e32 v37, s5, v29
	v_lshlrev_b64 v[5:6], 3, v[21:22]
	v_add_co_u32 v41, vcc_lo, s2, v1
	v_add_co_ci_u32_e32 v42, vcc_lo, s3, v2, vcc_lo
	s_delay_alu instid0(VALU_DEP_4) | instskip(SKIP_3) | instid1(VALU_DEP_4)
	v_add_nc_u32_e32 v43, s5, v37
	v_lshlrev_b64 v[1:2], 3, v[23:24]
	v_ashrrev_i32_e32 v26, 31, v25
	v_add_co_u32 v33, vcc_lo, s2, v5
	v_add_nc_u32_e32 v73, s5, v43
	v_ashrrev_i32_e32 v30, 31, v29
	v_add_co_ci_u32_e32 v34, vcc_lo, s3, v6, vcc_lo
	v_lshlrev_b64 v[5:6], 3, v[25:26]
	s_delay_alu instid0(VALU_DEP_4) | instskip(SKIP_2) | instid1(VALU_DEP_3)
	v_add_nc_u32_e32 v75, s5, v73
	v_add_co_u32 v35, vcc_lo, s2, v1
	v_add_co_ci_u32_e32 v36, vcc_lo, s3, v2, vcc_lo
	v_add_nc_u32_e32 v77, s5, v75
	v_lshlrev_b64 v[1:2], 3, v[29:30]
	v_ashrrev_i32_e32 v38, 31, v37
	s_clause 0x1
	global_load_b64 v[59:60], v[39:40], off
	global_load_b64 v[61:62], v[45:46], off
	v_add_co_u32 v31, vcc_lo, s2, v5
	v_add_nc_u32_e32 v83, s5, v77
	v_ashrrev_i32_e32 v44, 31, v43
	v_add_co_ci_u32_e32 v32, vcc_lo, s3, v6, vcc_lo
	v_lshlrev_b64 v[5:6], 3, v[37:38]
	s_delay_alu instid0(VALU_DEP_4)
	v_add_nc_u32_e32 v85, s5, v83
	v_add_co_u32 v29, vcc_lo, s2, v1
	s_clause 0x1
	global_load_b64 v[63:64], v[41:42], off
	global_load_b64 v[65:66], v[33:34], off
	v_add_nc_u32_e32 v87, s5, v85
	v_add_co_ci_u32_e32 v30, vcc_lo, s3, v2, vcc_lo
	v_lshlrev_b64 v[1:2], 3, v[43:44]
	v_ashrrev_i32_e32 v74, 31, v73
	s_delay_alu instid0(VALU_DEP_4)
	v_add_nc_u32_e32 v89, s5, v87
	v_add_co_u32 v23, vcc_lo, s2, v5
	v_ashrrev_i32_e32 v76, 31, v75
	s_clause 0x1
	global_load_b64 v[67:68], v[35:36], off
	global_load_b64 v[69:70], v[31:32], off
	v_add_nc_u32_e32 v91, s5, v89
	v_add_co_ci_u32_e32 v24, vcc_lo, s3, v6, vcc_lo
	v_lshlrev_b64 v[5:6], 3, v[73:74]
	v_add_co_u32 v25, vcc_lo, s2, v1
	s_delay_alu instid0(VALU_DEP_4) | instskip(SKIP_3) | instid1(VALU_DEP_4)
	v_add_nc_u32_e32 v93, s5, v91
	v_add_co_ci_u32_e32 v26, vcc_lo, s3, v2, vcc_lo
	v_lshlrev_b64 v[1:2], 3, v[75:76]
	v_ashrrev_i32_e32 v78, 31, v77
	v_add_nc_u32_e32 v95, s5, v93
	s_clause 0x1
	global_load_b64 v[71:72], v[29:30], off
	global_load_b64 v[73:74], v[23:24], off
	v_add_co_u32 v21, vcc_lo, s2, v5
	v_add_nc_u32_e32 v97, s5, v95
	v_add_co_ci_u32_e32 v22, vcc_lo, s3, v6, vcc_lo
	v_lshlrev_b64 v[5:6], 3, v[77:78]
	v_add_co_u32 v17, vcc_lo, s2, v1
	s_delay_alu instid0(VALU_DEP_4) | instskip(SKIP_3) | instid1(VALU_DEP_4)
	v_add_nc_u32_e32 v99, s5, v97
	v_ashrrev_i32_e32 v84, 31, v83
	v_add_co_ci_u32_e32 v18, vcc_lo, s3, v2, vcc_lo
	v_add_co_u32 v5, vcc_lo, s2, v5
	v_add_nc_u32_e32 v101, s5, v99
	s_delay_alu instid0(VALU_DEP_4) | instskip(SKIP_2) | instid1(VALU_DEP_4)
	v_lshlrev_b64 v[7:8], 3, v[83:84]
	v_ashrrev_i32_e32 v86, 31, v85
	v_add_co_ci_u32_e32 v6, vcc_lo, s3, v6, vcc_lo
	v_add_nc_u32_e32 v103, s5, v101
	s_clause 0x3
	global_load_b64 v[75:76], v[25:26], off
	global_load_b64 v[77:78], v[21:22], off
	global_load_b64 v[79:80], v[17:18], off
	global_load_b64 v[81:82], v[5:6], off
	v_ashrrev_i32_e32 v88, 31, v87
	v_lshlrev_b64 v[37:38], 3, v[85:86]
	v_add_co_u32 v19, vcc_lo, s2, v7
	v_add_nc_u32_e32 v105, s5, v103
	v_ashrrev_i32_e32 v90, 31, v89
	v_add_co_ci_u32_e32 v20, vcc_lo, s3, v8, vcc_lo
	v_lshlrev_b64 v[43:44], 3, v[87:88]
	s_delay_alu instid0(VALU_DEP_4)
	v_add_nc_u32_e32 v107, s5, v105
	v_ashrrev_i32_e32 v92, 31, v91
	v_ashrrev_i32_e32 v94, 31, v93
	;; [unrolled: 1-line block ×4, first 2 shown]
	v_add_nc_u32_e32 v109, s5, v107
	v_ashrrev_i32_e32 v100, 31, v99
	v_ashrrev_i32_e32 v102, 31, v101
	;; [unrolled: 1-line block ×4, first 2 shown]
	v_add_nc_u32_e32 v111, s5, v109
	v_ashrrev_i32_e32 v108, 31, v107
	v_ashrrev_i32_e32 v110, 31, v109
	s_delay_alu instid0(VALU_DEP_3) | instskip(SKIP_1) | instid1(VALU_DEP_2)
	v_add_nc_u32_e32 v113, s5, v111
	v_ashrrev_i32_e32 v112, 31, v111
	v_add_nc_u32_e32 v115, s5, v113
	v_ashrrev_i32_e32 v114, 31, v113
	s_delay_alu instid0(VALU_DEP_2) | instskip(SKIP_1) | instid1(VALU_DEP_2)
	v_add_nc_u32_e32 v117, s5, v115
	v_ashrrev_i32_e32 v116, 31, v115
	v_add_nc_u32_e32 v119, s5, v117
	v_ashrrev_i32_e32 v118, 31, v117
	s_delay_alu instid0(VALU_DEP_2) | instskip(SKIP_1) | instid1(VALU_DEP_2)
	v_add_nc_u32_e32 v121, s5, v119
	v_ashrrev_i32_e32 v120, 31, v119
	v_add_nc_u32_e32 v124, s5, v121
	v_ashrrev_i32_e32 v122, 31, v121
	s_delay_alu instid0(VALU_DEP_2) | instskip(NEXT) | instid1(VALU_DEP_1)
	v_add_nc_u32_e32 v130, s5, v124
	v_add_nc_u32_e32 v136, s5, v130
	v_ashrrev_i32_e32 v131, 31, v130
	s_delay_alu instid0(VALU_DEP_2) | instskip(SKIP_1) | instid1(VALU_DEP_2)
	v_add_nc_u32_e32 v138, s5, v136
	v_ashrrev_i32_e32 v137, 31, v136
	v_add_nc_u32_e32 v140, s5, v138
	v_ashrrev_i32_e32 v139, 31, v138
	s_delay_alu instid0(VALU_DEP_2) | instskip(SKIP_1) | instid1(VALU_DEP_2)
	v_add_nc_u32_e32 v142, s5, v140
	v_ashrrev_i32_e32 v141, 31, v140
	;; [unrolled: 5-line block ×10, first 2 shown]
	v_ashrrev_i32_e32 v2, 31, v1
	s_delay_alu instid0(VALU_DEP_1) | instskip(NEXT) | instid1(VALU_DEP_1)
	v_lshlrev_b64 v[1:2], 3, v[1:2]
	v_add_co_u32 v1, vcc_lo, s2, v1
	s_delay_alu instid0(VALU_DEP_2)
	v_add_co_ci_u32_e32 v2, vcc_lo, s3, v2, vcc_lo
	v_add_co_u32 v7, vcc_lo, s2, v37
	v_add_co_ci_u32_e32 v8, vcc_lo, s3, v38, vcc_lo
	global_load_b64 v[126:127], v[1:2], off
	v_lshlrev_b64 v[37:38], 3, v[91:92]
	s_waitcnt vmcnt(17)
	scratch_store_b128 off, v[11:14], off
	v_lshlrev_b64 v[13:14], 3, v[89:90]
	v_add_co_u32 v11, vcc_lo, s2, v43
	v_add_co_ci_u32_e32 v12, vcc_lo, s3, v44, vcc_lo
	s_clause 0x1
	global_load_b64 v[83:84], v[19:20], off
	global_load_b64 v[85:86], v[7:8], off
	v_add_co_u32 v13, vcc_lo, s2, v13
	v_add_co_ci_u32_e32 v14, vcc_lo, s3, v14, vcc_lo
	v_lshlrev_b64 v[43:44], 3, v[93:94]
	v_add_co_u32 v37, vcc_lo, s2, v37
	s_waitcnt vmcnt(17)
	scratch_store_b128 off, v[51:54], off offset:16
	s_clause 0x1
	global_load_b64 v[87:88], v[11:12], off
	global_load_b64 v[89:90], v[13:14], off
	v_lshlrev_b64 v[51:52], 3, v[95:96]
	v_add_co_ci_u32_e32 v38, vcc_lo, s3, v38, vcc_lo
	v_add_co_u32 v43, vcc_lo, s2, v43
	v_lshlrev_b64 v[53:54], 3, v[97:98]
	v_add_co_ci_u32_e32 v44, vcc_lo, s3, v44, vcc_lo
	v_add_co_u32 v51, vcc_lo, s2, v51
	v_add_co_ci_u32_e32 v52, vcc_lo, s3, v52, vcc_lo
	s_delay_alu instid0(VALU_DEP_4)
	v_add_co_u32 v53, vcc_lo, s2, v53
	v_add_co_ci_u32_e32 v54, vcc_lo, s3, v54, vcc_lo
	s_waitcnt vmcnt(17)
	scratch_store_b128 off, v[55:58], off offset:32
	v_lshlrev_b64 v[55:56], 3, v[99:100]
	v_lshlrev_b64 v[57:58], 3, v[101:102]
	s_clause 0x2
	global_load_b64 v[91:92], v[37:38], off
	global_load_b64 v[93:94], v[43:44], off
	;; [unrolled: 1-line block ×3, first 2 shown]
	v_add_co_u32 v55, vcc_lo, s2, v55
	v_add_co_ci_u32_e32 v56, vcc_lo, s3, v56, vcc_lo
	v_add_co_u32 v57, vcc_lo, s2, v57
	v_add_co_ci_u32_e32 v58, vcc_lo, s3, v58, vcc_lo
	s_waitcnt vmcnt(18)
	scratch_store_b128 off, v[59:62], off offset:48
	v_lshlrev_b64 v[59:60], 3, v[103:104]
	v_lshlrev_b64 v[61:62], 3, v[105:106]
	s_delay_alu instid0(VALU_DEP_2) | instskip(NEXT) | instid1(VALU_DEP_3)
	v_add_co_u32 v59, vcc_lo, s2, v59
	v_add_co_ci_u32_e32 v60, vcc_lo, s3, v60, vcc_lo
	s_delay_alu instid0(VALU_DEP_3)
	v_add_co_u32 v61, vcc_lo, s2, v61
	s_waitcnt vmcnt(16)
	scratch_store_b128 off, v[63:66], off offset:64
	v_lshlrev_b64 v[63:64], 3, v[107:108]
	s_clause 0x2
	global_load_b64 v[97:98], v[53:54], off
	global_load_b64 v[99:100], v[55:56], off
	;; [unrolled: 1-line block ×3, first 2 shown]
	v_lshlrev_b64 v[65:66], 3, v[109:110]
	v_add_co_ci_u32_e32 v62, vcc_lo, s3, v62, vcc_lo
	global_load_b64 v[103:104], v[59:60], off
	v_add_co_u32 v63, vcc_lo, s2, v63
	s_waitcnt vmcnt(18)
	scratch_store_b128 off, v[67:70], off offset:80
	v_lshlrev_b64 v[67:68], 3, v[111:112]
	v_add_co_ci_u32_e32 v64, vcc_lo, s3, v64, vcc_lo
	v_add_co_u32 v65, vcc_lo, s2, v65
	v_lshlrev_b64 v[69:70], 3, v[113:114]
	v_add_co_ci_u32_e32 v66, vcc_lo, s3, v66, vcc_lo
	v_add_co_u32 v67, vcc_lo, s2, v67
	v_add_co_ci_u32_e32 v68, vcc_lo, s3, v68, vcc_lo
	s_delay_alu instid0(VALU_DEP_4)
	v_add_co_u32 v69, vcc_lo, s2, v69
	s_waitcnt vmcnt(16)
	scratch_store_b128 off, v[71:74], off offset:96
	v_lshlrev_b64 v[71:72], 3, v[115:116]
	s_clause 0x2
	global_load_b64 v[105:106], v[61:62], off
	global_load_b64 v[107:108], v[63:64], off
	;; [unrolled: 1-line block ×3, first 2 shown]
	v_lshlrev_b64 v[73:74], 3, v[117:118]
	v_add_co_ci_u32_e32 v70, vcc_lo, s3, v70, vcc_lo
	global_load_b64 v[111:112], v[67:68], off
	v_add_co_u32 v71, vcc_lo, s2, v71
	v_add_co_ci_u32_e32 v72, vcc_lo, s3, v72, vcc_lo
	v_add_co_u32 v73, vcc_lo, s2, v73
	v_add_co_ci_u32_e32 v74, vcc_lo, s3, v74, vcc_lo
	s_waitcnt vmcnt(18)
	scratch_store_b128 off, v[75:78], off offset:112
	v_lshlrev_b64 v[75:76], 3, v[119:120]
	s_waitcnt vmcnt(16)
	scratch_store_b128 off, v[79:82], off offset:128
	s_clause 0x2
	global_load_b64 v[113:114], v[69:70], off
	global_load_b64 v[115:116], v[71:72], off
	;; [unrolled: 1-line block ×3, first 2 shown]
	v_lshlrev_b64 v[77:78], 3, v[121:122]
	v_mov_b32_e32 v121, 0
	v_ashrrev_i32_e32 v125, 31, v124
	v_add_co_u32 v75, vcc_lo, s2, v75
	v_add_co_ci_u32_e32 v76, vcc_lo, s3, v76, vcc_lo
	s_delay_alu instid0(VALU_DEP_3) | instskip(SKIP_3) | instid1(VALU_DEP_4)
	v_lshlrev_b64 v[79:80], 3, v[124:125]
	v_add_co_u32 v77, vcc_lo, s2, v77
	v_lshlrev_b64 v[81:82], 3, v[130:131]
	v_add_co_ci_u32_e32 v78, vcc_lo, s3, v78, vcc_lo
	v_add_co_u32 v79, vcc_lo, s2, v79
	v_add_co_ci_u32_e32 v80, vcc_lo, s3, v80, vcc_lo
	s_delay_alu instid0(VALU_DEP_4)
	v_add_co_u32 v81, vcc_lo, s2, v81
	v_add_co_ci_u32_e32 v82, vcc_lo, s3, v82, vcc_lo
	s_clause 0x1
	global_load_b64 v[128:129], v[75:76], off
	global_load_b64 v[130:131], v[77:78], off
	v_lshlrev_b64 v[119:120], 3, v[148:149]
	v_mov_b32_e32 v122, 0xbff00000
	s_waitcnt vmcnt(18)
	scratch_store_b128 off, v[83:86], off offset:144
	v_lshlrev_b64 v[83:84], 3, v[136:137]
	v_lshlrev_b64 v[85:86], 3, v[138:139]
	s_delay_alu instid0(VALU_DEP_2)
	v_add_co_u32 v83, vcc_lo, s2, v83
	s_waitcnt vmcnt(16)
	scratch_store_b128 off, v[87:90], off offset:160
	s_clause 0x1
	global_load_b64 v[132:133], v[79:80], off
	global_load_b64 v[134:135], v[81:82], off
	v_lshlrev_b64 v[87:88], 3, v[140:141]
	v_add_co_ci_u32_e32 v84, vcc_lo, s3, v84, vcc_lo
	v_add_co_u32 v85, vcc_lo, s2, v85
	v_lshlrev_b64 v[89:90], 3, v[142:143]
	v_add_co_ci_u32_e32 v86, vcc_lo, s3, v86, vcc_lo
	v_add_co_u32 v87, vcc_lo, s2, v87
	v_add_co_ci_u32_e32 v88, vcc_lo, s3, v88, vcc_lo
	s_delay_alu instid0(VALU_DEP_4)
	v_add_co_u32 v89, vcc_lo, s2, v89
	v_add_co_ci_u32_e32 v90, vcc_lo, s3, v90, vcc_lo
	global_load_b64 v[136:137], v[83:84], off
	s_waitcnt vmcnt(17)
	scratch_store_b128 off, v[91:94], off offset:176
	v_lshlrev_b64 v[91:92], 3, v[144:145]
	v_lshlrev_b64 v[93:94], 3, v[146:147]
	s_waitcnt vmcnt(15)
	scratch_store_b128 off, v[95:98], off offset:192
	s_waitcnt vmcnt(13)
	scratch_store_b128 off, v[99:102], off offset:208
	v_add_co_u32 v91, vcc_lo, s2, v91
	v_add_co_ci_u32_e32 v92, vcc_lo, s3, v92, vcc_lo
	v_add_co_u32 v93, vcc_lo, s2, v93
	v_lshlrev_b64 v[97:98], 3, v[150:151]
	v_add_co_ci_u32_e32 v94, vcc_lo, s3, v94, vcc_lo
	v_add_co_u32 v95, vcc_lo, s2, v119
	v_lshlrev_b64 v[99:100], 3, v[152:153]
	v_add_co_ci_u32_e32 v96, vcc_lo, s3, v120, vcc_lo
	v_add_co_u32 v97, vcc_lo, s2, v97
	v_lshlrev_b64 v[101:102], 3, v[154:155]
	v_add_co_ci_u32_e32 v98, vcc_lo, s3, v98, vcc_lo
	v_add_co_u32 v99, vcc_lo, s2, v99
	v_lshlrev_b64 v[119:120], 3, v[156:157]
	v_add_co_ci_u32_e32 v100, vcc_lo, s3, v100, vcc_lo
	s_clause 0x3
	global_load_b64 v[138:139], v[85:86], off
	global_load_b64 v[140:141], v[87:88], off
	;; [unrolled: 1-line block ×4, first 2 shown]
	s_waitcnt vmcnt(15)
	scratch_store_b128 off, v[103:106], off offset:224
	s_waitcnt vmcnt(13)
	scratch_store_b128 off, v[107:110], off offset:240
	v_add_co_u32 v101, vcc_lo, s2, v101
	v_lshlrev_b64 v[105:106], 3, v[158:159]
	v_add_co_ci_u32_e32 v102, vcc_lo, s3, v102, vcc_lo
	v_add_co_u32 v103, vcc_lo, s2, v119
	v_lshlrev_b64 v[107:108], 3, v[160:161]
	v_add_co_ci_u32_e32 v104, vcc_lo, s3, v120, vcc_lo
	v_add_co_u32 v105, vcc_lo, s2, v105
	v_lshlrev_b64 v[109:110], 3, v[162:163]
	v_add_co_ci_u32_e32 v106, vcc_lo, s3, v106, vcc_lo
	v_add_co_u32 v107, vcc_lo, s2, v107
	v_lshlrev_b64 v[119:120], 3, v[164:165]
	v_add_co_ci_u32_e32 v108, vcc_lo, s3, v108, vcc_lo
	s_clause 0x3
	global_load_b64 v[146:147], v[93:94], off
	global_load_b64 v[148:149], v[95:96], off
	;; [unrolled: 1-line block ×4, first 2 shown]
	s_waitcnt vmcnt(15)
	scratch_store_b128 off, v[111:114], off offset:256
	s_waitcnt vmcnt(13)
	scratch_store_b128 off, v[115:118], off offset:272
	v_add_co_u32 v109, vcc_lo, s2, v109
	v_lshlrev_b64 v[113:114], 3, v[166:167]
	v_add_co_ci_u32_e32 v110, vcc_lo, s3, v110, vcc_lo
	v_add_co_u32 v111, vcc_lo, s2, v119
	v_lshlrev_b64 v[115:116], 3, v[168:169]
	v_add_co_ci_u32_e32 v112, vcc_lo, s3, v120, vcc_lo
	v_add_co_u32 v113, vcc_lo, s2, v113
	v_add_co_ci_u32_e32 v114, vcc_lo, s3, v114, vcc_lo
	v_lshlrev_b64 v[119:120], 3, v[170:171]
	v_add_co_u32 v117, vcc_lo, s2, v115
	v_add_co_ci_u32_e32 v118, vcc_lo, s3, v116, vcc_lo
	v_lshlrev_b64 v[115:116], 3, v[172:173]
	s_delay_alu instid0(VALU_DEP_4)
	v_add_co_u32 v119, vcc_lo, s2, v119
	v_add_co_ci_u32_e32 v120, vcc_lo, s3, v120, vcc_lo
	s_clause 0x3
	global_load_b64 v[154:155], v[101:102], off
	global_load_b64 v[156:157], v[103:104], off
	;; [unrolled: 1-line block ×4, first 2 shown]
	v_add_co_u32 v115, vcc_lo, s2, v115
	v_add_co_ci_u32_e32 v116, vcc_lo, s3, v116, vcc_lo
	s_waitcnt vmcnt(15)
	scratch_store_b128 off, v[128:131], off offset:288
	s_clause 0x2
	global_load_b64 v[162:163], v[109:110], off
	global_load_b64 v[128:129], v[111:112], off
	;; [unrolled: 1-line block ×3, first 2 shown]
	s_cselect_b32 s2, -1, 0
	s_cmpk_eq_i32 s1, 0x84
	s_waitcnt vmcnt(16)
	scratch_store_b128 off, v[132:135], off offset:304
	s_clause 0x2
	global_load_b64 v[132:133], v[117:118], off
	global_load_b64 v[134:135], v[119:120], off
	;; [unrolled: 1-line block ×3, first 2 shown]
	s_waitcnt vmcnt(17)
	scratch_store_b128 off, v[136:139], off offset:320
	s_waitcnt vmcnt(15)
	scratch_store_b128 off, v[140:143], off offset:336
	;; [unrolled: 2-line block ×10, first 2 shown]
	s_cbranch_scc1 .LBB59_3
; %bb.2:
	scratch_load_b64 v[121:122], v123, off
	s_waitcnt vmcnt(0)
	v_div_scale_f64 v[124:125], null, v[121:122], v[121:122], 1.0
	v_div_scale_f64 v[130:131], vcc_lo, 1.0, v[121:122], 1.0
	s_delay_alu instid0(VALU_DEP_2) | instskip(SKIP_2) | instid1(VALU_DEP_1)
	v_rcp_f64_e32 v[126:127], v[124:125]
	s_waitcnt_depctr 0xfff
	v_fma_f64 v[128:129], -v[124:125], v[126:127], 1.0
	v_fma_f64 v[126:127], v[126:127], v[128:129], v[126:127]
	s_delay_alu instid0(VALU_DEP_1) | instskip(NEXT) | instid1(VALU_DEP_1)
	v_fma_f64 v[128:129], -v[124:125], v[126:127], 1.0
	v_fma_f64 v[126:127], v[126:127], v[128:129], v[126:127]
	s_delay_alu instid0(VALU_DEP_1) | instskip(NEXT) | instid1(VALU_DEP_1)
	v_mul_f64 v[128:129], v[130:131], v[126:127]
	v_fma_f64 v[124:125], -v[124:125], v[128:129], v[130:131]
	s_delay_alu instid0(VALU_DEP_1) | instskip(NEXT) | instid1(VALU_DEP_1)
	v_div_fmas_f64 v[124:125], v[124:125], v[126:127], v[128:129]
	v_div_fixup_f64 v[121:122], v[124:125], v[121:122], 1.0
	scratch_store_b64 v123, v[121:122], off
	v_xor_b32_e32 v122, 0x80000000, v122
.LBB59_3:
	v_add_nc_u32_e32 v124, 0x1e0, v123
	v_add_nc_u32_e32 v125, 0, v123
	s_cmpk_eq_i32 s0, 0x79
	s_mov_b32 s0, -1
	ds_store_b64 v123, v[121:122]
	s_cbranch_scc1 .LBB59_589
; %bb.4:
	scratch_load_b64 v[121:122], off, off offset:464
	v_cmp_eq_u32_e64 s0, 59, v0
	s_movk_i32 s1, 0x50
	s_movk_i32 s3, 0x60
	;; [unrolled: 1-line block ×24, first 2 shown]
	s_waitcnt vmcnt(0)
	ds_store_b64 v124, v[121:122]
	s_waitcnt lgkmcnt(0)
	s_waitcnt_vscnt null, 0x0
	s_barrier
	buffer_gl0_inv
	s_and_saveexec_b32 s26, s0
	s_cbranch_execz .LBB59_10
; %bb.5:
	s_and_b32 vcc_lo, exec_lo, s2
	s_cbranch_vccz .LBB59_7
; %bb.6:
	scratch_load_b64 v[121:122], v125, off
	ds_load_b64 v[126:127], v124
	s_waitcnt vmcnt(0) lgkmcnt(0)
	v_mul_f64 v[121:122], v[121:122], v[126:127]
	s_cbranch_execz .LBB59_8
	s_branch .LBB59_9
.LBB59_7:
                                        ; implicit-def: $vgpr121_vgpr122
.LBB59_8:
	ds_load_b64 v[121:122], v124
.LBB59_9:
	v_mov_b32_e32 v126, 0
	ds_load_b64 v[126:127], v126 offset:464
	s_waitcnt lgkmcnt(0)
	v_mul_f64 v[121:122], v[121:122], v[126:127]
	scratch_store_b64 off, v[121:122], off offset:464
.LBB59_10:
	s_or_b32 exec_lo, exec_lo, s26
	scratch_load_b64 v[121:122], off, off offset:456
	v_add_nc_u32_e64 v126, 0, 16
	v_add_nc_u32_e64 v127, 0, 32
	;; [unrolled: 1-line block ×28, first 2 shown]
	v_cmp_lt_u32_e64 s1, 57, v0
	s_waitcnt vmcnt(0)
	ds_store_b64 v124, v[121:122]
	s_waitcnt lgkmcnt(0)
	s_waitcnt_vscnt null, 0x0
	s_barrier
	buffer_gl0_inv
	s_and_saveexec_b32 s3, s1
	s_cbranch_execz .LBB59_18
; %bb.11:
	s_and_not1_b32 vcc_lo, exec_lo, s2
	s_cbranch_vccnz .LBB59_13
; %bb.12:
	scratch_load_b64 v[121:122], v125, off
	ds_load_b64 v[154:155], v124
	s_waitcnt vmcnt(0) lgkmcnt(0)
	v_mul_f64 v[121:122], v[121:122], v[154:155]
	s_cbranch_execz .LBB59_14
	s_branch .LBB59_15
.LBB59_13:
                                        ; implicit-def: $vgpr121_vgpr122
.LBB59_14:
	ds_load_b64 v[121:122], v124
.LBB59_15:
	s_and_saveexec_b32 s4, s0
	s_cbranch_execz .LBB59_17
; %bb.16:
	scratch_load_b64 v[154:155], off, off offset:464
	v_mov_b32_e32 v156, 0
	ds_load_b64 v[156:157], v156 offset:944
	s_waitcnt vmcnt(0) lgkmcnt(0)
	v_fma_f64 v[121:122], v[154:155], v[156:157], v[121:122]
.LBB59_17:
	s_or_b32 exec_lo, exec_lo, s4
	v_mov_b32_e32 v154, 0
	ds_load_b64 v[154:155], v154 offset:456
	s_waitcnt lgkmcnt(0)
	v_mul_f64 v[121:122], v[121:122], v[154:155]
	scratch_store_b64 off, v[121:122], off offset:456
.LBB59_18:
	s_or_b32 exec_lo, exec_lo, s3
	scratch_load_b64 v[121:122], off, off offset:448
	v_cmp_lt_u32_e64 s0, 56, v0
	s_waitcnt vmcnt(0)
	ds_store_b64 v124, v[121:122]
	s_waitcnt lgkmcnt(0)
	s_waitcnt_vscnt null, 0x0
	s_barrier
	buffer_gl0_inv
	s_and_saveexec_b32 s3, s0
	s_cbranch_execz .LBB59_28
; %bb.19:
	s_and_not1_b32 vcc_lo, exec_lo, s2
	s_cbranch_vccnz .LBB59_21
; %bb.20:
	scratch_load_b64 v[121:122], v125, off
	ds_load_b64 v[154:155], v124
	s_waitcnt vmcnt(0) lgkmcnt(0)
	v_mul_f64 v[121:122], v[121:122], v[154:155]
	s_cbranch_execz .LBB59_22
	s_branch .LBB59_23
.LBB59_21:
                                        ; implicit-def: $vgpr121_vgpr122
.LBB59_22:
	ds_load_b64 v[121:122], v124
.LBB59_23:
	s_and_saveexec_b32 s4, s1
	s_cbranch_execz .LBB59_27
; %bb.24:
	v_mov_b32_e32 v154, 0
	v_subrev_nc_u32_e32 v155, 57, v0
	s_movk_i32 s5, 0x3a8
	s_mov_b32 s1, 0
	s_delay_alu instid0(VALU_DEP_2)
	v_add_nc_u32_e32 v154, 0x1c8, v154
.LBB59_25:                              ; =>This Inner Loop Header: Depth=1
	scratch_load_b64 v[156:157], v154, off
	v_dual_mov_b32 v158, s5 :: v_dual_add_nc_u32 v155, -1, v155
	v_add_nc_u32_e32 v154, 8, v154
	s_add_i32 s5, s5, 8
	ds_load_b64 v[158:159], v158
	v_cmp_eq_u32_e32 vcc_lo, 0, v155
	s_or_b32 s1, vcc_lo, s1
	s_waitcnt vmcnt(0) lgkmcnt(0)
	v_fma_f64 v[121:122], v[156:157], v[158:159], v[121:122]
	s_and_not1_b32 exec_lo, exec_lo, s1
	s_cbranch_execnz .LBB59_25
; %bb.26:
	s_or_b32 exec_lo, exec_lo, s1
.LBB59_27:
	s_delay_alu instid0(SALU_CYCLE_1)
	s_or_b32 exec_lo, exec_lo, s4
	v_mov_b32_e32 v154, 0
	ds_load_b64 v[154:155], v154 offset:448
	s_waitcnt lgkmcnt(0)
	v_mul_f64 v[121:122], v[121:122], v[154:155]
	scratch_store_b64 off, v[121:122], off offset:448
.LBB59_28:
	s_or_b32 exec_lo, exec_lo, s3
	scratch_load_b64 v[121:122], off, off offset:440
	v_cmp_lt_u32_e64 s1, 55, v0
	s_waitcnt vmcnt(0)
	ds_store_b64 v124, v[121:122]
	s_waitcnt lgkmcnt(0)
	s_waitcnt_vscnt null, 0x0
	s_barrier
	buffer_gl0_inv
	s_and_saveexec_b32 s3, s1
	s_cbranch_execz .LBB59_38
; %bb.29:
	s_and_not1_b32 vcc_lo, exec_lo, s2
	s_cbranch_vccnz .LBB59_31
; %bb.30:
	scratch_load_b64 v[121:122], v125, off
	ds_load_b64 v[154:155], v124
	s_waitcnt vmcnt(0) lgkmcnt(0)
	v_mul_f64 v[121:122], v[121:122], v[154:155]
	s_cbranch_execz .LBB59_32
	s_branch .LBB59_33
.LBB59_31:
                                        ; implicit-def: $vgpr121_vgpr122
.LBB59_32:
	ds_load_b64 v[121:122], v124
.LBB59_33:
	s_and_saveexec_b32 s4, s0
	s_cbranch_execz .LBB59_37
; %bb.34:
	v_subrev_nc_u32_e32 v154, 56, v0
	s_movk_i32 s5, 0x3a0
	s_mov_b32 s0, 0
.LBB59_35:                              ; =>This Inner Loop Header: Depth=1
	scratch_load_b64 v[155:156], v153, off
	v_dual_mov_b32 v157, s5 :: v_dual_add_nc_u32 v154, -1, v154
	v_add_nc_u32_e32 v153, 8, v153
	s_add_i32 s5, s5, 8
	ds_load_b64 v[157:158], v157
	v_cmp_eq_u32_e32 vcc_lo, 0, v154
	s_or_b32 s0, vcc_lo, s0
	s_waitcnt vmcnt(0) lgkmcnt(0)
	v_fma_f64 v[121:122], v[155:156], v[157:158], v[121:122]
	s_and_not1_b32 exec_lo, exec_lo, s0
	s_cbranch_execnz .LBB59_35
; %bb.36:
	s_or_b32 exec_lo, exec_lo, s0
.LBB59_37:
	s_delay_alu instid0(SALU_CYCLE_1)
	s_or_b32 exec_lo, exec_lo, s4
	v_mov_b32_e32 v153, 0
	ds_load_b64 v[153:154], v153 offset:440
	s_waitcnt lgkmcnt(0)
	v_mul_f64 v[121:122], v[121:122], v[153:154]
	scratch_store_b64 off, v[121:122], off offset:440
.LBB59_38:
	s_or_b32 exec_lo, exec_lo, s3
	scratch_load_b64 v[121:122], off, off offset:432
	v_cmp_lt_u32_e64 s0, 54, v0
	s_waitcnt vmcnt(0)
	ds_store_b64 v124, v[121:122]
	s_waitcnt lgkmcnt(0)
	s_waitcnt_vscnt null, 0x0
	s_barrier
	buffer_gl0_inv
	s_and_saveexec_b32 s3, s0
	s_cbranch_execz .LBB59_48
; %bb.39:
	s_and_not1_b32 vcc_lo, exec_lo, s2
	s_cbranch_vccnz .LBB59_41
; %bb.40:
	scratch_load_b64 v[121:122], v125, off
	ds_load_b64 v[153:154], v124
	s_waitcnt vmcnt(0) lgkmcnt(0)
	v_mul_f64 v[121:122], v[121:122], v[153:154]
	s_cbranch_execz .LBB59_42
	s_branch .LBB59_43
.LBB59_41:
                                        ; implicit-def: $vgpr121_vgpr122
.LBB59_42:
	ds_load_b64 v[121:122], v124
.LBB59_43:
	s_and_saveexec_b32 s4, s1
	s_cbranch_execz .LBB59_47
; %bb.44:
	v_mov_b32_e32 v153, 0
	v_subrev_nc_u32_e32 v154, 55, v0
	s_movk_i32 s5, 0x398
	s_mov_b32 s1, 0
	s_delay_alu instid0(VALU_DEP_2)
	v_add_nc_u32_e32 v153, 0x1b8, v153
.LBB59_45:                              ; =>This Inner Loop Header: Depth=1
	scratch_load_b64 v[155:156], v153, off
	v_dual_mov_b32 v157, s5 :: v_dual_add_nc_u32 v154, -1, v154
	v_add_nc_u32_e32 v153, 8, v153
	s_add_i32 s5, s5, 8
	ds_load_b64 v[157:158], v157
	v_cmp_eq_u32_e32 vcc_lo, 0, v154
	s_or_b32 s1, vcc_lo, s1
	s_waitcnt vmcnt(0) lgkmcnt(0)
	v_fma_f64 v[121:122], v[155:156], v[157:158], v[121:122]
	s_and_not1_b32 exec_lo, exec_lo, s1
	s_cbranch_execnz .LBB59_45
; %bb.46:
	s_or_b32 exec_lo, exec_lo, s1
.LBB59_47:
	s_delay_alu instid0(SALU_CYCLE_1)
	s_or_b32 exec_lo, exec_lo, s4
	v_mov_b32_e32 v153, 0
	ds_load_b64 v[153:154], v153 offset:432
	s_waitcnt lgkmcnt(0)
	v_mul_f64 v[121:122], v[121:122], v[153:154]
	scratch_store_b64 off, v[121:122], off offset:432
.LBB59_48:
	s_or_b32 exec_lo, exec_lo, s3
	scratch_load_b64 v[121:122], off, off offset:424
	v_cmp_lt_u32_e64 s1, 53, v0
	s_waitcnt vmcnt(0)
	ds_store_b64 v124, v[121:122]
	s_waitcnt lgkmcnt(0)
	s_waitcnt_vscnt null, 0x0
	s_barrier
	buffer_gl0_inv
	s_and_saveexec_b32 s3, s1
	s_cbranch_execz .LBB59_58
; %bb.49:
	s_and_not1_b32 vcc_lo, exec_lo, s2
	s_cbranch_vccnz .LBB59_51
; %bb.50:
	scratch_load_b64 v[121:122], v125, off
	ds_load_b64 v[153:154], v124
	s_waitcnt vmcnt(0) lgkmcnt(0)
	v_mul_f64 v[121:122], v[121:122], v[153:154]
	s_cbranch_execz .LBB59_52
	s_branch .LBB59_53
.LBB59_51:
                                        ; implicit-def: $vgpr121_vgpr122
.LBB59_52:
	ds_load_b64 v[121:122], v124
.LBB59_53:
	s_and_saveexec_b32 s4, s0
	s_cbranch_execz .LBB59_57
; %bb.54:
	v_subrev_nc_u32_e32 v153, 54, v0
	s_movk_i32 s5, 0x390
	s_mov_b32 s0, 0
.LBB59_55:                              ; =>This Inner Loop Header: Depth=1
	scratch_load_b64 v[154:155], v152, off
	v_dual_mov_b32 v156, s5 :: v_dual_add_nc_u32 v153, -1, v153
	v_add_nc_u32_e32 v152, 8, v152
	s_add_i32 s5, s5, 8
	ds_load_b64 v[156:157], v156
	v_cmp_eq_u32_e32 vcc_lo, 0, v153
	s_or_b32 s0, vcc_lo, s0
	s_waitcnt vmcnt(0) lgkmcnt(0)
	v_fma_f64 v[121:122], v[154:155], v[156:157], v[121:122]
	s_and_not1_b32 exec_lo, exec_lo, s0
	s_cbranch_execnz .LBB59_55
; %bb.56:
	s_or_b32 exec_lo, exec_lo, s0
.LBB59_57:
	s_delay_alu instid0(SALU_CYCLE_1)
	s_or_b32 exec_lo, exec_lo, s4
	v_mov_b32_e32 v152, 0
	ds_load_b64 v[152:153], v152 offset:424
	s_waitcnt lgkmcnt(0)
	v_mul_f64 v[121:122], v[121:122], v[152:153]
	scratch_store_b64 off, v[121:122], off offset:424
.LBB59_58:
	s_or_b32 exec_lo, exec_lo, s3
	scratch_load_b64 v[121:122], off, off offset:416
	v_cmp_lt_u32_e64 s0, 52, v0
	s_waitcnt vmcnt(0)
	ds_store_b64 v124, v[121:122]
	s_waitcnt lgkmcnt(0)
	s_waitcnt_vscnt null, 0x0
	s_barrier
	buffer_gl0_inv
	s_and_saveexec_b32 s3, s0
	s_cbranch_execz .LBB59_68
; %bb.59:
	s_and_not1_b32 vcc_lo, exec_lo, s2
	s_cbranch_vccnz .LBB59_61
; %bb.60:
	scratch_load_b64 v[121:122], v125, off
	ds_load_b64 v[152:153], v124
	s_waitcnt vmcnt(0) lgkmcnt(0)
	v_mul_f64 v[121:122], v[121:122], v[152:153]
	s_cbranch_execz .LBB59_62
	s_branch .LBB59_63
.LBB59_61:
                                        ; implicit-def: $vgpr121_vgpr122
.LBB59_62:
	ds_load_b64 v[121:122], v124
.LBB59_63:
	s_and_saveexec_b32 s4, s1
	s_cbranch_execz .LBB59_67
; %bb.64:
	v_mov_b32_e32 v152, 0
	v_subrev_nc_u32_e32 v153, 53, v0
	s_movk_i32 s5, 0x388
	s_mov_b32 s1, 0
	s_delay_alu instid0(VALU_DEP_2)
	v_add_nc_u32_e32 v152, 0x1a8, v152
.LBB59_65:                              ; =>This Inner Loop Header: Depth=1
	scratch_load_b64 v[154:155], v152, off
	v_dual_mov_b32 v156, s5 :: v_dual_add_nc_u32 v153, -1, v153
	v_add_nc_u32_e32 v152, 8, v152
	s_add_i32 s5, s5, 8
	ds_load_b64 v[156:157], v156
	v_cmp_eq_u32_e32 vcc_lo, 0, v153
	s_or_b32 s1, vcc_lo, s1
	s_waitcnt vmcnt(0) lgkmcnt(0)
	v_fma_f64 v[121:122], v[154:155], v[156:157], v[121:122]
	s_and_not1_b32 exec_lo, exec_lo, s1
	s_cbranch_execnz .LBB59_65
; %bb.66:
	s_or_b32 exec_lo, exec_lo, s1
.LBB59_67:
	s_delay_alu instid0(SALU_CYCLE_1)
	s_or_b32 exec_lo, exec_lo, s4
	v_mov_b32_e32 v152, 0
	ds_load_b64 v[152:153], v152 offset:416
	s_waitcnt lgkmcnt(0)
	v_mul_f64 v[121:122], v[121:122], v[152:153]
	scratch_store_b64 off, v[121:122], off offset:416
.LBB59_68:
	s_or_b32 exec_lo, exec_lo, s3
	scratch_load_b64 v[121:122], off, off offset:408
	v_cmp_lt_u32_e64 s1, 51, v0
	s_waitcnt vmcnt(0)
	ds_store_b64 v124, v[121:122]
	s_waitcnt lgkmcnt(0)
	s_waitcnt_vscnt null, 0x0
	s_barrier
	buffer_gl0_inv
	s_and_saveexec_b32 s3, s1
	s_cbranch_execz .LBB59_78
; %bb.69:
	s_and_not1_b32 vcc_lo, exec_lo, s2
	s_cbranch_vccnz .LBB59_71
; %bb.70:
	scratch_load_b64 v[121:122], v125, off
	ds_load_b64 v[152:153], v124
	s_waitcnt vmcnt(0) lgkmcnt(0)
	v_mul_f64 v[121:122], v[121:122], v[152:153]
	s_cbranch_execz .LBB59_72
	s_branch .LBB59_73
.LBB59_71:
                                        ; implicit-def: $vgpr121_vgpr122
.LBB59_72:
	ds_load_b64 v[121:122], v124
.LBB59_73:
	s_and_saveexec_b32 s4, s0
	s_cbranch_execz .LBB59_77
; %bb.74:
	v_subrev_nc_u32_e32 v152, 52, v0
	s_movk_i32 s5, 0x380
	s_mov_b32 s0, 0
.LBB59_75:                              ; =>This Inner Loop Header: Depth=1
	scratch_load_b64 v[153:154], v151, off
	v_dual_mov_b32 v155, s5 :: v_dual_add_nc_u32 v152, -1, v152
	v_add_nc_u32_e32 v151, 8, v151
	s_add_i32 s5, s5, 8
	ds_load_b64 v[155:156], v155
	v_cmp_eq_u32_e32 vcc_lo, 0, v152
	s_or_b32 s0, vcc_lo, s0
	s_waitcnt vmcnt(0) lgkmcnt(0)
	v_fma_f64 v[121:122], v[153:154], v[155:156], v[121:122]
	s_and_not1_b32 exec_lo, exec_lo, s0
	s_cbranch_execnz .LBB59_75
; %bb.76:
	s_or_b32 exec_lo, exec_lo, s0
.LBB59_77:
	s_delay_alu instid0(SALU_CYCLE_1)
	s_or_b32 exec_lo, exec_lo, s4
	v_mov_b32_e32 v151, 0
	ds_load_b64 v[151:152], v151 offset:408
	s_waitcnt lgkmcnt(0)
	v_mul_f64 v[121:122], v[121:122], v[151:152]
	scratch_store_b64 off, v[121:122], off offset:408
.LBB59_78:
	s_or_b32 exec_lo, exec_lo, s3
	scratch_load_b64 v[121:122], off, off offset:400
	v_cmp_lt_u32_e64 s0, 50, v0
	s_waitcnt vmcnt(0)
	ds_store_b64 v124, v[121:122]
	s_waitcnt lgkmcnt(0)
	s_waitcnt_vscnt null, 0x0
	s_barrier
	buffer_gl0_inv
	s_and_saveexec_b32 s3, s0
	s_cbranch_execz .LBB59_88
; %bb.79:
	s_and_not1_b32 vcc_lo, exec_lo, s2
	s_cbranch_vccnz .LBB59_81
; %bb.80:
	scratch_load_b64 v[121:122], v125, off
	ds_load_b64 v[151:152], v124
	s_waitcnt vmcnt(0) lgkmcnt(0)
	v_mul_f64 v[121:122], v[121:122], v[151:152]
	s_cbranch_execz .LBB59_82
	s_branch .LBB59_83
.LBB59_81:
                                        ; implicit-def: $vgpr121_vgpr122
.LBB59_82:
	ds_load_b64 v[121:122], v124
.LBB59_83:
	s_and_saveexec_b32 s4, s1
	s_cbranch_execz .LBB59_87
; %bb.84:
	v_mov_b32_e32 v151, 0
	v_subrev_nc_u32_e32 v152, 51, v0
	s_movk_i32 s5, 0x378
	s_mov_b32 s1, 0
	s_delay_alu instid0(VALU_DEP_2)
	v_add_nc_u32_e32 v151, 0x198, v151
.LBB59_85:                              ; =>This Inner Loop Header: Depth=1
	scratch_load_b64 v[153:154], v151, off
	v_dual_mov_b32 v155, s5 :: v_dual_add_nc_u32 v152, -1, v152
	v_add_nc_u32_e32 v151, 8, v151
	s_add_i32 s5, s5, 8
	ds_load_b64 v[155:156], v155
	v_cmp_eq_u32_e32 vcc_lo, 0, v152
	s_or_b32 s1, vcc_lo, s1
	s_waitcnt vmcnt(0) lgkmcnt(0)
	v_fma_f64 v[121:122], v[153:154], v[155:156], v[121:122]
	s_and_not1_b32 exec_lo, exec_lo, s1
	s_cbranch_execnz .LBB59_85
; %bb.86:
	s_or_b32 exec_lo, exec_lo, s1
.LBB59_87:
	s_delay_alu instid0(SALU_CYCLE_1)
	s_or_b32 exec_lo, exec_lo, s4
	v_mov_b32_e32 v151, 0
	ds_load_b64 v[151:152], v151 offset:400
	s_waitcnt lgkmcnt(0)
	v_mul_f64 v[121:122], v[121:122], v[151:152]
	scratch_store_b64 off, v[121:122], off offset:400
.LBB59_88:
	s_or_b32 exec_lo, exec_lo, s3
	scratch_load_b64 v[121:122], off, off offset:392
	v_cmp_lt_u32_e64 s1, 49, v0
	s_waitcnt vmcnt(0)
	ds_store_b64 v124, v[121:122]
	s_waitcnt lgkmcnt(0)
	s_waitcnt_vscnt null, 0x0
	s_barrier
	buffer_gl0_inv
	s_and_saveexec_b32 s3, s1
	s_cbranch_execz .LBB59_98
; %bb.89:
	s_and_not1_b32 vcc_lo, exec_lo, s2
	s_cbranch_vccnz .LBB59_91
; %bb.90:
	scratch_load_b64 v[121:122], v125, off
	ds_load_b64 v[151:152], v124
	s_waitcnt vmcnt(0) lgkmcnt(0)
	v_mul_f64 v[121:122], v[121:122], v[151:152]
	s_cbranch_execz .LBB59_92
	s_branch .LBB59_93
.LBB59_91:
                                        ; implicit-def: $vgpr121_vgpr122
.LBB59_92:
	ds_load_b64 v[121:122], v124
.LBB59_93:
	s_and_saveexec_b32 s4, s0
	s_cbranch_execz .LBB59_97
; %bb.94:
	v_subrev_nc_u32_e32 v151, 50, v0
	s_movk_i32 s5, 0x370
	s_mov_b32 s0, 0
.LBB59_95:                              ; =>This Inner Loop Header: Depth=1
	scratch_load_b64 v[152:153], v150, off
	v_dual_mov_b32 v154, s5 :: v_dual_add_nc_u32 v151, -1, v151
	v_add_nc_u32_e32 v150, 8, v150
	s_add_i32 s5, s5, 8
	ds_load_b64 v[154:155], v154
	v_cmp_eq_u32_e32 vcc_lo, 0, v151
	s_or_b32 s0, vcc_lo, s0
	s_waitcnt vmcnt(0) lgkmcnt(0)
	v_fma_f64 v[121:122], v[152:153], v[154:155], v[121:122]
	s_and_not1_b32 exec_lo, exec_lo, s0
	s_cbranch_execnz .LBB59_95
; %bb.96:
	s_or_b32 exec_lo, exec_lo, s0
.LBB59_97:
	s_delay_alu instid0(SALU_CYCLE_1)
	s_or_b32 exec_lo, exec_lo, s4
	v_mov_b32_e32 v150, 0
	ds_load_b64 v[150:151], v150 offset:392
	s_waitcnt lgkmcnt(0)
	v_mul_f64 v[121:122], v[121:122], v[150:151]
	scratch_store_b64 off, v[121:122], off offset:392
.LBB59_98:
	s_or_b32 exec_lo, exec_lo, s3
	scratch_load_b64 v[121:122], off, off offset:384
	v_cmp_lt_u32_e64 s0, 48, v0
	s_waitcnt vmcnt(0)
	ds_store_b64 v124, v[121:122]
	s_waitcnt lgkmcnt(0)
	s_waitcnt_vscnt null, 0x0
	s_barrier
	buffer_gl0_inv
	s_and_saveexec_b32 s3, s0
	s_cbranch_execz .LBB59_108
; %bb.99:
	s_and_not1_b32 vcc_lo, exec_lo, s2
	s_cbranch_vccnz .LBB59_101
; %bb.100:
	scratch_load_b64 v[121:122], v125, off
	ds_load_b64 v[150:151], v124
	s_waitcnt vmcnt(0) lgkmcnt(0)
	v_mul_f64 v[121:122], v[121:122], v[150:151]
	s_cbranch_execz .LBB59_102
	s_branch .LBB59_103
.LBB59_101:
                                        ; implicit-def: $vgpr121_vgpr122
.LBB59_102:
	ds_load_b64 v[121:122], v124
.LBB59_103:
	s_and_saveexec_b32 s4, s1
	s_cbranch_execz .LBB59_107
; %bb.104:
	v_mov_b32_e32 v150, 0
	v_subrev_nc_u32_e32 v151, 49, v0
	s_movk_i32 s5, 0x368
	s_mov_b32 s1, 0
	s_delay_alu instid0(VALU_DEP_2)
	v_add_nc_u32_e32 v150, 0x188, v150
.LBB59_105:                             ; =>This Inner Loop Header: Depth=1
	scratch_load_b64 v[152:153], v150, off
	v_dual_mov_b32 v154, s5 :: v_dual_add_nc_u32 v151, -1, v151
	v_add_nc_u32_e32 v150, 8, v150
	s_add_i32 s5, s5, 8
	ds_load_b64 v[154:155], v154
	v_cmp_eq_u32_e32 vcc_lo, 0, v151
	s_or_b32 s1, vcc_lo, s1
	s_waitcnt vmcnt(0) lgkmcnt(0)
	v_fma_f64 v[121:122], v[152:153], v[154:155], v[121:122]
	s_and_not1_b32 exec_lo, exec_lo, s1
	s_cbranch_execnz .LBB59_105
; %bb.106:
	s_or_b32 exec_lo, exec_lo, s1
.LBB59_107:
	s_delay_alu instid0(SALU_CYCLE_1)
	s_or_b32 exec_lo, exec_lo, s4
	v_mov_b32_e32 v150, 0
	ds_load_b64 v[150:151], v150 offset:384
	s_waitcnt lgkmcnt(0)
	v_mul_f64 v[121:122], v[121:122], v[150:151]
	scratch_store_b64 off, v[121:122], off offset:384
.LBB59_108:
	s_or_b32 exec_lo, exec_lo, s3
	scratch_load_b64 v[121:122], off, off offset:376
	v_cmp_lt_u32_e64 s1, 47, v0
	s_waitcnt vmcnt(0)
	ds_store_b64 v124, v[121:122]
	s_waitcnt lgkmcnt(0)
	s_waitcnt_vscnt null, 0x0
	s_barrier
	buffer_gl0_inv
	s_and_saveexec_b32 s3, s1
	s_cbranch_execz .LBB59_118
; %bb.109:
	s_and_not1_b32 vcc_lo, exec_lo, s2
	s_cbranch_vccnz .LBB59_111
; %bb.110:
	scratch_load_b64 v[121:122], v125, off
	ds_load_b64 v[150:151], v124
	s_waitcnt vmcnt(0) lgkmcnt(0)
	v_mul_f64 v[121:122], v[121:122], v[150:151]
	s_cbranch_execz .LBB59_112
	s_branch .LBB59_113
.LBB59_111:
                                        ; implicit-def: $vgpr121_vgpr122
.LBB59_112:
	ds_load_b64 v[121:122], v124
.LBB59_113:
	s_and_saveexec_b32 s4, s0
	s_cbranch_execz .LBB59_117
; %bb.114:
	v_subrev_nc_u32_e32 v150, 48, v0
	s_movk_i32 s5, 0x360
	s_mov_b32 s0, 0
.LBB59_115:                             ; =>This Inner Loop Header: Depth=1
	scratch_load_b64 v[151:152], v149, off
	v_dual_mov_b32 v153, s5 :: v_dual_add_nc_u32 v150, -1, v150
	v_add_nc_u32_e32 v149, 8, v149
	s_add_i32 s5, s5, 8
	ds_load_b64 v[153:154], v153
	v_cmp_eq_u32_e32 vcc_lo, 0, v150
	s_or_b32 s0, vcc_lo, s0
	s_waitcnt vmcnt(0) lgkmcnt(0)
	v_fma_f64 v[121:122], v[151:152], v[153:154], v[121:122]
	s_and_not1_b32 exec_lo, exec_lo, s0
	s_cbranch_execnz .LBB59_115
; %bb.116:
	s_or_b32 exec_lo, exec_lo, s0
.LBB59_117:
	s_delay_alu instid0(SALU_CYCLE_1)
	s_or_b32 exec_lo, exec_lo, s4
	v_mov_b32_e32 v149, 0
	ds_load_b64 v[149:150], v149 offset:376
	s_waitcnt lgkmcnt(0)
	v_mul_f64 v[121:122], v[121:122], v[149:150]
	scratch_store_b64 off, v[121:122], off offset:376
.LBB59_118:
	s_or_b32 exec_lo, exec_lo, s3
	scratch_load_b64 v[121:122], off, off offset:368
	v_cmp_lt_u32_e64 s0, 46, v0
	s_waitcnt vmcnt(0)
	ds_store_b64 v124, v[121:122]
	s_waitcnt lgkmcnt(0)
	s_waitcnt_vscnt null, 0x0
	s_barrier
	buffer_gl0_inv
	s_and_saveexec_b32 s3, s0
	s_cbranch_execz .LBB59_128
; %bb.119:
	s_and_not1_b32 vcc_lo, exec_lo, s2
	s_cbranch_vccnz .LBB59_121
; %bb.120:
	scratch_load_b64 v[121:122], v125, off
	ds_load_b64 v[149:150], v124
	s_waitcnt vmcnt(0) lgkmcnt(0)
	v_mul_f64 v[121:122], v[121:122], v[149:150]
	s_cbranch_execz .LBB59_122
	s_branch .LBB59_123
.LBB59_121:
                                        ; implicit-def: $vgpr121_vgpr122
.LBB59_122:
	ds_load_b64 v[121:122], v124
.LBB59_123:
	s_and_saveexec_b32 s4, s1
	s_cbranch_execz .LBB59_127
; %bb.124:
	v_mov_b32_e32 v149, 0
	v_subrev_nc_u32_e32 v150, 47, v0
	s_movk_i32 s5, 0x358
	s_mov_b32 s1, 0
	s_delay_alu instid0(VALU_DEP_2)
	v_add_nc_u32_e32 v149, 0x178, v149
.LBB59_125:                             ; =>This Inner Loop Header: Depth=1
	scratch_load_b64 v[151:152], v149, off
	v_dual_mov_b32 v153, s5 :: v_dual_add_nc_u32 v150, -1, v150
	v_add_nc_u32_e32 v149, 8, v149
	s_add_i32 s5, s5, 8
	ds_load_b64 v[153:154], v153
	v_cmp_eq_u32_e32 vcc_lo, 0, v150
	s_or_b32 s1, vcc_lo, s1
	s_waitcnt vmcnt(0) lgkmcnt(0)
	v_fma_f64 v[121:122], v[151:152], v[153:154], v[121:122]
	s_and_not1_b32 exec_lo, exec_lo, s1
	s_cbranch_execnz .LBB59_125
; %bb.126:
	s_or_b32 exec_lo, exec_lo, s1
.LBB59_127:
	s_delay_alu instid0(SALU_CYCLE_1)
	s_or_b32 exec_lo, exec_lo, s4
	v_mov_b32_e32 v149, 0
	ds_load_b64 v[149:150], v149 offset:368
	s_waitcnt lgkmcnt(0)
	v_mul_f64 v[121:122], v[121:122], v[149:150]
	scratch_store_b64 off, v[121:122], off offset:368
.LBB59_128:
	s_or_b32 exec_lo, exec_lo, s3
	scratch_load_b64 v[121:122], off, off offset:360
	v_cmp_lt_u32_e64 s1, 45, v0
	s_waitcnt vmcnt(0)
	ds_store_b64 v124, v[121:122]
	s_waitcnt lgkmcnt(0)
	s_waitcnt_vscnt null, 0x0
	s_barrier
	buffer_gl0_inv
	s_and_saveexec_b32 s3, s1
	s_cbranch_execz .LBB59_138
; %bb.129:
	s_and_not1_b32 vcc_lo, exec_lo, s2
	s_cbranch_vccnz .LBB59_131
; %bb.130:
	scratch_load_b64 v[121:122], v125, off
	ds_load_b64 v[149:150], v124
	s_waitcnt vmcnt(0) lgkmcnt(0)
	v_mul_f64 v[121:122], v[121:122], v[149:150]
	s_cbranch_execz .LBB59_132
	s_branch .LBB59_133
.LBB59_131:
                                        ; implicit-def: $vgpr121_vgpr122
.LBB59_132:
	ds_load_b64 v[121:122], v124
.LBB59_133:
	s_and_saveexec_b32 s4, s0
	s_cbranch_execz .LBB59_137
; %bb.134:
	v_subrev_nc_u32_e32 v149, 46, v0
	s_movk_i32 s5, 0x350
	s_mov_b32 s0, 0
.LBB59_135:                             ; =>This Inner Loop Header: Depth=1
	scratch_load_b64 v[150:151], v148, off
	v_dual_mov_b32 v152, s5 :: v_dual_add_nc_u32 v149, -1, v149
	v_add_nc_u32_e32 v148, 8, v148
	s_add_i32 s5, s5, 8
	ds_load_b64 v[152:153], v152
	v_cmp_eq_u32_e32 vcc_lo, 0, v149
	s_or_b32 s0, vcc_lo, s0
	s_waitcnt vmcnt(0) lgkmcnt(0)
	v_fma_f64 v[121:122], v[150:151], v[152:153], v[121:122]
	s_and_not1_b32 exec_lo, exec_lo, s0
	s_cbranch_execnz .LBB59_135
; %bb.136:
	s_or_b32 exec_lo, exec_lo, s0
.LBB59_137:
	s_delay_alu instid0(SALU_CYCLE_1)
	s_or_b32 exec_lo, exec_lo, s4
	v_mov_b32_e32 v148, 0
	ds_load_b64 v[148:149], v148 offset:360
	s_waitcnt lgkmcnt(0)
	v_mul_f64 v[121:122], v[121:122], v[148:149]
	scratch_store_b64 off, v[121:122], off offset:360
.LBB59_138:
	s_or_b32 exec_lo, exec_lo, s3
	scratch_load_b64 v[121:122], off, off offset:352
	v_cmp_lt_u32_e64 s0, 44, v0
	s_waitcnt vmcnt(0)
	ds_store_b64 v124, v[121:122]
	s_waitcnt lgkmcnt(0)
	s_waitcnt_vscnt null, 0x0
	s_barrier
	buffer_gl0_inv
	s_and_saveexec_b32 s3, s0
	s_cbranch_execz .LBB59_148
; %bb.139:
	s_and_not1_b32 vcc_lo, exec_lo, s2
	s_cbranch_vccnz .LBB59_141
; %bb.140:
	scratch_load_b64 v[121:122], v125, off
	ds_load_b64 v[148:149], v124
	s_waitcnt vmcnt(0) lgkmcnt(0)
	v_mul_f64 v[121:122], v[121:122], v[148:149]
	s_cbranch_execz .LBB59_142
	s_branch .LBB59_143
.LBB59_141:
                                        ; implicit-def: $vgpr121_vgpr122
.LBB59_142:
	ds_load_b64 v[121:122], v124
.LBB59_143:
	s_and_saveexec_b32 s4, s1
	s_cbranch_execz .LBB59_147
; %bb.144:
	v_mov_b32_e32 v148, 0
	v_subrev_nc_u32_e32 v149, 45, v0
	s_movk_i32 s5, 0x348
	s_mov_b32 s1, 0
	s_delay_alu instid0(VALU_DEP_2)
	v_add_nc_u32_e32 v148, 0x168, v148
.LBB59_145:                             ; =>This Inner Loop Header: Depth=1
	scratch_load_b64 v[150:151], v148, off
	v_dual_mov_b32 v152, s5 :: v_dual_add_nc_u32 v149, -1, v149
	v_add_nc_u32_e32 v148, 8, v148
	s_add_i32 s5, s5, 8
	ds_load_b64 v[152:153], v152
	v_cmp_eq_u32_e32 vcc_lo, 0, v149
	s_or_b32 s1, vcc_lo, s1
	s_waitcnt vmcnt(0) lgkmcnt(0)
	v_fma_f64 v[121:122], v[150:151], v[152:153], v[121:122]
	s_and_not1_b32 exec_lo, exec_lo, s1
	s_cbranch_execnz .LBB59_145
; %bb.146:
	s_or_b32 exec_lo, exec_lo, s1
.LBB59_147:
	s_delay_alu instid0(SALU_CYCLE_1)
	s_or_b32 exec_lo, exec_lo, s4
	v_mov_b32_e32 v148, 0
	ds_load_b64 v[148:149], v148 offset:352
	s_waitcnt lgkmcnt(0)
	v_mul_f64 v[121:122], v[121:122], v[148:149]
	scratch_store_b64 off, v[121:122], off offset:352
.LBB59_148:
	s_or_b32 exec_lo, exec_lo, s3
	scratch_load_b64 v[121:122], off, off offset:344
	v_cmp_lt_u32_e64 s1, 43, v0
	s_waitcnt vmcnt(0)
	ds_store_b64 v124, v[121:122]
	s_waitcnt lgkmcnt(0)
	s_waitcnt_vscnt null, 0x0
	s_barrier
	buffer_gl0_inv
	s_and_saveexec_b32 s3, s1
	s_cbranch_execz .LBB59_158
; %bb.149:
	s_and_not1_b32 vcc_lo, exec_lo, s2
	s_cbranch_vccnz .LBB59_151
; %bb.150:
	scratch_load_b64 v[121:122], v125, off
	ds_load_b64 v[148:149], v124
	s_waitcnt vmcnt(0) lgkmcnt(0)
	v_mul_f64 v[121:122], v[121:122], v[148:149]
	s_cbranch_execz .LBB59_152
	s_branch .LBB59_153
.LBB59_151:
                                        ; implicit-def: $vgpr121_vgpr122
.LBB59_152:
	ds_load_b64 v[121:122], v124
.LBB59_153:
	s_and_saveexec_b32 s4, s0
	s_cbranch_execz .LBB59_157
; %bb.154:
	v_subrev_nc_u32_e32 v148, 44, v0
	s_movk_i32 s5, 0x340
	s_mov_b32 s0, 0
.LBB59_155:                             ; =>This Inner Loop Header: Depth=1
	scratch_load_b64 v[149:150], v147, off
	v_dual_mov_b32 v151, s5 :: v_dual_add_nc_u32 v148, -1, v148
	v_add_nc_u32_e32 v147, 8, v147
	s_add_i32 s5, s5, 8
	ds_load_b64 v[151:152], v151
	v_cmp_eq_u32_e32 vcc_lo, 0, v148
	s_or_b32 s0, vcc_lo, s0
	s_waitcnt vmcnt(0) lgkmcnt(0)
	v_fma_f64 v[121:122], v[149:150], v[151:152], v[121:122]
	s_and_not1_b32 exec_lo, exec_lo, s0
	s_cbranch_execnz .LBB59_155
; %bb.156:
	s_or_b32 exec_lo, exec_lo, s0
.LBB59_157:
	s_delay_alu instid0(SALU_CYCLE_1)
	s_or_b32 exec_lo, exec_lo, s4
	v_mov_b32_e32 v147, 0
	ds_load_b64 v[147:148], v147 offset:344
	s_waitcnt lgkmcnt(0)
	v_mul_f64 v[121:122], v[121:122], v[147:148]
	scratch_store_b64 off, v[121:122], off offset:344
.LBB59_158:
	s_or_b32 exec_lo, exec_lo, s3
	scratch_load_b64 v[121:122], off, off offset:336
	v_cmp_lt_u32_e64 s0, 42, v0
	s_waitcnt vmcnt(0)
	ds_store_b64 v124, v[121:122]
	s_waitcnt lgkmcnt(0)
	s_waitcnt_vscnt null, 0x0
	s_barrier
	buffer_gl0_inv
	s_and_saveexec_b32 s3, s0
	s_cbranch_execz .LBB59_168
; %bb.159:
	s_and_not1_b32 vcc_lo, exec_lo, s2
	s_cbranch_vccnz .LBB59_161
; %bb.160:
	scratch_load_b64 v[121:122], v125, off
	ds_load_b64 v[147:148], v124
	s_waitcnt vmcnt(0) lgkmcnt(0)
	v_mul_f64 v[121:122], v[121:122], v[147:148]
	s_cbranch_execz .LBB59_162
	s_branch .LBB59_163
.LBB59_161:
                                        ; implicit-def: $vgpr121_vgpr122
.LBB59_162:
	ds_load_b64 v[121:122], v124
.LBB59_163:
	s_and_saveexec_b32 s4, s1
	s_cbranch_execz .LBB59_167
; %bb.164:
	v_mov_b32_e32 v147, 0
	v_subrev_nc_u32_e32 v148, 43, v0
	s_movk_i32 s5, 0x338
	s_mov_b32 s1, 0
	s_delay_alu instid0(VALU_DEP_2)
	v_add_nc_u32_e32 v147, 0x158, v147
.LBB59_165:                             ; =>This Inner Loop Header: Depth=1
	scratch_load_b64 v[149:150], v147, off
	v_dual_mov_b32 v151, s5 :: v_dual_add_nc_u32 v148, -1, v148
	v_add_nc_u32_e32 v147, 8, v147
	s_add_i32 s5, s5, 8
	ds_load_b64 v[151:152], v151
	v_cmp_eq_u32_e32 vcc_lo, 0, v148
	s_or_b32 s1, vcc_lo, s1
	s_waitcnt vmcnt(0) lgkmcnt(0)
	v_fma_f64 v[121:122], v[149:150], v[151:152], v[121:122]
	s_and_not1_b32 exec_lo, exec_lo, s1
	s_cbranch_execnz .LBB59_165
; %bb.166:
	s_or_b32 exec_lo, exec_lo, s1
.LBB59_167:
	s_delay_alu instid0(SALU_CYCLE_1)
	s_or_b32 exec_lo, exec_lo, s4
	v_mov_b32_e32 v147, 0
	ds_load_b64 v[147:148], v147 offset:336
	s_waitcnt lgkmcnt(0)
	v_mul_f64 v[121:122], v[121:122], v[147:148]
	scratch_store_b64 off, v[121:122], off offset:336
.LBB59_168:
	s_or_b32 exec_lo, exec_lo, s3
	scratch_load_b64 v[121:122], off, off offset:328
	v_cmp_lt_u32_e64 s1, 41, v0
	s_waitcnt vmcnt(0)
	ds_store_b64 v124, v[121:122]
	s_waitcnt lgkmcnt(0)
	s_waitcnt_vscnt null, 0x0
	s_barrier
	buffer_gl0_inv
	s_and_saveexec_b32 s3, s1
	s_cbranch_execz .LBB59_178
; %bb.169:
	s_and_not1_b32 vcc_lo, exec_lo, s2
	s_cbranch_vccnz .LBB59_171
; %bb.170:
	scratch_load_b64 v[121:122], v125, off
	ds_load_b64 v[147:148], v124
	s_waitcnt vmcnt(0) lgkmcnt(0)
	v_mul_f64 v[121:122], v[121:122], v[147:148]
	s_cbranch_execz .LBB59_172
	s_branch .LBB59_173
.LBB59_171:
                                        ; implicit-def: $vgpr121_vgpr122
.LBB59_172:
	ds_load_b64 v[121:122], v124
.LBB59_173:
	s_and_saveexec_b32 s4, s0
	s_cbranch_execz .LBB59_177
; %bb.174:
	v_subrev_nc_u32_e32 v147, 42, v0
	s_movk_i32 s5, 0x330
	s_mov_b32 s0, 0
.LBB59_175:                             ; =>This Inner Loop Header: Depth=1
	scratch_load_b64 v[148:149], v146, off
	v_dual_mov_b32 v150, s5 :: v_dual_add_nc_u32 v147, -1, v147
	v_add_nc_u32_e32 v146, 8, v146
	s_add_i32 s5, s5, 8
	ds_load_b64 v[150:151], v150
	v_cmp_eq_u32_e32 vcc_lo, 0, v147
	s_or_b32 s0, vcc_lo, s0
	s_waitcnt vmcnt(0) lgkmcnt(0)
	v_fma_f64 v[121:122], v[148:149], v[150:151], v[121:122]
	s_and_not1_b32 exec_lo, exec_lo, s0
	s_cbranch_execnz .LBB59_175
; %bb.176:
	s_or_b32 exec_lo, exec_lo, s0
.LBB59_177:
	s_delay_alu instid0(SALU_CYCLE_1)
	s_or_b32 exec_lo, exec_lo, s4
	v_mov_b32_e32 v146, 0
	ds_load_b64 v[146:147], v146 offset:328
	s_waitcnt lgkmcnt(0)
	v_mul_f64 v[121:122], v[121:122], v[146:147]
	scratch_store_b64 off, v[121:122], off offset:328
.LBB59_178:
	s_or_b32 exec_lo, exec_lo, s3
	scratch_load_b64 v[121:122], off, off offset:320
	v_cmp_lt_u32_e64 s0, 40, v0
	s_waitcnt vmcnt(0)
	ds_store_b64 v124, v[121:122]
	s_waitcnt lgkmcnt(0)
	s_waitcnt_vscnt null, 0x0
	s_barrier
	buffer_gl0_inv
	s_and_saveexec_b32 s3, s0
	s_cbranch_execz .LBB59_188
; %bb.179:
	s_and_not1_b32 vcc_lo, exec_lo, s2
	s_cbranch_vccnz .LBB59_181
; %bb.180:
	scratch_load_b64 v[121:122], v125, off
	ds_load_b64 v[146:147], v124
	s_waitcnt vmcnt(0) lgkmcnt(0)
	v_mul_f64 v[121:122], v[121:122], v[146:147]
	s_cbranch_execz .LBB59_182
	s_branch .LBB59_183
.LBB59_181:
                                        ; implicit-def: $vgpr121_vgpr122
.LBB59_182:
	ds_load_b64 v[121:122], v124
.LBB59_183:
	s_and_saveexec_b32 s4, s1
	s_cbranch_execz .LBB59_187
; %bb.184:
	v_mov_b32_e32 v146, 0
	v_subrev_nc_u32_e32 v147, 41, v0
	s_movk_i32 s5, 0x328
	s_mov_b32 s1, 0
	s_delay_alu instid0(VALU_DEP_2)
	v_add_nc_u32_e32 v146, 0x148, v146
.LBB59_185:                             ; =>This Inner Loop Header: Depth=1
	scratch_load_b64 v[148:149], v146, off
	v_dual_mov_b32 v150, s5 :: v_dual_add_nc_u32 v147, -1, v147
	v_add_nc_u32_e32 v146, 8, v146
	s_add_i32 s5, s5, 8
	ds_load_b64 v[150:151], v150
	v_cmp_eq_u32_e32 vcc_lo, 0, v147
	s_or_b32 s1, vcc_lo, s1
	s_waitcnt vmcnt(0) lgkmcnt(0)
	v_fma_f64 v[121:122], v[148:149], v[150:151], v[121:122]
	s_and_not1_b32 exec_lo, exec_lo, s1
	s_cbranch_execnz .LBB59_185
; %bb.186:
	s_or_b32 exec_lo, exec_lo, s1
.LBB59_187:
	s_delay_alu instid0(SALU_CYCLE_1)
	s_or_b32 exec_lo, exec_lo, s4
	v_mov_b32_e32 v146, 0
	ds_load_b64 v[146:147], v146 offset:320
	s_waitcnt lgkmcnt(0)
	v_mul_f64 v[121:122], v[121:122], v[146:147]
	scratch_store_b64 off, v[121:122], off offset:320
.LBB59_188:
	s_or_b32 exec_lo, exec_lo, s3
	scratch_load_b64 v[121:122], off, off offset:312
	v_cmp_lt_u32_e64 s1, 39, v0
	s_waitcnt vmcnt(0)
	ds_store_b64 v124, v[121:122]
	s_waitcnt lgkmcnt(0)
	s_waitcnt_vscnt null, 0x0
	s_barrier
	buffer_gl0_inv
	s_and_saveexec_b32 s3, s1
	s_cbranch_execz .LBB59_198
; %bb.189:
	s_and_not1_b32 vcc_lo, exec_lo, s2
	s_cbranch_vccnz .LBB59_191
; %bb.190:
	scratch_load_b64 v[121:122], v125, off
	ds_load_b64 v[146:147], v124
	s_waitcnt vmcnt(0) lgkmcnt(0)
	v_mul_f64 v[121:122], v[121:122], v[146:147]
	s_cbranch_execz .LBB59_192
	s_branch .LBB59_193
.LBB59_191:
                                        ; implicit-def: $vgpr121_vgpr122
.LBB59_192:
	ds_load_b64 v[121:122], v124
.LBB59_193:
	s_and_saveexec_b32 s4, s0
	s_cbranch_execz .LBB59_197
; %bb.194:
	v_subrev_nc_u32_e32 v146, 40, v0
	s_movk_i32 s5, 0x320
	s_mov_b32 s0, 0
.LBB59_195:                             ; =>This Inner Loop Header: Depth=1
	scratch_load_b64 v[147:148], v145, off
	v_dual_mov_b32 v149, s5 :: v_dual_add_nc_u32 v146, -1, v146
	v_add_nc_u32_e32 v145, 8, v145
	s_add_i32 s5, s5, 8
	ds_load_b64 v[149:150], v149
	v_cmp_eq_u32_e32 vcc_lo, 0, v146
	s_or_b32 s0, vcc_lo, s0
	s_waitcnt vmcnt(0) lgkmcnt(0)
	v_fma_f64 v[121:122], v[147:148], v[149:150], v[121:122]
	s_and_not1_b32 exec_lo, exec_lo, s0
	s_cbranch_execnz .LBB59_195
; %bb.196:
	s_or_b32 exec_lo, exec_lo, s0
.LBB59_197:
	s_delay_alu instid0(SALU_CYCLE_1)
	s_or_b32 exec_lo, exec_lo, s4
	v_mov_b32_e32 v145, 0
	ds_load_b64 v[145:146], v145 offset:312
	s_waitcnt lgkmcnt(0)
	v_mul_f64 v[121:122], v[121:122], v[145:146]
	scratch_store_b64 off, v[121:122], off offset:312
.LBB59_198:
	s_or_b32 exec_lo, exec_lo, s3
	scratch_load_b64 v[121:122], off, off offset:304
	v_cmp_lt_u32_e64 s0, 38, v0
	s_waitcnt vmcnt(0)
	ds_store_b64 v124, v[121:122]
	s_waitcnt lgkmcnt(0)
	s_waitcnt_vscnt null, 0x0
	s_barrier
	buffer_gl0_inv
	s_and_saveexec_b32 s3, s0
	s_cbranch_execz .LBB59_208
; %bb.199:
	s_and_not1_b32 vcc_lo, exec_lo, s2
	s_cbranch_vccnz .LBB59_201
; %bb.200:
	scratch_load_b64 v[121:122], v125, off
	ds_load_b64 v[145:146], v124
	s_waitcnt vmcnt(0) lgkmcnt(0)
	v_mul_f64 v[121:122], v[121:122], v[145:146]
	s_cbranch_execz .LBB59_202
	s_branch .LBB59_203
.LBB59_201:
                                        ; implicit-def: $vgpr121_vgpr122
.LBB59_202:
	ds_load_b64 v[121:122], v124
.LBB59_203:
	s_and_saveexec_b32 s4, s1
	s_cbranch_execz .LBB59_207
; %bb.204:
	v_mov_b32_e32 v145, 0
	v_subrev_nc_u32_e32 v146, 39, v0
	s_movk_i32 s5, 0x318
	s_mov_b32 s1, 0
	s_delay_alu instid0(VALU_DEP_2)
	v_add_nc_u32_e32 v145, 0x138, v145
.LBB59_205:                             ; =>This Inner Loop Header: Depth=1
	scratch_load_b64 v[147:148], v145, off
	v_dual_mov_b32 v149, s5 :: v_dual_add_nc_u32 v146, -1, v146
	v_add_nc_u32_e32 v145, 8, v145
	s_add_i32 s5, s5, 8
	ds_load_b64 v[149:150], v149
	v_cmp_eq_u32_e32 vcc_lo, 0, v146
	s_or_b32 s1, vcc_lo, s1
	s_waitcnt vmcnt(0) lgkmcnt(0)
	v_fma_f64 v[121:122], v[147:148], v[149:150], v[121:122]
	s_and_not1_b32 exec_lo, exec_lo, s1
	s_cbranch_execnz .LBB59_205
; %bb.206:
	s_or_b32 exec_lo, exec_lo, s1
.LBB59_207:
	s_delay_alu instid0(SALU_CYCLE_1)
	s_or_b32 exec_lo, exec_lo, s4
	v_mov_b32_e32 v145, 0
	ds_load_b64 v[145:146], v145 offset:304
	s_waitcnt lgkmcnt(0)
	v_mul_f64 v[121:122], v[121:122], v[145:146]
	scratch_store_b64 off, v[121:122], off offset:304
.LBB59_208:
	s_or_b32 exec_lo, exec_lo, s3
	scratch_load_b64 v[121:122], off, off offset:296
	v_cmp_lt_u32_e64 s1, 37, v0
	s_waitcnt vmcnt(0)
	ds_store_b64 v124, v[121:122]
	s_waitcnt lgkmcnt(0)
	s_waitcnt_vscnt null, 0x0
	s_barrier
	buffer_gl0_inv
	s_and_saveexec_b32 s3, s1
	s_cbranch_execz .LBB59_218
; %bb.209:
	s_and_not1_b32 vcc_lo, exec_lo, s2
	s_cbranch_vccnz .LBB59_211
; %bb.210:
	scratch_load_b64 v[121:122], v125, off
	ds_load_b64 v[145:146], v124
	s_waitcnt vmcnt(0) lgkmcnt(0)
	v_mul_f64 v[121:122], v[121:122], v[145:146]
	s_cbranch_execz .LBB59_212
	s_branch .LBB59_213
.LBB59_211:
                                        ; implicit-def: $vgpr121_vgpr122
.LBB59_212:
	ds_load_b64 v[121:122], v124
.LBB59_213:
	s_and_saveexec_b32 s4, s0
	s_cbranch_execz .LBB59_217
; %bb.214:
	v_subrev_nc_u32_e32 v145, 38, v0
	s_movk_i32 s5, 0x310
	s_mov_b32 s0, 0
.LBB59_215:                             ; =>This Inner Loop Header: Depth=1
	scratch_load_b64 v[146:147], v144, off
	v_dual_mov_b32 v148, s5 :: v_dual_add_nc_u32 v145, -1, v145
	v_add_nc_u32_e32 v144, 8, v144
	s_add_i32 s5, s5, 8
	ds_load_b64 v[148:149], v148
	v_cmp_eq_u32_e32 vcc_lo, 0, v145
	s_or_b32 s0, vcc_lo, s0
	s_waitcnt vmcnt(0) lgkmcnt(0)
	v_fma_f64 v[121:122], v[146:147], v[148:149], v[121:122]
	s_and_not1_b32 exec_lo, exec_lo, s0
	s_cbranch_execnz .LBB59_215
; %bb.216:
	s_or_b32 exec_lo, exec_lo, s0
.LBB59_217:
	s_delay_alu instid0(SALU_CYCLE_1)
	s_or_b32 exec_lo, exec_lo, s4
	v_mov_b32_e32 v144, 0
	ds_load_b64 v[144:145], v144 offset:296
	s_waitcnt lgkmcnt(0)
	v_mul_f64 v[121:122], v[121:122], v[144:145]
	scratch_store_b64 off, v[121:122], off offset:296
.LBB59_218:
	s_or_b32 exec_lo, exec_lo, s3
	scratch_load_b64 v[121:122], off, off offset:288
	v_cmp_lt_u32_e64 s0, 36, v0
	s_waitcnt vmcnt(0)
	ds_store_b64 v124, v[121:122]
	s_waitcnt lgkmcnt(0)
	s_waitcnt_vscnt null, 0x0
	s_barrier
	buffer_gl0_inv
	s_and_saveexec_b32 s3, s0
	s_cbranch_execz .LBB59_228
; %bb.219:
	s_and_not1_b32 vcc_lo, exec_lo, s2
	s_cbranch_vccnz .LBB59_221
; %bb.220:
	scratch_load_b64 v[121:122], v125, off
	ds_load_b64 v[144:145], v124
	s_waitcnt vmcnt(0) lgkmcnt(0)
	v_mul_f64 v[121:122], v[121:122], v[144:145]
	s_cbranch_execz .LBB59_222
	s_branch .LBB59_223
.LBB59_221:
                                        ; implicit-def: $vgpr121_vgpr122
.LBB59_222:
	ds_load_b64 v[121:122], v124
.LBB59_223:
	s_and_saveexec_b32 s4, s1
	s_cbranch_execz .LBB59_227
; %bb.224:
	v_mov_b32_e32 v144, 0
	v_subrev_nc_u32_e32 v145, 37, v0
	s_movk_i32 s5, 0x308
	s_mov_b32 s1, 0
	s_delay_alu instid0(VALU_DEP_2)
	v_add_nc_u32_e32 v144, 0x128, v144
.LBB59_225:                             ; =>This Inner Loop Header: Depth=1
	scratch_load_b64 v[146:147], v144, off
	v_dual_mov_b32 v148, s5 :: v_dual_add_nc_u32 v145, -1, v145
	v_add_nc_u32_e32 v144, 8, v144
	s_add_i32 s5, s5, 8
	ds_load_b64 v[148:149], v148
	v_cmp_eq_u32_e32 vcc_lo, 0, v145
	s_or_b32 s1, vcc_lo, s1
	s_waitcnt vmcnt(0) lgkmcnt(0)
	v_fma_f64 v[121:122], v[146:147], v[148:149], v[121:122]
	s_and_not1_b32 exec_lo, exec_lo, s1
	s_cbranch_execnz .LBB59_225
; %bb.226:
	s_or_b32 exec_lo, exec_lo, s1
.LBB59_227:
	s_delay_alu instid0(SALU_CYCLE_1)
	s_or_b32 exec_lo, exec_lo, s4
	v_mov_b32_e32 v144, 0
	ds_load_b64 v[144:145], v144 offset:288
	s_waitcnt lgkmcnt(0)
	v_mul_f64 v[121:122], v[121:122], v[144:145]
	scratch_store_b64 off, v[121:122], off offset:288
.LBB59_228:
	s_or_b32 exec_lo, exec_lo, s3
	scratch_load_b64 v[121:122], off, off offset:280
	v_cmp_lt_u32_e64 s1, 35, v0
	s_waitcnt vmcnt(0)
	ds_store_b64 v124, v[121:122]
	s_waitcnt lgkmcnt(0)
	s_waitcnt_vscnt null, 0x0
	s_barrier
	buffer_gl0_inv
	s_and_saveexec_b32 s3, s1
	s_cbranch_execz .LBB59_238
; %bb.229:
	s_and_not1_b32 vcc_lo, exec_lo, s2
	s_cbranch_vccnz .LBB59_231
; %bb.230:
	scratch_load_b64 v[121:122], v125, off
	ds_load_b64 v[144:145], v124
	s_waitcnt vmcnt(0) lgkmcnt(0)
	v_mul_f64 v[121:122], v[121:122], v[144:145]
	s_cbranch_execz .LBB59_232
	s_branch .LBB59_233
.LBB59_231:
                                        ; implicit-def: $vgpr121_vgpr122
.LBB59_232:
	ds_load_b64 v[121:122], v124
.LBB59_233:
	s_and_saveexec_b32 s4, s0
	s_cbranch_execz .LBB59_237
; %bb.234:
	v_subrev_nc_u32_e32 v144, 36, v0
	s_movk_i32 s5, 0x300
	s_mov_b32 s0, 0
.LBB59_235:                             ; =>This Inner Loop Header: Depth=1
	scratch_load_b64 v[145:146], v143, off
	v_dual_mov_b32 v147, s5 :: v_dual_add_nc_u32 v144, -1, v144
	v_add_nc_u32_e32 v143, 8, v143
	s_add_i32 s5, s5, 8
	ds_load_b64 v[147:148], v147
	v_cmp_eq_u32_e32 vcc_lo, 0, v144
	s_or_b32 s0, vcc_lo, s0
	s_waitcnt vmcnt(0) lgkmcnt(0)
	v_fma_f64 v[121:122], v[145:146], v[147:148], v[121:122]
	s_and_not1_b32 exec_lo, exec_lo, s0
	s_cbranch_execnz .LBB59_235
; %bb.236:
	s_or_b32 exec_lo, exec_lo, s0
.LBB59_237:
	s_delay_alu instid0(SALU_CYCLE_1)
	s_or_b32 exec_lo, exec_lo, s4
	v_mov_b32_e32 v143, 0
	ds_load_b64 v[143:144], v143 offset:280
	s_waitcnt lgkmcnt(0)
	v_mul_f64 v[121:122], v[121:122], v[143:144]
	scratch_store_b64 off, v[121:122], off offset:280
.LBB59_238:
	s_or_b32 exec_lo, exec_lo, s3
	scratch_load_b64 v[121:122], off, off offset:272
	v_cmp_lt_u32_e64 s0, 34, v0
	s_waitcnt vmcnt(0)
	ds_store_b64 v124, v[121:122]
	s_waitcnt lgkmcnt(0)
	s_waitcnt_vscnt null, 0x0
	s_barrier
	buffer_gl0_inv
	s_and_saveexec_b32 s3, s0
	s_cbranch_execz .LBB59_248
; %bb.239:
	s_and_not1_b32 vcc_lo, exec_lo, s2
	s_cbranch_vccnz .LBB59_241
; %bb.240:
	scratch_load_b64 v[121:122], v125, off
	ds_load_b64 v[143:144], v124
	s_waitcnt vmcnt(0) lgkmcnt(0)
	v_mul_f64 v[121:122], v[121:122], v[143:144]
	s_cbranch_execz .LBB59_242
	s_branch .LBB59_243
.LBB59_241:
                                        ; implicit-def: $vgpr121_vgpr122
.LBB59_242:
	ds_load_b64 v[121:122], v124
.LBB59_243:
	s_and_saveexec_b32 s4, s1
	s_cbranch_execz .LBB59_247
; %bb.244:
	v_mov_b32_e32 v143, 0
	v_subrev_nc_u32_e32 v144, 35, v0
	s_movk_i32 s5, 0x2f8
	s_mov_b32 s1, 0
	s_delay_alu instid0(VALU_DEP_2)
	v_add_nc_u32_e32 v143, 0x118, v143
.LBB59_245:                             ; =>This Inner Loop Header: Depth=1
	scratch_load_b64 v[145:146], v143, off
	v_dual_mov_b32 v147, s5 :: v_dual_add_nc_u32 v144, -1, v144
	v_add_nc_u32_e32 v143, 8, v143
	s_add_i32 s5, s5, 8
	ds_load_b64 v[147:148], v147
	v_cmp_eq_u32_e32 vcc_lo, 0, v144
	s_or_b32 s1, vcc_lo, s1
	s_waitcnt vmcnt(0) lgkmcnt(0)
	v_fma_f64 v[121:122], v[145:146], v[147:148], v[121:122]
	s_and_not1_b32 exec_lo, exec_lo, s1
	s_cbranch_execnz .LBB59_245
; %bb.246:
	s_or_b32 exec_lo, exec_lo, s1
.LBB59_247:
	s_delay_alu instid0(SALU_CYCLE_1)
	s_or_b32 exec_lo, exec_lo, s4
	v_mov_b32_e32 v143, 0
	ds_load_b64 v[143:144], v143 offset:272
	s_waitcnt lgkmcnt(0)
	v_mul_f64 v[121:122], v[121:122], v[143:144]
	scratch_store_b64 off, v[121:122], off offset:272
.LBB59_248:
	s_or_b32 exec_lo, exec_lo, s3
	scratch_load_b64 v[121:122], off, off offset:264
	v_cmp_lt_u32_e64 s1, 33, v0
	s_waitcnt vmcnt(0)
	ds_store_b64 v124, v[121:122]
	s_waitcnt lgkmcnt(0)
	s_waitcnt_vscnt null, 0x0
	s_barrier
	buffer_gl0_inv
	s_and_saveexec_b32 s3, s1
	s_cbranch_execz .LBB59_258
; %bb.249:
	s_and_not1_b32 vcc_lo, exec_lo, s2
	s_cbranch_vccnz .LBB59_251
; %bb.250:
	scratch_load_b64 v[121:122], v125, off
	ds_load_b64 v[143:144], v124
	s_waitcnt vmcnt(0) lgkmcnt(0)
	v_mul_f64 v[121:122], v[121:122], v[143:144]
	s_cbranch_execz .LBB59_252
	s_branch .LBB59_253
.LBB59_251:
                                        ; implicit-def: $vgpr121_vgpr122
.LBB59_252:
	ds_load_b64 v[121:122], v124
.LBB59_253:
	s_and_saveexec_b32 s4, s0
	s_cbranch_execz .LBB59_257
; %bb.254:
	v_subrev_nc_u32_e32 v143, 34, v0
	s_movk_i32 s5, 0x2f0
	s_mov_b32 s0, 0
.LBB59_255:                             ; =>This Inner Loop Header: Depth=1
	scratch_load_b64 v[144:145], v142, off
	v_dual_mov_b32 v146, s5 :: v_dual_add_nc_u32 v143, -1, v143
	v_add_nc_u32_e32 v142, 8, v142
	s_add_i32 s5, s5, 8
	ds_load_b64 v[146:147], v146
	v_cmp_eq_u32_e32 vcc_lo, 0, v143
	s_or_b32 s0, vcc_lo, s0
	s_waitcnt vmcnt(0) lgkmcnt(0)
	v_fma_f64 v[121:122], v[144:145], v[146:147], v[121:122]
	s_and_not1_b32 exec_lo, exec_lo, s0
	s_cbranch_execnz .LBB59_255
; %bb.256:
	s_or_b32 exec_lo, exec_lo, s0
.LBB59_257:
	s_delay_alu instid0(SALU_CYCLE_1)
	s_or_b32 exec_lo, exec_lo, s4
	v_mov_b32_e32 v142, 0
	ds_load_b64 v[142:143], v142 offset:264
	s_waitcnt lgkmcnt(0)
	v_mul_f64 v[121:122], v[121:122], v[142:143]
	scratch_store_b64 off, v[121:122], off offset:264
.LBB59_258:
	s_or_b32 exec_lo, exec_lo, s3
	scratch_load_b64 v[121:122], off, off offset:256
	v_cmp_lt_u32_e64 s0, 32, v0
	s_waitcnt vmcnt(0)
	ds_store_b64 v124, v[121:122]
	s_waitcnt lgkmcnt(0)
	s_waitcnt_vscnt null, 0x0
	s_barrier
	buffer_gl0_inv
	s_and_saveexec_b32 s3, s0
	s_cbranch_execz .LBB59_268
; %bb.259:
	s_and_not1_b32 vcc_lo, exec_lo, s2
	s_cbranch_vccnz .LBB59_261
; %bb.260:
	scratch_load_b64 v[121:122], v125, off
	ds_load_b64 v[142:143], v124
	s_waitcnt vmcnt(0) lgkmcnt(0)
	v_mul_f64 v[121:122], v[121:122], v[142:143]
	s_cbranch_execz .LBB59_262
	s_branch .LBB59_263
.LBB59_261:
                                        ; implicit-def: $vgpr121_vgpr122
.LBB59_262:
	ds_load_b64 v[121:122], v124
.LBB59_263:
	s_and_saveexec_b32 s4, s1
	s_cbranch_execz .LBB59_267
; %bb.264:
	v_mov_b32_e32 v142, 0
	v_subrev_nc_u32_e32 v143, 33, v0
	s_movk_i32 s5, 0x2e8
	s_mov_b32 s1, 0
	s_delay_alu instid0(VALU_DEP_2)
	v_add_nc_u32_e32 v142, 0x108, v142
.LBB59_265:                             ; =>This Inner Loop Header: Depth=1
	scratch_load_b64 v[144:145], v142, off
	v_dual_mov_b32 v146, s5 :: v_dual_add_nc_u32 v143, -1, v143
	v_add_nc_u32_e32 v142, 8, v142
	s_add_i32 s5, s5, 8
	ds_load_b64 v[146:147], v146
	v_cmp_eq_u32_e32 vcc_lo, 0, v143
	s_or_b32 s1, vcc_lo, s1
	s_waitcnt vmcnt(0) lgkmcnt(0)
	v_fma_f64 v[121:122], v[144:145], v[146:147], v[121:122]
	s_and_not1_b32 exec_lo, exec_lo, s1
	s_cbranch_execnz .LBB59_265
; %bb.266:
	s_or_b32 exec_lo, exec_lo, s1
.LBB59_267:
	s_delay_alu instid0(SALU_CYCLE_1)
	s_or_b32 exec_lo, exec_lo, s4
	v_mov_b32_e32 v142, 0
	ds_load_b64 v[142:143], v142 offset:256
	s_waitcnt lgkmcnt(0)
	v_mul_f64 v[121:122], v[121:122], v[142:143]
	scratch_store_b64 off, v[121:122], off offset:256
.LBB59_268:
	s_or_b32 exec_lo, exec_lo, s3
	scratch_load_b64 v[121:122], off, off offset:248
	v_cmp_lt_u32_e64 s1, 31, v0
	s_waitcnt vmcnt(0)
	ds_store_b64 v124, v[121:122]
	s_waitcnt lgkmcnt(0)
	s_waitcnt_vscnt null, 0x0
	s_barrier
	buffer_gl0_inv
	s_and_saveexec_b32 s3, s1
	s_cbranch_execz .LBB59_278
; %bb.269:
	s_and_not1_b32 vcc_lo, exec_lo, s2
	s_cbranch_vccnz .LBB59_271
; %bb.270:
	scratch_load_b64 v[121:122], v125, off
	ds_load_b64 v[142:143], v124
	s_waitcnt vmcnt(0) lgkmcnt(0)
	v_mul_f64 v[121:122], v[121:122], v[142:143]
	s_cbranch_execz .LBB59_272
	s_branch .LBB59_273
.LBB59_271:
                                        ; implicit-def: $vgpr121_vgpr122
.LBB59_272:
	ds_load_b64 v[121:122], v124
.LBB59_273:
	s_and_saveexec_b32 s4, s0
	s_cbranch_execz .LBB59_277
; %bb.274:
	v_subrev_nc_u32_e32 v142, 32, v0
	s_movk_i32 s5, 0x2e0
	s_mov_b32 s0, 0
.LBB59_275:                             ; =>This Inner Loop Header: Depth=1
	scratch_load_b64 v[143:144], v141, off
	v_dual_mov_b32 v145, s5 :: v_dual_add_nc_u32 v142, -1, v142
	v_add_nc_u32_e32 v141, 8, v141
	s_add_i32 s5, s5, 8
	ds_load_b64 v[145:146], v145
	v_cmp_eq_u32_e32 vcc_lo, 0, v142
	s_or_b32 s0, vcc_lo, s0
	s_waitcnt vmcnt(0) lgkmcnt(0)
	v_fma_f64 v[121:122], v[143:144], v[145:146], v[121:122]
	s_and_not1_b32 exec_lo, exec_lo, s0
	s_cbranch_execnz .LBB59_275
; %bb.276:
	s_or_b32 exec_lo, exec_lo, s0
.LBB59_277:
	s_delay_alu instid0(SALU_CYCLE_1)
	s_or_b32 exec_lo, exec_lo, s4
	v_mov_b32_e32 v141, 0
	ds_load_b64 v[141:142], v141 offset:248
	s_waitcnt lgkmcnt(0)
	v_mul_f64 v[121:122], v[121:122], v[141:142]
	scratch_store_b64 off, v[121:122], off offset:248
.LBB59_278:
	s_or_b32 exec_lo, exec_lo, s3
	scratch_load_b64 v[121:122], off, off offset:240
	v_cmp_lt_u32_e64 s0, 30, v0
	s_waitcnt vmcnt(0)
	ds_store_b64 v124, v[121:122]
	s_waitcnt lgkmcnt(0)
	s_waitcnt_vscnt null, 0x0
	s_barrier
	buffer_gl0_inv
	s_and_saveexec_b32 s3, s0
	s_cbranch_execz .LBB59_288
; %bb.279:
	s_and_not1_b32 vcc_lo, exec_lo, s2
	s_cbranch_vccnz .LBB59_281
; %bb.280:
	scratch_load_b64 v[121:122], v125, off
	ds_load_b64 v[141:142], v124
	s_waitcnt vmcnt(0) lgkmcnt(0)
	v_mul_f64 v[121:122], v[121:122], v[141:142]
	s_cbranch_execz .LBB59_282
	s_branch .LBB59_283
.LBB59_281:
                                        ; implicit-def: $vgpr121_vgpr122
.LBB59_282:
	ds_load_b64 v[121:122], v124
.LBB59_283:
	s_and_saveexec_b32 s4, s1
	s_cbranch_execz .LBB59_287
; %bb.284:
	v_mov_b32_e32 v141, 0
	v_subrev_nc_u32_e32 v142, 31, v0
	s_movk_i32 s5, 0x2d8
	s_mov_b32 s1, 0
	s_delay_alu instid0(VALU_DEP_2)
	v_add_nc_u32_e32 v141, 0xf8, v141
.LBB59_285:                             ; =>This Inner Loop Header: Depth=1
	scratch_load_b64 v[143:144], v141, off
	v_dual_mov_b32 v145, s5 :: v_dual_add_nc_u32 v142, -1, v142
	v_add_nc_u32_e32 v141, 8, v141
	s_add_i32 s5, s5, 8
	ds_load_b64 v[145:146], v145
	v_cmp_eq_u32_e32 vcc_lo, 0, v142
	s_or_b32 s1, vcc_lo, s1
	s_waitcnt vmcnt(0) lgkmcnt(0)
	v_fma_f64 v[121:122], v[143:144], v[145:146], v[121:122]
	s_and_not1_b32 exec_lo, exec_lo, s1
	s_cbranch_execnz .LBB59_285
; %bb.286:
	s_or_b32 exec_lo, exec_lo, s1
.LBB59_287:
	s_delay_alu instid0(SALU_CYCLE_1)
	s_or_b32 exec_lo, exec_lo, s4
	v_mov_b32_e32 v141, 0
	ds_load_b64 v[141:142], v141 offset:240
	s_waitcnt lgkmcnt(0)
	v_mul_f64 v[121:122], v[121:122], v[141:142]
	scratch_store_b64 off, v[121:122], off offset:240
.LBB59_288:
	s_or_b32 exec_lo, exec_lo, s3
	scratch_load_b64 v[121:122], off, off offset:232
	v_cmp_lt_u32_e64 s1, 29, v0
	s_waitcnt vmcnt(0)
	ds_store_b64 v124, v[121:122]
	s_waitcnt lgkmcnt(0)
	s_waitcnt_vscnt null, 0x0
	s_barrier
	buffer_gl0_inv
	s_and_saveexec_b32 s3, s1
	s_cbranch_execz .LBB59_298
; %bb.289:
	s_and_not1_b32 vcc_lo, exec_lo, s2
	s_cbranch_vccnz .LBB59_291
; %bb.290:
	scratch_load_b64 v[121:122], v125, off
	ds_load_b64 v[141:142], v124
	s_waitcnt vmcnt(0) lgkmcnt(0)
	v_mul_f64 v[121:122], v[121:122], v[141:142]
	s_cbranch_execz .LBB59_292
	s_branch .LBB59_293
.LBB59_291:
                                        ; implicit-def: $vgpr121_vgpr122
.LBB59_292:
	ds_load_b64 v[121:122], v124
.LBB59_293:
	s_and_saveexec_b32 s4, s0
	s_cbranch_execz .LBB59_297
; %bb.294:
	v_subrev_nc_u32_e32 v141, 30, v0
	s_movk_i32 s5, 0x2d0
	s_mov_b32 s0, 0
.LBB59_295:                             ; =>This Inner Loop Header: Depth=1
	scratch_load_b64 v[142:143], v140, off
	v_dual_mov_b32 v144, s5 :: v_dual_add_nc_u32 v141, -1, v141
	v_add_nc_u32_e32 v140, 8, v140
	s_add_i32 s5, s5, 8
	ds_load_b64 v[144:145], v144
	v_cmp_eq_u32_e32 vcc_lo, 0, v141
	s_or_b32 s0, vcc_lo, s0
	s_waitcnt vmcnt(0) lgkmcnt(0)
	v_fma_f64 v[121:122], v[142:143], v[144:145], v[121:122]
	s_and_not1_b32 exec_lo, exec_lo, s0
	s_cbranch_execnz .LBB59_295
; %bb.296:
	s_or_b32 exec_lo, exec_lo, s0
.LBB59_297:
	s_delay_alu instid0(SALU_CYCLE_1)
	s_or_b32 exec_lo, exec_lo, s4
	v_mov_b32_e32 v140, 0
	ds_load_b64 v[140:141], v140 offset:232
	s_waitcnt lgkmcnt(0)
	v_mul_f64 v[121:122], v[121:122], v[140:141]
	scratch_store_b64 off, v[121:122], off offset:232
.LBB59_298:
	s_or_b32 exec_lo, exec_lo, s3
	scratch_load_b64 v[121:122], off, off offset:224
	v_cmp_lt_u32_e64 s0, 28, v0
	s_waitcnt vmcnt(0)
	ds_store_b64 v124, v[121:122]
	s_waitcnt lgkmcnt(0)
	s_waitcnt_vscnt null, 0x0
	s_barrier
	buffer_gl0_inv
	s_and_saveexec_b32 s3, s0
	s_cbranch_execz .LBB59_308
; %bb.299:
	s_and_not1_b32 vcc_lo, exec_lo, s2
	s_cbranch_vccnz .LBB59_301
; %bb.300:
	scratch_load_b64 v[121:122], v125, off
	ds_load_b64 v[140:141], v124
	s_waitcnt vmcnt(0) lgkmcnt(0)
	v_mul_f64 v[121:122], v[121:122], v[140:141]
	s_cbranch_execz .LBB59_302
	s_branch .LBB59_303
.LBB59_301:
                                        ; implicit-def: $vgpr121_vgpr122
.LBB59_302:
	ds_load_b64 v[121:122], v124
.LBB59_303:
	s_and_saveexec_b32 s4, s1
	s_cbranch_execz .LBB59_307
; %bb.304:
	v_mov_b32_e32 v140, 0
	v_subrev_nc_u32_e32 v141, 29, v0
	s_movk_i32 s5, 0x2c8
	s_mov_b32 s1, 0
	s_delay_alu instid0(VALU_DEP_2)
	v_add_nc_u32_e32 v140, 0xe8, v140
.LBB59_305:                             ; =>This Inner Loop Header: Depth=1
	scratch_load_b64 v[142:143], v140, off
	v_dual_mov_b32 v144, s5 :: v_dual_add_nc_u32 v141, -1, v141
	v_add_nc_u32_e32 v140, 8, v140
	s_add_i32 s5, s5, 8
	ds_load_b64 v[144:145], v144
	v_cmp_eq_u32_e32 vcc_lo, 0, v141
	s_or_b32 s1, vcc_lo, s1
	s_waitcnt vmcnt(0) lgkmcnt(0)
	v_fma_f64 v[121:122], v[142:143], v[144:145], v[121:122]
	s_and_not1_b32 exec_lo, exec_lo, s1
	s_cbranch_execnz .LBB59_305
; %bb.306:
	s_or_b32 exec_lo, exec_lo, s1
.LBB59_307:
	s_delay_alu instid0(SALU_CYCLE_1)
	s_or_b32 exec_lo, exec_lo, s4
	v_mov_b32_e32 v140, 0
	ds_load_b64 v[140:141], v140 offset:224
	s_waitcnt lgkmcnt(0)
	v_mul_f64 v[121:122], v[121:122], v[140:141]
	scratch_store_b64 off, v[121:122], off offset:224
.LBB59_308:
	s_or_b32 exec_lo, exec_lo, s3
	scratch_load_b64 v[121:122], off, off offset:216
	v_cmp_lt_u32_e64 s1, 27, v0
	s_waitcnt vmcnt(0)
	ds_store_b64 v124, v[121:122]
	s_waitcnt lgkmcnt(0)
	s_waitcnt_vscnt null, 0x0
	s_barrier
	buffer_gl0_inv
	s_and_saveexec_b32 s3, s1
	s_cbranch_execz .LBB59_318
; %bb.309:
	s_and_not1_b32 vcc_lo, exec_lo, s2
	s_cbranch_vccnz .LBB59_311
; %bb.310:
	scratch_load_b64 v[121:122], v125, off
	ds_load_b64 v[140:141], v124
	s_waitcnt vmcnt(0) lgkmcnt(0)
	v_mul_f64 v[121:122], v[121:122], v[140:141]
	s_cbranch_execz .LBB59_312
	s_branch .LBB59_313
.LBB59_311:
                                        ; implicit-def: $vgpr121_vgpr122
.LBB59_312:
	ds_load_b64 v[121:122], v124
.LBB59_313:
	s_and_saveexec_b32 s4, s0
	s_cbranch_execz .LBB59_317
; %bb.314:
	v_subrev_nc_u32_e32 v140, 28, v0
	s_movk_i32 s5, 0x2c0
	s_mov_b32 s0, 0
.LBB59_315:                             ; =>This Inner Loop Header: Depth=1
	scratch_load_b64 v[141:142], v139, off
	v_dual_mov_b32 v143, s5 :: v_dual_add_nc_u32 v140, -1, v140
	v_add_nc_u32_e32 v139, 8, v139
	s_add_i32 s5, s5, 8
	ds_load_b64 v[143:144], v143
	v_cmp_eq_u32_e32 vcc_lo, 0, v140
	s_or_b32 s0, vcc_lo, s0
	s_waitcnt vmcnt(0) lgkmcnt(0)
	v_fma_f64 v[121:122], v[141:142], v[143:144], v[121:122]
	s_and_not1_b32 exec_lo, exec_lo, s0
	s_cbranch_execnz .LBB59_315
; %bb.316:
	s_or_b32 exec_lo, exec_lo, s0
.LBB59_317:
	s_delay_alu instid0(SALU_CYCLE_1)
	s_or_b32 exec_lo, exec_lo, s4
	v_mov_b32_e32 v139, 0
	ds_load_b64 v[139:140], v139 offset:216
	s_waitcnt lgkmcnt(0)
	v_mul_f64 v[121:122], v[121:122], v[139:140]
	scratch_store_b64 off, v[121:122], off offset:216
.LBB59_318:
	s_or_b32 exec_lo, exec_lo, s3
	scratch_load_b64 v[121:122], off, off offset:208
	v_cmp_lt_u32_e64 s0, 26, v0
	s_waitcnt vmcnt(0)
	ds_store_b64 v124, v[121:122]
	s_waitcnt lgkmcnt(0)
	s_waitcnt_vscnt null, 0x0
	s_barrier
	buffer_gl0_inv
	s_and_saveexec_b32 s3, s0
	s_cbranch_execz .LBB59_328
; %bb.319:
	s_and_not1_b32 vcc_lo, exec_lo, s2
	s_cbranch_vccnz .LBB59_321
; %bb.320:
	scratch_load_b64 v[121:122], v125, off
	ds_load_b64 v[139:140], v124
	s_waitcnt vmcnt(0) lgkmcnt(0)
	v_mul_f64 v[121:122], v[121:122], v[139:140]
	s_cbranch_execz .LBB59_322
	s_branch .LBB59_323
.LBB59_321:
                                        ; implicit-def: $vgpr121_vgpr122
.LBB59_322:
	ds_load_b64 v[121:122], v124
.LBB59_323:
	s_and_saveexec_b32 s4, s1
	s_cbranch_execz .LBB59_327
; %bb.324:
	v_mov_b32_e32 v139, 0
	v_subrev_nc_u32_e32 v140, 27, v0
	s_movk_i32 s5, 0x2b8
	s_mov_b32 s1, 0
	s_delay_alu instid0(VALU_DEP_2)
	v_add_nc_u32_e32 v139, 0xd8, v139
.LBB59_325:                             ; =>This Inner Loop Header: Depth=1
	scratch_load_b64 v[141:142], v139, off
	v_dual_mov_b32 v143, s5 :: v_dual_add_nc_u32 v140, -1, v140
	v_add_nc_u32_e32 v139, 8, v139
	s_add_i32 s5, s5, 8
	ds_load_b64 v[143:144], v143
	v_cmp_eq_u32_e32 vcc_lo, 0, v140
	s_or_b32 s1, vcc_lo, s1
	s_waitcnt vmcnt(0) lgkmcnt(0)
	v_fma_f64 v[121:122], v[141:142], v[143:144], v[121:122]
	s_and_not1_b32 exec_lo, exec_lo, s1
	s_cbranch_execnz .LBB59_325
; %bb.326:
	s_or_b32 exec_lo, exec_lo, s1
.LBB59_327:
	s_delay_alu instid0(SALU_CYCLE_1)
	s_or_b32 exec_lo, exec_lo, s4
	v_mov_b32_e32 v139, 0
	ds_load_b64 v[139:140], v139 offset:208
	s_waitcnt lgkmcnt(0)
	v_mul_f64 v[121:122], v[121:122], v[139:140]
	scratch_store_b64 off, v[121:122], off offset:208
.LBB59_328:
	s_or_b32 exec_lo, exec_lo, s3
	scratch_load_b64 v[121:122], off, off offset:200
	v_cmp_lt_u32_e64 s1, 25, v0
	s_waitcnt vmcnt(0)
	ds_store_b64 v124, v[121:122]
	s_waitcnt lgkmcnt(0)
	s_waitcnt_vscnt null, 0x0
	s_barrier
	buffer_gl0_inv
	s_and_saveexec_b32 s3, s1
	s_cbranch_execz .LBB59_338
; %bb.329:
	s_and_not1_b32 vcc_lo, exec_lo, s2
	s_cbranch_vccnz .LBB59_331
; %bb.330:
	scratch_load_b64 v[121:122], v125, off
	ds_load_b64 v[139:140], v124
	s_waitcnt vmcnt(0) lgkmcnt(0)
	v_mul_f64 v[121:122], v[121:122], v[139:140]
	s_cbranch_execz .LBB59_332
	s_branch .LBB59_333
.LBB59_331:
                                        ; implicit-def: $vgpr121_vgpr122
.LBB59_332:
	ds_load_b64 v[121:122], v124
.LBB59_333:
	s_and_saveexec_b32 s4, s0
	s_cbranch_execz .LBB59_337
; %bb.334:
	v_subrev_nc_u32_e32 v139, 26, v0
	s_movk_i32 s5, 0x2b0
	s_mov_b32 s0, 0
.LBB59_335:                             ; =>This Inner Loop Header: Depth=1
	scratch_load_b64 v[140:141], v138, off
	v_dual_mov_b32 v142, s5 :: v_dual_add_nc_u32 v139, -1, v139
	v_add_nc_u32_e32 v138, 8, v138
	s_add_i32 s5, s5, 8
	ds_load_b64 v[142:143], v142
	v_cmp_eq_u32_e32 vcc_lo, 0, v139
	s_or_b32 s0, vcc_lo, s0
	s_waitcnt vmcnt(0) lgkmcnt(0)
	v_fma_f64 v[121:122], v[140:141], v[142:143], v[121:122]
	s_and_not1_b32 exec_lo, exec_lo, s0
	s_cbranch_execnz .LBB59_335
; %bb.336:
	s_or_b32 exec_lo, exec_lo, s0
.LBB59_337:
	s_delay_alu instid0(SALU_CYCLE_1)
	s_or_b32 exec_lo, exec_lo, s4
	v_mov_b32_e32 v138, 0
	ds_load_b64 v[138:139], v138 offset:200
	s_waitcnt lgkmcnt(0)
	v_mul_f64 v[121:122], v[121:122], v[138:139]
	scratch_store_b64 off, v[121:122], off offset:200
.LBB59_338:
	s_or_b32 exec_lo, exec_lo, s3
	scratch_load_b64 v[121:122], off, off offset:192
	v_cmp_lt_u32_e64 s0, 24, v0
	s_waitcnt vmcnt(0)
	ds_store_b64 v124, v[121:122]
	s_waitcnt lgkmcnt(0)
	s_waitcnt_vscnt null, 0x0
	s_barrier
	buffer_gl0_inv
	s_and_saveexec_b32 s3, s0
	s_cbranch_execz .LBB59_348
; %bb.339:
	s_and_not1_b32 vcc_lo, exec_lo, s2
	s_cbranch_vccnz .LBB59_341
; %bb.340:
	scratch_load_b64 v[121:122], v125, off
	ds_load_b64 v[138:139], v124
	s_waitcnt vmcnt(0) lgkmcnt(0)
	v_mul_f64 v[121:122], v[121:122], v[138:139]
	s_cbranch_execz .LBB59_342
	s_branch .LBB59_343
.LBB59_341:
                                        ; implicit-def: $vgpr121_vgpr122
.LBB59_342:
	ds_load_b64 v[121:122], v124
.LBB59_343:
	s_and_saveexec_b32 s4, s1
	s_cbranch_execz .LBB59_347
; %bb.344:
	v_mov_b32_e32 v138, 0
	v_subrev_nc_u32_e32 v139, 25, v0
	s_movk_i32 s5, 0x2a8
	s_mov_b32 s1, 0
	s_delay_alu instid0(VALU_DEP_2)
	v_add_nc_u32_e32 v138, 0xc8, v138
.LBB59_345:                             ; =>This Inner Loop Header: Depth=1
	scratch_load_b64 v[140:141], v138, off
	v_dual_mov_b32 v142, s5 :: v_dual_add_nc_u32 v139, -1, v139
	v_add_nc_u32_e32 v138, 8, v138
	s_add_i32 s5, s5, 8
	ds_load_b64 v[142:143], v142
	v_cmp_eq_u32_e32 vcc_lo, 0, v139
	s_or_b32 s1, vcc_lo, s1
	s_waitcnt vmcnt(0) lgkmcnt(0)
	v_fma_f64 v[121:122], v[140:141], v[142:143], v[121:122]
	s_and_not1_b32 exec_lo, exec_lo, s1
	s_cbranch_execnz .LBB59_345
; %bb.346:
	s_or_b32 exec_lo, exec_lo, s1
.LBB59_347:
	s_delay_alu instid0(SALU_CYCLE_1)
	s_or_b32 exec_lo, exec_lo, s4
	v_mov_b32_e32 v138, 0
	ds_load_b64 v[138:139], v138 offset:192
	s_waitcnt lgkmcnt(0)
	v_mul_f64 v[121:122], v[121:122], v[138:139]
	scratch_store_b64 off, v[121:122], off offset:192
.LBB59_348:
	s_or_b32 exec_lo, exec_lo, s3
	scratch_load_b64 v[121:122], off, off offset:184
	v_cmp_lt_u32_e64 s1, 23, v0
	s_waitcnt vmcnt(0)
	ds_store_b64 v124, v[121:122]
	s_waitcnt lgkmcnt(0)
	s_waitcnt_vscnt null, 0x0
	s_barrier
	buffer_gl0_inv
	s_and_saveexec_b32 s3, s1
	s_cbranch_execz .LBB59_358
; %bb.349:
	s_and_not1_b32 vcc_lo, exec_lo, s2
	s_cbranch_vccnz .LBB59_351
; %bb.350:
	scratch_load_b64 v[121:122], v125, off
	ds_load_b64 v[138:139], v124
	s_waitcnt vmcnt(0) lgkmcnt(0)
	v_mul_f64 v[121:122], v[121:122], v[138:139]
	s_cbranch_execz .LBB59_352
	s_branch .LBB59_353
.LBB59_351:
                                        ; implicit-def: $vgpr121_vgpr122
.LBB59_352:
	ds_load_b64 v[121:122], v124
.LBB59_353:
	s_and_saveexec_b32 s4, s0
	s_cbranch_execz .LBB59_357
; %bb.354:
	v_subrev_nc_u32_e32 v138, 24, v0
	s_movk_i32 s5, 0x2a0
	s_mov_b32 s0, 0
.LBB59_355:                             ; =>This Inner Loop Header: Depth=1
	scratch_load_b64 v[139:140], v137, off
	v_dual_mov_b32 v141, s5 :: v_dual_add_nc_u32 v138, -1, v138
	v_add_nc_u32_e32 v137, 8, v137
	s_add_i32 s5, s5, 8
	ds_load_b64 v[141:142], v141
	v_cmp_eq_u32_e32 vcc_lo, 0, v138
	s_or_b32 s0, vcc_lo, s0
	s_waitcnt vmcnt(0) lgkmcnt(0)
	v_fma_f64 v[121:122], v[139:140], v[141:142], v[121:122]
	s_and_not1_b32 exec_lo, exec_lo, s0
	s_cbranch_execnz .LBB59_355
; %bb.356:
	s_or_b32 exec_lo, exec_lo, s0
.LBB59_357:
	s_delay_alu instid0(SALU_CYCLE_1)
	s_or_b32 exec_lo, exec_lo, s4
	v_mov_b32_e32 v137, 0
	ds_load_b64 v[137:138], v137 offset:184
	s_waitcnt lgkmcnt(0)
	v_mul_f64 v[121:122], v[121:122], v[137:138]
	scratch_store_b64 off, v[121:122], off offset:184
.LBB59_358:
	s_or_b32 exec_lo, exec_lo, s3
	scratch_load_b64 v[121:122], off, off offset:176
	v_cmp_lt_u32_e64 s0, 22, v0
	s_waitcnt vmcnt(0)
	ds_store_b64 v124, v[121:122]
	s_waitcnt lgkmcnt(0)
	s_waitcnt_vscnt null, 0x0
	s_barrier
	buffer_gl0_inv
	s_and_saveexec_b32 s3, s0
	s_cbranch_execz .LBB59_368
; %bb.359:
	s_and_not1_b32 vcc_lo, exec_lo, s2
	s_cbranch_vccnz .LBB59_361
; %bb.360:
	scratch_load_b64 v[121:122], v125, off
	ds_load_b64 v[137:138], v124
	s_waitcnt vmcnt(0) lgkmcnt(0)
	v_mul_f64 v[121:122], v[121:122], v[137:138]
	s_cbranch_execz .LBB59_362
	s_branch .LBB59_363
.LBB59_361:
                                        ; implicit-def: $vgpr121_vgpr122
.LBB59_362:
	ds_load_b64 v[121:122], v124
.LBB59_363:
	s_and_saveexec_b32 s4, s1
	s_cbranch_execz .LBB59_367
; %bb.364:
	v_mov_b32_e32 v137, 0
	v_subrev_nc_u32_e32 v138, 23, v0
	s_movk_i32 s5, 0x298
	s_mov_b32 s1, 0
	s_delay_alu instid0(VALU_DEP_2)
	v_add_nc_u32_e32 v137, 0xb8, v137
.LBB59_365:                             ; =>This Inner Loop Header: Depth=1
	scratch_load_b64 v[139:140], v137, off
	v_dual_mov_b32 v141, s5 :: v_dual_add_nc_u32 v138, -1, v138
	v_add_nc_u32_e32 v137, 8, v137
	s_add_i32 s5, s5, 8
	ds_load_b64 v[141:142], v141
	v_cmp_eq_u32_e32 vcc_lo, 0, v138
	s_or_b32 s1, vcc_lo, s1
	s_waitcnt vmcnt(0) lgkmcnt(0)
	v_fma_f64 v[121:122], v[139:140], v[141:142], v[121:122]
	s_and_not1_b32 exec_lo, exec_lo, s1
	s_cbranch_execnz .LBB59_365
; %bb.366:
	s_or_b32 exec_lo, exec_lo, s1
.LBB59_367:
	s_delay_alu instid0(SALU_CYCLE_1)
	s_or_b32 exec_lo, exec_lo, s4
	v_mov_b32_e32 v137, 0
	ds_load_b64 v[137:138], v137 offset:176
	s_waitcnt lgkmcnt(0)
	v_mul_f64 v[121:122], v[121:122], v[137:138]
	scratch_store_b64 off, v[121:122], off offset:176
.LBB59_368:
	s_or_b32 exec_lo, exec_lo, s3
	scratch_load_b64 v[121:122], off, off offset:168
	v_cmp_lt_u32_e64 s1, 21, v0
	s_waitcnt vmcnt(0)
	ds_store_b64 v124, v[121:122]
	s_waitcnt lgkmcnt(0)
	s_waitcnt_vscnt null, 0x0
	s_barrier
	buffer_gl0_inv
	s_and_saveexec_b32 s3, s1
	s_cbranch_execz .LBB59_378
; %bb.369:
	s_and_not1_b32 vcc_lo, exec_lo, s2
	s_cbranch_vccnz .LBB59_371
; %bb.370:
	scratch_load_b64 v[121:122], v125, off
	ds_load_b64 v[137:138], v124
	s_waitcnt vmcnt(0) lgkmcnt(0)
	v_mul_f64 v[121:122], v[121:122], v[137:138]
	s_cbranch_execz .LBB59_372
	s_branch .LBB59_373
.LBB59_371:
                                        ; implicit-def: $vgpr121_vgpr122
.LBB59_372:
	ds_load_b64 v[121:122], v124
.LBB59_373:
	s_and_saveexec_b32 s4, s0
	s_cbranch_execz .LBB59_377
; %bb.374:
	v_subrev_nc_u32_e32 v137, 22, v0
	s_movk_i32 s5, 0x290
	s_mov_b32 s0, 0
.LBB59_375:                             ; =>This Inner Loop Header: Depth=1
	scratch_load_b64 v[138:139], v136, off
	v_dual_mov_b32 v140, s5 :: v_dual_add_nc_u32 v137, -1, v137
	v_add_nc_u32_e32 v136, 8, v136
	s_add_i32 s5, s5, 8
	ds_load_b64 v[140:141], v140
	v_cmp_eq_u32_e32 vcc_lo, 0, v137
	s_or_b32 s0, vcc_lo, s0
	s_waitcnt vmcnt(0) lgkmcnt(0)
	v_fma_f64 v[121:122], v[138:139], v[140:141], v[121:122]
	s_and_not1_b32 exec_lo, exec_lo, s0
	s_cbranch_execnz .LBB59_375
; %bb.376:
	s_or_b32 exec_lo, exec_lo, s0
.LBB59_377:
	s_delay_alu instid0(SALU_CYCLE_1)
	s_or_b32 exec_lo, exec_lo, s4
	v_mov_b32_e32 v136, 0
	ds_load_b64 v[136:137], v136 offset:168
	s_waitcnt lgkmcnt(0)
	v_mul_f64 v[121:122], v[121:122], v[136:137]
	scratch_store_b64 off, v[121:122], off offset:168
.LBB59_378:
	s_or_b32 exec_lo, exec_lo, s3
	scratch_load_b64 v[121:122], off, off offset:160
	v_cmp_lt_u32_e64 s0, 20, v0
	s_waitcnt vmcnt(0)
	ds_store_b64 v124, v[121:122]
	s_waitcnt lgkmcnt(0)
	s_waitcnt_vscnt null, 0x0
	s_barrier
	buffer_gl0_inv
	s_and_saveexec_b32 s3, s0
	s_cbranch_execz .LBB59_388
; %bb.379:
	s_and_not1_b32 vcc_lo, exec_lo, s2
	s_cbranch_vccnz .LBB59_381
; %bb.380:
	scratch_load_b64 v[121:122], v125, off
	ds_load_b64 v[136:137], v124
	s_waitcnt vmcnt(0) lgkmcnt(0)
	v_mul_f64 v[121:122], v[121:122], v[136:137]
	s_cbranch_execz .LBB59_382
	s_branch .LBB59_383
.LBB59_381:
                                        ; implicit-def: $vgpr121_vgpr122
.LBB59_382:
	ds_load_b64 v[121:122], v124
.LBB59_383:
	s_and_saveexec_b32 s4, s1
	s_cbranch_execz .LBB59_387
; %bb.384:
	v_mov_b32_e32 v136, 0
	v_subrev_nc_u32_e32 v137, 21, v0
	s_movk_i32 s5, 0x288
	s_mov_b32 s1, 0
	s_delay_alu instid0(VALU_DEP_2)
	v_add_nc_u32_e32 v136, 0xa8, v136
.LBB59_385:                             ; =>This Inner Loop Header: Depth=1
	scratch_load_b64 v[138:139], v136, off
	v_dual_mov_b32 v140, s5 :: v_dual_add_nc_u32 v137, -1, v137
	v_add_nc_u32_e32 v136, 8, v136
	s_add_i32 s5, s5, 8
	ds_load_b64 v[140:141], v140
	v_cmp_eq_u32_e32 vcc_lo, 0, v137
	s_or_b32 s1, vcc_lo, s1
	s_waitcnt vmcnt(0) lgkmcnt(0)
	v_fma_f64 v[121:122], v[138:139], v[140:141], v[121:122]
	s_and_not1_b32 exec_lo, exec_lo, s1
	s_cbranch_execnz .LBB59_385
; %bb.386:
	s_or_b32 exec_lo, exec_lo, s1
.LBB59_387:
	s_delay_alu instid0(SALU_CYCLE_1)
	s_or_b32 exec_lo, exec_lo, s4
	v_mov_b32_e32 v136, 0
	ds_load_b64 v[136:137], v136 offset:160
	s_waitcnt lgkmcnt(0)
	v_mul_f64 v[121:122], v[121:122], v[136:137]
	scratch_store_b64 off, v[121:122], off offset:160
.LBB59_388:
	s_or_b32 exec_lo, exec_lo, s3
	scratch_load_b64 v[121:122], off, off offset:152
	v_cmp_lt_u32_e64 s1, 19, v0
	s_waitcnt vmcnt(0)
	ds_store_b64 v124, v[121:122]
	s_waitcnt lgkmcnt(0)
	s_waitcnt_vscnt null, 0x0
	s_barrier
	buffer_gl0_inv
	s_and_saveexec_b32 s3, s1
	s_cbranch_execz .LBB59_398
; %bb.389:
	s_and_not1_b32 vcc_lo, exec_lo, s2
	s_cbranch_vccnz .LBB59_391
; %bb.390:
	scratch_load_b64 v[121:122], v125, off
	ds_load_b64 v[136:137], v124
	s_waitcnt vmcnt(0) lgkmcnt(0)
	v_mul_f64 v[121:122], v[121:122], v[136:137]
	s_cbranch_execz .LBB59_392
	s_branch .LBB59_393
.LBB59_391:
                                        ; implicit-def: $vgpr121_vgpr122
.LBB59_392:
	ds_load_b64 v[121:122], v124
.LBB59_393:
	s_and_saveexec_b32 s4, s0
	s_cbranch_execz .LBB59_397
; %bb.394:
	v_subrev_nc_u32_e32 v136, 20, v0
	s_movk_i32 s5, 0x280
	s_mov_b32 s0, 0
.LBB59_395:                             ; =>This Inner Loop Header: Depth=1
	scratch_load_b64 v[137:138], v135, off
	v_dual_mov_b32 v139, s5 :: v_dual_add_nc_u32 v136, -1, v136
	v_add_nc_u32_e32 v135, 8, v135
	s_add_i32 s5, s5, 8
	ds_load_b64 v[139:140], v139
	v_cmp_eq_u32_e32 vcc_lo, 0, v136
	s_or_b32 s0, vcc_lo, s0
	s_waitcnt vmcnt(0) lgkmcnt(0)
	v_fma_f64 v[121:122], v[137:138], v[139:140], v[121:122]
	s_and_not1_b32 exec_lo, exec_lo, s0
	s_cbranch_execnz .LBB59_395
; %bb.396:
	s_or_b32 exec_lo, exec_lo, s0
.LBB59_397:
	s_delay_alu instid0(SALU_CYCLE_1)
	s_or_b32 exec_lo, exec_lo, s4
	v_mov_b32_e32 v135, 0
	ds_load_b64 v[135:136], v135 offset:152
	s_waitcnt lgkmcnt(0)
	v_mul_f64 v[121:122], v[121:122], v[135:136]
	scratch_store_b64 off, v[121:122], off offset:152
.LBB59_398:
	s_or_b32 exec_lo, exec_lo, s3
	scratch_load_b64 v[121:122], off, off offset:144
	v_cmp_lt_u32_e64 s0, 18, v0
	s_waitcnt vmcnt(0)
	ds_store_b64 v124, v[121:122]
	s_waitcnt lgkmcnt(0)
	s_waitcnt_vscnt null, 0x0
	s_barrier
	buffer_gl0_inv
	s_and_saveexec_b32 s3, s0
	s_cbranch_execz .LBB59_408
; %bb.399:
	s_and_not1_b32 vcc_lo, exec_lo, s2
	s_cbranch_vccnz .LBB59_401
; %bb.400:
	scratch_load_b64 v[121:122], v125, off
	ds_load_b64 v[135:136], v124
	s_waitcnt vmcnt(0) lgkmcnt(0)
	v_mul_f64 v[121:122], v[121:122], v[135:136]
	s_cbranch_execz .LBB59_402
	s_branch .LBB59_403
.LBB59_401:
                                        ; implicit-def: $vgpr121_vgpr122
.LBB59_402:
	ds_load_b64 v[121:122], v124
.LBB59_403:
	s_and_saveexec_b32 s4, s1
	s_cbranch_execz .LBB59_407
; %bb.404:
	v_mov_b32_e32 v135, 0
	v_subrev_nc_u32_e32 v136, 19, v0
	s_movk_i32 s5, 0x278
	s_mov_b32 s1, 0
	s_delay_alu instid0(VALU_DEP_2)
	v_add_nc_u32_e32 v135, 0x98, v135
.LBB59_405:                             ; =>This Inner Loop Header: Depth=1
	scratch_load_b64 v[137:138], v135, off
	v_dual_mov_b32 v139, s5 :: v_dual_add_nc_u32 v136, -1, v136
	v_add_nc_u32_e32 v135, 8, v135
	s_add_i32 s5, s5, 8
	ds_load_b64 v[139:140], v139
	v_cmp_eq_u32_e32 vcc_lo, 0, v136
	s_or_b32 s1, vcc_lo, s1
	s_waitcnt vmcnt(0) lgkmcnt(0)
	v_fma_f64 v[121:122], v[137:138], v[139:140], v[121:122]
	s_and_not1_b32 exec_lo, exec_lo, s1
	s_cbranch_execnz .LBB59_405
; %bb.406:
	s_or_b32 exec_lo, exec_lo, s1
.LBB59_407:
	s_delay_alu instid0(SALU_CYCLE_1)
	s_or_b32 exec_lo, exec_lo, s4
	v_mov_b32_e32 v135, 0
	ds_load_b64 v[135:136], v135 offset:144
	s_waitcnt lgkmcnt(0)
	v_mul_f64 v[121:122], v[121:122], v[135:136]
	scratch_store_b64 off, v[121:122], off offset:144
.LBB59_408:
	s_or_b32 exec_lo, exec_lo, s3
	scratch_load_b64 v[121:122], off, off offset:136
	v_cmp_lt_u32_e64 s1, 17, v0
	s_waitcnt vmcnt(0)
	ds_store_b64 v124, v[121:122]
	s_waitcnt lgkmcnt(0)
	s_waitcnt_vscnt null, 0x0
	s_barrier
	buffer_gl0_inv
	s_and_saveexec_b32 s3, s1
	s_cbranch_execz .LBB59_418
; %bb.409:
	s_and_not1_b32 vcc_lo, exec_lo, s2
	s_cbranch_vccnz .LBB59_411
; %bb.410:
	scratch_load_b64 v[121:122], v125, off
	ds_load_b64 v[135:136], v124
	s_waitcnt vmcnt(0) lgkmcnt(0)
	v_mul_f64 v[121:122], v[121:122], v[135:136]
	s_cbranch_execz .LBB59_412
	s_branch .LBB59_413
.LBB59_411:
                                        ; implicit-def: $vgpr121_vgpr122
.LBB59_412:
	ds_load_b64 v[121:122], v124
.LBB59_413:
	s_and_saveexec_b32 s4, s0
	s_cbranch_execz .LBB59_417
; %bb.414:
	v_subrev_nc_u32_e32 v135, 18, v0
	s_movk_i32 s5, 0x270
	s_mov_b32 s0, 0
.LBB59_415:                             ; =>This Inner Loop Header: Depth=1
	scratch_load_b64 v[136:137], v134, off
	v_dual_mov_b32 v138, s5 :: v_dual_add_nc_u32 v135, -1, v135
	v_add_nc_u32_e32 v134, 8, v134
	s_add_i32 s5, s5, 8
	ds_load_b64 v[138:139], v138
	v_cmp_eq_u32_e32 vcc_lo, 0, v135
	s_or_b32 s0, vcc_lo, s0
	s_waitcnt vmcnt(0) lgkmcnt(0)
	v_fma_f64 v[121:122], v[136:137], v[138:139], v[121:122]
	s_and_not1_b32 exec_lo, exec_lo, s0
	s_cbranch_execnz .LBB59_415
; %bb.416:
	s_or_b32 exec_lo, exec_lo, s0
.LBB59_417:
	s_delay_alu instid0(SALU_CYCLE_1)
	s_or_b32 exec_lo, exec_lo, s4
	v_mov_b32_e32 v134, 0
	ds_load_b64 v[134:135], v134 offset:136
	s_waitcnt lgkmcnt(0)
	v_mul_f64 v[121:122], v[121:122], v[134:135]
	scratch_store_b64 off, v[121:122], off offset:136
.LBB59_418:
	s_or_b32 exec_lo, exec_lo, s3
	scratch_load_b64 v[121:122], off, off offset:128
	v_cmp_lt_u32_e64 s0, 16, v0
	s_waitcnt vmcnt(0)
	ds_store_b64 v124, v[121:122]
	s_waitcnt lgkmcnt(0)
	s_waitcnt_vscnt null, 0x0
	s_barrier
	buffer_gl0_inv
	s_and_saveexec_b32 s3, s0
	s_cbranch_execz .LBB59_428
; %bb.419:
	s_and_not1_b32 vcc_lo, exec_lo, s2
	s_cbranch_vccnz .LBB59_421
; %bb.420:
	scratch_load_b64 v[121:122], v125, off
	ds_load_b64 v[134:135], v124
	s_waitcnt vmcnt(0) lgkmcnt(0)
	v_mul_f64 v[121:122], v[121:122], v[134:135]
	s_cbranch_execz .LBB59_422
	s_branch .LBB59_423
.LBB59_421:
                                        ; implicit-def: $vgpr121_vgpr122
.LBB59_422:
	ds_load_b64 v[121:122], v124
.LBB59_423:
	s_and_saveexec_b32 s4, s1
	s_cbranch_execz .LBB59_427
; %bb.424:
	v_mov_b32_e32 v134, 0
	v_subrev_nc_u32_e32 v135, 17, v0
	s_movk_i32 s5, 0x268
	s_mov_b32 s1, 0
	s_delay_alu instid0(VALU_DEP_2)
	v_add_nc_u32_e32 v134, 0x88, v134
.LBB59_425:                             ; =>This Inner Loop Header: Depth=1
	scratch_load_b64 v[136:137], v134, off
	v_dual_mov_b32 v138, s5 :: v_dual_add_nc_u32 v135, -1, v135
	v_add_nc_u32_e32 v134, 8, v134
	s_add_i32 s5, s5, 8
	ds_load_b64 v[138:139], v138
	v_cmp_eq_u32_e32 vcc_lo, 0, v135
	s_or_b32 s1, vcc_lo, s1
	s_waitcnt vmcnt(0) lgkmcnt(0)
	v_fma_f64 v[121:122], v[136:137], v[138:139], v[121:122]
	s_and_not1_b32 exec_lo, exec_lo, s1
	s_cbranch_execnz .LBB59_425
; %bb.426:
	s_or_b32 exec_lo, exec_lo, s1
.LBB59_427:
	s_delay_alu instid0(SALU_CYCLE_1)
	s_or_b32 exec_lo, exec_lo, s4
	v_mov_b32_e32 v134, 0
	ds_load_b64 v[134:135], v134 offset:128
	s_waitcnt lgkmcnt(0)
	v_mul_f64 v[121:122], v[121:122], v[134:135]
	scratch_store_b64 off, v[121:122], off offset:128
.LBB59_428:
	s_or_b32 exec_lo, exec_lo, s3
	scratch_load_b64 v[121:122], off, off offset:120
	v_cmp_lt_u32_e64 s1, 15, v0
	s_waitcnt vmcnt(0)
	ds_store_b64 v124, v[121:122]
	s_waitcnt lgkmcnt(0)
	s_waitcnt_vscnt null, 0x0
	s_barrier
	buffer_gl0_inv
	s_and_saveexec_b32 s3, s1
	s_cbranch_execz .LBB59_438
; %bb.429:
	s_and_not1_b32 vcc_lo, exec_lo, s2
	s_cbranch_vccnz .LBB59_431
; %bb.430:
	scratch_load_b64 v[121:122], v125, off
	ds_load_b64 v[134:135], v124
	s_waitcnt vmcnt(0) lgkmcnt(0)
	v_mul_f64 v[121:122], v[121:122], v[134:135]
	s_cbranch_execz .LBB59_432
	s_branch .LBB59_433
.LBB59_431:
                                        ; implicit-def: $vgpr121_vgpr122
.LBB59_432:
	ds_load_b64 v[121:122], v124
.LBB59_433:
	s_and_saveexec_b32 s4, s0
	s_cbranch_execz .LBB59_437
; %bb.434:
	v_add_nc_u32_e32 v134, -16, v0
	s_movk_i32 s5, 0x260
	s_mov_b32 s0, 0
.LBB59_435:                             ; =>This Inner Loop Header: Depth=1
	scratch_load_b64 v[135:136], v133, off
	v_dual_mov_b32 v137, s5 :: v_dual_add_nc_u32 v134, -1, v134
	v_add_nc_u32_e32 v133, 8, v133
	s_add_i32 s5, s5, 8
	ds_load_b64 v[137:138], v137
	v_cmp_eq_u32_e32 vcc_lo, 0, v134
	s_or_b32 s0, vcc_lo, s0
	s_waitcnt vmcnt(0) lgkmcnt(0)
	v_fma_f64 v[121:122], v[135:136], v[137:138], v[121:122]
	s_and_not1_b32 exec_lo, exec_lo, s0
	s_cbranch_execnz .LBB59_435
; %bb.436:
	s_or_b32 exec_lo, exec_lo, s0
.LBB59_437:
	s_delay_alu instid0(SALU_CYCLE_1)
	s_or_b32 exec_lo, exec_lo, s4
	v_mov_b32_e32 v133, 0
	ds_load_b64 v[133:134], v133 offset:120
	s_waitcnt lgkmcnt(0)
	v_mul_f64 v[121:122], v[121:122], v[133:134]
	scratch_store_b64 off, v[121:122], off offset:120
.LBB59_438:
	s_or_b32 exec_lo, exec_lo, s3
	scratch_load_b64 v[121:122], off, off offset:112
	v_cmp_lt_u32_e64 s0, 14, v0
	s_waitcnt vmcnt(0)
	ds_store_b64 v124, v[121:122]
	s_waitcnt lgkmcnt(0)
	s_waitcnt_vscnt null, 0x0
	s_barrier
	buffer_gl0_inv
	s_and_saveexec_b32 s3, s0
	s_cbranch_execz .LBB59_448
; %bb.439:
	s_and_not1_b32 vcc_lo, exec_lo, s2
	s_cbranch_vccnz .LBB59_441
; %bb.440:
	scratch_load_b64 v[121:122], v125, off
	ds_load_b64 v[133:134], v124
	s_waitcnt vmcnt(0) lgkmcnt(0)
	v_mul_f64 v[121:122], v[121:122], v[133:134]
	s_cbranch_execz .LBB59_442
	s_branch .LBB59_443
.LBB59_441:
                                        ; implicit-def: $vgpr121_vgpr122
.LBB59_442:
	ds_load_b64 v[121:122], v124
.LBB59_443:
	s_and_saveexec_b32 s4, s1
	s_cbranch_execz .LBB59_447
; %bb.444:
	v_dual_mov_b32 v133, 0 :: v_dual_add_nc_u32 v134, -15, v0
	s_movk_i32 s5, 0x258
	s_mov_b32 s1, 0
	s_delay_alu instid0(VALU_DEP_1)
	v_add_nc_u32_e32 v133, 0x78, v133
.LBB59_445:                             ; =>This Inner Loop Header: Depth=1
	scratch_load_b64 v[135:136], v133, off
	v_dual_mov_b32 v137, s5 :: v_dual_add_nc_u32 v134, -1, v134
	v_add_nc_u32_e32 v133, 8, v133
	s_add_i32 s5, s5, 8
	ds_load_b64 v[137:138], v137
	v_cmp_eq_u32_e32 vcc_lo, 0, v134
	s_or_b32 s1, vcc_lo, s1
	s_waitcnt vmcnt(0) lgkmcnt(0)
	v_fma_f64 v[121:122], v[135:136], v[137:138], v[121:122]
	s_and_not1_b32 exec_lo, exec_lo, s1
	s_cbranch_execnz .LBB59_445
; %bb.446:
	s_or_b32 exec_lo, exec_lo, s1
.LBB59_447:
	s_delay_alu instid0(SALU_CYCLE_1)
	s_or_b32 exec_lo, exec_lo, s4
	v_mov_b32_e32 v133, 0
	ds_load_b64 v[133:134], v133 offset:112
	s_waitcnt lgkmcnt(0)
	v_mul_f64 v[121:122], v[121:122], v[133:134]
	scratch_store_b64 off, v[121:122], off offset:112
.LBB59_448:
	s_or_b32 exec_lo, exec_lo, s3
	scratch_load_b64 v[121:122], off, off offset:104
	v_cmp_lt_u32_e64 s1, 13, v0
	s_waitcnt vmcnt(0)
	ds_store_b64 v124, v[121:122]
	s_waitcnt lgkmcnt(0)
	s_waitcnt_vscnt null, 0x0
	s_barrier
	buffer_gl0_inv
	s_and_saveexec_b32 s3, s1
	s_cbranch_execz .LBB59_458
; %bb.449:
	s_and_not1_b32 vcc_lo, exec_lo, s2
	s_cbranch_vccnz .LBB59_451
; %bb.450:
	scratch_load_b64 v[121:122], v125, off
	ds_load_b64 v[133:134], v124
	s_waitcnt vmcnt(0) lgkmcnt(0)
	v_mul_f64 v[121:122], v[121:122], v[133:134]
	s_cbranch_execz .LBB59_452
	s_branch .LBB59_453
.LBB59_451:
                                        ; implicit-def: $vgpr121_vgpr122
.LBB59_452:
	ds_load_b64 v[121:122], v124
.LBB59_453:
	s_and_saveexec_b32 s4, s0
	s_cbranch_execz .LBB59_457
; %bb.454:
	v_add_nc_u32_e32 v133, -14, v0
	s_movk_i32 s5, 0x250
	s_mov_b32 s0, 0
.LBB59_455:                             ; =>This Inner Loop Header: Depth=1
	scratch_load_b64 v[134:135], v132, off
	v_dual_mov_b32 v136, s5 :: v_dual_add_nc_u32 v133, -1, v133
	v_add_nc_u32_e32 v132, 8, v132
	s_add_i32 s5, s5, 8
	ds_load_b64 v[136:137], v136
	v_cmp_eq_u32_e32 vcc_lo, 0, v133
	s_or_b32 s0, vcc_lo, s0
	s_waitcnt vmcnt(0) lgkmcnt(0)
	v_fma_f64 v[121:122], v[134:135], v[136:137], v[121:122]
	s_and_not1_b32 exec_lo, exec_lo, s0
	s_cbranch_execnz .LBB59_455
; %bb.456:
	s_or_b32 exec_lo, exec_lo, s0
.LBB59_457:
	s_delay_alu instid0(SALU_CYCLE_1)
	s_or_b32 exec_lo, exec_lo, s4
	v_mov_b32_e32 v132, 0
	ds_load_b64 v[132:133], v132 offset:104
	s_waitcnt lgkmcnt(0)
	v_mul_f64 v[121:122], v[121:122], v[132:133]
	scratch_store_b64 off, v[121:122], off offset:104
.LBB59_458:
	s_or_b32 exec_lo, exec_lo, s3
	scratch_load_b64 v[121:122], off, off offset:96
	v_cmp_lt_u32_e64 s0, 12, v0
	s_waitcnt vmcnt(0)
	ds_store_b64 v124, v[121:122]
	s_waitcnt lgkmcnt(0)
	s_waitcnt_vscnt null, 0x0
	s_barrier
	buffer_gl0_inv
	s_and_saveexec_b32 s3, s0
	s_cbranch_execz .LBB59_468
; %bb.459:
	s_and_not1_b32 vcc_lo, exec_lo, s2
	s_cbranch_vccnz .LBB59_461
; %bb.460:
	scratch_load_b64 v[121:122], v125, off
	ds_load_b64 v[132:133], v124
	s_waitcnt vmcnt(0) lgkmcnt(0)
	v_mul_f64 v[121:122], v[121:122], v[132:133]
	s_cbranch_execz .LBB59_462
	s_branch .LBB59_463
.LBB59_461:
                                        ; implicit-def: $vgpr121_vgpr122
.LBB59_462:
	ds_load_b64 v[121:122], v124
.LBB59_463:
	s_and_saveexec_b32 s4, s1
	s_cbranch_execz .LBB59_467
; %bb.464:
	v_dual_mov_b32 v132, 0 :: v_dual_add_nc_u32 v133, -13, v0
	s_movk_i32 s5, 0x248
	s_mov_b32 s1, 0
	s_delay_alu instid0(VALU_DEP_1)
	v_add_nc_u32_e32 v132, 0x68, v132
.LBB59_465:                             ; =>This Inner Loop Header: Depth=1
	scratch_load_b64 v[134:135], v132, off
	v_dual_mov_b32 v136, s5 :: v_dual_add_nc_u32 v133, -1, v133
	v_add_nc_u32_e32 v132, 8, v132
	s_add_i32 s5, s5, 8
	ds_load_b64 v[136:137], v136
	v_cmp_eq_u32_e32 vcc_lo, 0, v133
	s_or_b32 s1, vcc_lo, s1
	s_waitcnt vmcnt(0) lgkmcnt(0)
	v_fma_f64 v[121:122], v[134:135], v[136:137], v[121:122]
	s_and_not1_b32 exec_lo, exec_lo, s1
	s_cbranch_execnz .LBB59_465
; %bb.466:
	s_or_b32 exec_lo, exec_lo, s1
.LBB59_467:
	s_delay_alu instid0(SALU_CYCLE_1)
	s_or_b32 exec_lo, exec_lo, s4
	v_mov_b32_e32 v132, 0
	ds_load_b64 v[132:133], v132 offset:96
	s_waitcnt lgkmcnt(0)
	v_mul_f64 v[121:122], v[121:122], v[132:133]
	scratch_store_b64 off, v[121:122], off offset:96
.LBB59_468:
	s_or_b32 exec_lo, exec_lo, s3
	scratch_load_b64 v[121:122], off, off offset:88
	v_cmp_lt_u32_e64 s1, 11, v0
	s_waitcnt vmcnt(0)
	ds_store_b64 v124, v[121:122]
	s_waitcnt lgkmcnt(0)
	s_waitcnt_vscnt null, 0x0
	s_barrier
	buffer_gl0_inv
	s_and_saveexec_b32 s3, s1
	s_cbranch_execz .LBB59_478
; %bb.469:
	s_and_not1_b32 vcc_lo, exec_lo, s2
	s_cbranch_vccnz .LBB59_471
; %bb.470:
	scratch_load_b64 v[121:122], v125, off
	ds_load_b64 v[132:133], v124
	s_waitcnt vmcnt(0) lgkmcnt(0)
	v_mul_f64 v[121:122], v[121:122], v[132:133]
	s_cbranch_execz .LBB59_472
	s_branch .LBB59_473
.LBB59_471:
                                        ; implicit-def: $vgpr121_vgpr122
.LBB59_472:
	ds_load_b64 v[121:122], v124
.LBB59_473:
	s_and_saveexec_b32 s4, s0
	s_cbranch_execz .LBB59_477
; %bb.474:
	v_add_nc_u32_e32 v132, -12, v0
	s_movk_i32 s5, 0x240
	s_mov_b32 s0, 0
.LBB59_475:                             ; =>This Inner Loop Header: Depth=1
	scratch_load_b64 v[133:134], v131, off
	v_dual_mov_b32 v135, s5 :: v_dual_add_nc_u32 v132, -1, v132
	v_add_nc_u32_e32 v131, 8, v131
	s_add_i32 s5, s5, 8
	ds_load_b64 v[135:136], v135
	v_cmp_eq_u32_e32 vcc_lo, 0, v132
	s_or_b32 s0, vcc_lo, s0
	s_waitcnt vmcnt(0) lgkmcnt(0)
	v_fma_f64 v[121:122], v[133:134], v[135:136], v[121:122]
	s_and_not1_b32 exec_lo, exec_lo, s0
	s_cbranch_execnz .LBB59_475
; %bb.476:
	s_or_b32 exec_lo, exec_lo, s0
.LBB59_477:
	s_delay_alu instid0(SALU_CYCLE_1)
	s_or_b32 exec_lo, exec_lo, s4
	v_mov_b32_e32 v131, 0
	ds_load_b64 v[131:132], v131 offset:88
	s_waitcnt lgkmcnt(0)
	v_mul_f64 v[121:122], v[121:122], v[131:132]
	scratch_store_b64 off, v[121:122], off offset:88
.LBB59_478:
	s_or_b32 exec_lo, exec_lo, s3
	scratch_load_b64 v[121:122], off, off offset:80
	v_cmp_lt_u32_e64 s0, 10, v0
	s_waitcnt vmcnt(0)
	ds_store_b64 v124, v[121:122]
	s_waitcnt lgkmcnt(0)
	s_waitcnt_vscnt null, 0x0
	s_barrier
	buffer_gl0_inv
	s_and_saveexec_b32 s3, s0
	s_cbranch_execz .LBB59_488
; %bb.479:
	s_and_not1_b32 vcc_lo, exec_lo, s2
	s_cbranch_vccnz .LBB59_481
; %bb.480:
	scratch_load_b64 v[121:122], v125, off
	ds_load_b64 v[131:132], v124
	s_waitcnt vmcnt(0) lgkmcnt(0)
	v_mul_f64 v[121:122], v[121:122], v[131:132]
	s_cbranch_execz .LBB59_482
	s_branch .LBB59_483
.LBB59_481:
                                        ; implicit-def: $vgpr121_vgpr122
.LBB59_482:
	ds_load_b64 v[121:122], v124
.LBB59_483:
	s_and_saveexec_b32 s4, s1
	s_cbranch_execz .LBB59_487
; %bb.484:
	v_dual_mov_b32 v131, 0 :: v_dual_add_nc_u32 v132, -11, v0
	s_movk_i32 s5, 0x238
	s_mov_b32 s1, 0
	s_delay_alu instid0(VALU_DEP_1)
	v_add_nc_u32_e32 v131, 0x58, v131
.LBB59_485:                             ; =>This Inner Loop Header: Depth=1
	scratch_load_b64 v[133:134], v131, off
	v_dual_mov_b32 v135, s5 :: v_dual_add_nc_u32 v132, -1, v132
	v_add_nc_u32_e32 v131, 8, v131
	s_add_i32 s5, s5, 8
	ds_load_b64 v[135:136], v135
	v_cmp_eq_u32_e32 vcc_lo, 0, v132
	s_or_b32 s1, vcc_lo, s1
	s_waitcnt vmcnt(0) lgkmcnt(0)
	v_fma_f64 v[121:122], v[133:134], v[135:136], v[121:122]
	s_and_not1_b32 exec_lo, exec_lo, s1
	s_cbranch_execnz .LBB59_485
; %bb.486:
	s_or_b32 exec_lo, exec_lo, s1
.LBB59_487:
	s_delay_alu instid0(SALU_CYCLE_1)
	s_or_b32 exec_lo, exec_lo, s4
	v_mov_b32_e32 v131, 0
	ds_load_b64 v[131:132], v131 offset:80
	s_waitcnt lgkmcnt(0)
	v_mul_f64 v[121:122], v[121:122], v[131:132]
	scratch_store_b64 off, v[121:122], off offset:80
.LBB59_488:
	s_or_b32 exec_lo, exec_lo, s3
	scratch_load_b64 v[121:122], off, off offset:72
	v_cmp_lt_u32_e64 s1, 9, v0
	s_waitcnt vmcnt(0)
	ds_store_b64 v124, v[121:122]
	s_waitcnt lgkmcnt(0)
	s_waitcnt_vscnt null, 0x0
	s_barrier
	buffer_gl0_inv
	s_and_saveexec_b32 s3, s1
	s_cbranch_execz .LBB59_498
; %bb.489:
	s_and_not1_b32 vcc_lo, exec_lo, s2
	s_cbranch_vccnz .LBB59_491
; %bb.490:
	scratch_load_b64 v[121:122], v125, off
	ds_load_b64 v[131:132], v124
	s_waitcnt vmcnt(0) lgkmcnt(0)
	v_mul_f64 v[121:122], v[121:122], v[131:132]
	s_cbranch_execz .LBB59_492
	s_branch .LBB59_493
.LBB59_491:
                                        ; implicit-def: $vgpr121_vgpr122
.LBB59_492:
	ds_load_b64 v[121:122], v124
.LBB59_493:
	s_and_saveexec_b32 s4, s0
	s_cbranch_execz .LBB59_497
; %bb.494:
	v_add_nc_u32_e32 v131, -10, v0
	s_movk_i32 s5, 0x230
	s_mov_b32 s0, 0
.LBB59_495:                             ; =>This Inner Loop Header: Depth=1
	scratch_load_b64 v[132:133], v130, off
	v_dual_mov_b32 v134, s5 :: v_dual_add_nc_u32 v131, -1, v131
	v_add_nc_u32_e32 v130, 8, v130
	s_add_i32 s5, s5, 8
	ds_load_b64 v[134:135], v134
	v_cmp_eq_u32_e32 vcc_lo, 0, v131
	s_or_b32 s0, vcc_lo, s0
	s_waitcnt vmcnt(0) lgkmcnt(0)
	v_fma_f64 v[121:122], v[132:133], v[134:135], v[121:122]
	s_and_not1_b32 exec_lo, exec_lo, s0
	s_cbranch_execnz .LBB59_495
; %bb.496:
	s_or_b32 exec_lo, exec_lo, s0
.LBB59_497:
	s_delay_alu instid0(SALU_CYCLE_1)
	s_or_b32 exec_lo, exec_lo, s4
	v_mov_b32_e32 v130, 0
	ds_load_b64 v[130:131], v130 offset:72
	s_waitcnt lgkmcnt(0)
	v_mul_f64 v[121:122], v[121:122], v[130:131]
	scratch_store_b64 off, v[121:122], off offset:72
.LBB59_498:
	s_or_b32 exec_lo, exec_lo, s3
	scratch_load_b64 v[121:122], off, off offset:64
	v_cmp_lt_u32_e64 s0, 8, v0
	s_waitcnt vmcnt(0)
	ds_store_b64 v124, v[121:122]
	s_waitcnt lgkmcnt(0)
	s_waitcnt_vscnt null, 0x0
	s_barrier
	buffer_gl0_inv
	s_and_saveexec_b32 s3, s0
	s_cbranch_execz .LBB59_508
; %bb.499:
	s_and_not1_b32 vcc_lo, exec_lo, s2
	s_cbranch_vccnz .LBB59_501
; %bb.500:
	scratch_load_b64 v[121:122], v125, off
	ds_load_b64 v[130:131], v124
	s_waitcnt vmcnt(0) lgkmcnt(0)
	v_mul_f64 v[121:122], v[121:122], v[130:131]
	s_cbranch_execz .LBB59_502
	s_branch .LBB59_503
.LBB59_501:
                                        ; implicit-def: $vgpr121_vgpr122
.LBB59_502:
	ds_load_b64 v[121:122], v124
.LBB59_503:
	s_and_saveexec_b32 s4, s1
	s_cbranch_execz .LBB59_507
; %bb.504:
	v_dual_mov_b32 v130, 0 :: v_dual_add_nc_u32 v131, -9, v0
	s_movk_i32 s5, 0x228
	s_mov_b32 s1, 0
	s_delay_alu instid0(VALU_DEP_1)
	v_add_nc_u32_e32 v130, 0x48, v130
.LBB59_505:                             ; =>This Inner Loop Header: Depth=1
	scratch_load_b64 v[132:133], v130, off
	v_dual_mov_b32 v134, s5 :: v_dual_add_nc_u32 v131, -1, v131
	v_add_nc_u32_e32 v130, 8, v130
	s_add_i32 s5, s5, 8
	ds_load_b64 v[134:135], v134
	v_cmp_eq_u32_e32 vcc_lo, 0, v131
	s_or_b32 s1, vcc_lo, s1
	s_waitcnt vmcnt(0) lgkmcnt(0)
	v_fma_f64 v[121:122], v[132:133], v[134:135], v[121:122]
	s_and_not1_b32 exec_lo, exec_lo, s1
	s_cbranch_execnz .LBB59_505
; %bb.506:
	s_or_b32 exec_lo, exec_lo, s1
.LBB59_507:
	s_delay_alu instid0(SALU_CYCLE_1)
	s_or_b32 exec_lo, exec_lo, s4
	v_mov_b32_e32 v130, 0
	ds_load_b64 v[130:131], v130 offset:64
	s_waitcnt lgkmcnt(0)
	v_mul_f64 v[121:122], v[121:122], v[130:131]
	scratch_store_b64 off, v[121:122], off offset:64
.LBB59_508:
	s_or_b32 exec_lo, exec_lo, s3
	scratch_load_b64 v[121:122], off, off offset:56
	v_cmp_lt_u32_e64 s1, 7, v0
	s_waitcnt vmcnt(0)
	ds_store_b64 v124, v[121:122]
	s_waitcnt lgkmcnt(0)
	s_waitcnt_vscnt null, 0x0
	s_barrier
	buffer_gl0_inv
	s_and_saveexec_b32 s3, s1
	s_cbranch_execz .LBB59_518
; %bb.509:
	s_and_not1_b32 vcc_lo, exec_lo, s2
	s_cbranch_vccnz .LBB59_511
; %bb.510:
	scratch_load_b64 v[121:122], v125, off
	ds_load_b64 v[130:131], v124
	s_waitcnt vmcnt(0) lgkmcnt(0)
	v_mul_f64 v[121:122], v[121:122], v[130:131]
	s_cbranch_execz .LBB59_512
	s_branch .LBB59_513
.LBB59_511:
                                        ; implicit-def: $vgpr121_vgpr122
.LBB59_512:
	ds_load_b64 v[121:122], v124
.LBB59_513:
	s_and_saveexec_b32 s4, s0
	s_cbranch_execz .LBB59_517
; %bb.514:
	v_add_nc_u32_e32 v130, -8, v0
	s_movk_i32 s5, 0x220
	s_mov_b32 s0, 0
.LBB59_515:                             ; =>This Inner Loop Header: Depth=1
	scratch_load_b64 v[131:132], v129, off
	v_dual_mov_b32 v133, s5 :: v_dual_add_nc_u32 v130, -1, v130
	v_add_nc_u32_e32 v129, 8, v129
	s_add_i32 s5, s5, 8
	ds_load_b64 v[133:134], v133
	v_cmp_eq_u32_e32 vcc_lo, 0, v130
	s_or_b32 s0, vcc_lo, s0
	s_waitcnt vmcnt(0) lgkmcnt(0)
	v_fma_f64 v[121:122], v[131:132], v[133:134], v[121:122]
	s_and_not1_b32 exec_lo, exec_lo, s0
	s_cbranch_execnz .LBB59_515
; %bb.516:
	s_or_b32 exec_lo, exec_lo, s0
.LBB59_517:
	s_delay_alu instid0(SALU_CYCLE_1)
	s_or_b32 exec_lo, exec_lo, s4
	v_mov_b32_e32 v129, 0
	ds_load_b64 v[129:130], v129 offset:56
	s_waitcnt lgkmcnt(0)
	v_mul_f64 v[121:122], v[121:122], v[129:130]
	scratch_store_b64 off, v[121:122], off offset:56
.LBB59_518:
	s_or_b32 exec_lo, exec_lo, s3
	scratch_load_b64 v[121:122], off, off offset:48
	v_cmp_lt_u32_e64 s0, 6, v0
	s_waitcnt vmcnt(0)
	ds_store_b64 v124, v[121:122]
	s_waitcnt lgkmcnt(0)
	s_waitcnt_vscnt null, 0x0
	s_barrier
	buffer_gl0_inv
	s_and_saveexec_b32 s3, s0
	s_cbranch_execz .LBB59_528
; %bb.519:
	s_and_not1_b32 vcc_lo, exec_lo, s2
	s_cbranch_vccnz .LBB59_521
; %bb.520:
	scratch_load_b64 v[121:122], v125, off
	ds_load_b64 v[129:130], v124
	s_waitcnt vmcnt(0) lgkmcnt(0)
	v_mul_f64 v[121:122], v[121:122], v[129:130]
	s_cbranch_execz .LBB59_522
	s_branch .LBB59_523
.LBB59_521:
                                        ; implicit-def: $vgpr121_vgpr122
.LBB59_522:
	ds_load_b64 v[121:122], v124
.LBB59_523:
	s_and_saveexec_b32 s4, s1
	s_cbranch_execz .LBB59_527
; %bb.524:
	v_add_nc_u32_e64 v129, 0, 56
	v_add_nc_u32_e32 v130, -7, v0
	s_movk_i32 s5, 0x218
	s_mov_b32 s1, 0
.LBB59_525:                             ; =>This Inner Loop Header: Depth=1
	scratch_load_b64 v[131:132], v129, off
	v_dual_mov_b32 v133, s5 :: v_dual_add_nc_u32 v130, -1, v130
	v_add_nc_u32_e32 v129, 8, v129
	s_add_i32 s5, s5, 8
	ds_load_b64 v[133:134], v133
	v_cmp_eq_u32_e32 vcc_lo, 0, v130
	s_or_b32 s1, vcc_lo, s1
	s_waitcnt vmcnt(0) lgkmcnt(0)
	v_fma_f64 v[121:122], v[131:132], v[133:134], v[121:122]
	s_and_not1_b32 exec_lo, exec_lo, s1
	s_cbranch_execnz .LBB59_525
; %bb.526:
	s_or_b32 exec_lo, exec_lo, s1
.LBB59_527:
	s_delay_alu instid0(SALU_CYCLE_1)
	s_or_b32 exec_lo, exec_lo, s4
	v_mov_b32_e32 v129, 0
	ds_load_b64 v[129:130], v129 offset:48
	s_waitcnt lgkmcnt(0)
	v_mul_f64 v[121:122], v[121:122], v[129:130]
	scratch_store_b64 off, v[121:122], off offset:48
.LBB59_528:
	s_or_b32 exec_lo, exec_lo, s3
	scratch_load_b64 v[121:122], off, off offset:40
	v_cmp_lt_u32_e64 s1, 5, v0
	s_waitcnt vmcnt(0)
	ds_store_b64 v124, v[121:122]
	s_waitcnt lgkmcnt(0)
	s_waitcnt_vscnt null, 0x0
	s_barrier
	buffer_gl0_inv
	s_and_saveexec_b32 s3, s1
	s_cbranch_execz .LBB59_538
; %bb.529:
	s_and_not1_b32 vcc_lo, exec_lo, s2
	s_cbranch_vccnz .LBB59_531
; %bb.530:
	scratch_load_b64 v[121:122], v125, off
	ds_load_b64 v[129:130], v124
	s_waitcnt vmcnt(0) lgkmcnt(0)
	v_mul_f64 v[121:122], v[121:122], v[129:130]
	s_cbranch_execz .LBB59_532
	s_branch .LBB59_533
.LBB59_531:
                                        ; implicit-def: $vgpr121_vgpr122
.LBB59_532:
	ds_load_b64 v[121:122], v124
.LBB59_533:
	s_and_saveexec_b32 s4, s0
	s_cbranch_execz .LBB59_537
; %bb.534:
	v_add_nc_u32_e32 v129, -6, v0
	s_movk_i32 s5, 0x210
	s_mov_b32 s0, 0
.LBB59_535:                             ; =>This Inner Loop Header: Depth=1
	scratch_load_b64 v[130:131], v128, off
	v_dual_mov_b32 v132, s5 :: v_dual_add_nc_u32 v129, -1, v129
	v_add_nc_u32_e32 v128, 8, v128
	s_add_i32 s5, s5, 8
	ds_load_b64 v[132:133], v132
	v_cmp_eq_u32_e32 vcc_lo, 0, v129
	s_or_b32 s0, vcc_lo, s0
	s_waitcnt vmcnt(0) lgkmcnt(0)
	v_fma_f64 v[121:122], v[130:131], v[132:133], v[121:122]
	s_and_not1_b32 exec_lo, exec_lo, s0
	s_cbranch_execnz .LBB59_535
; %bb.536:
	s_or_b32 exec_lo, exec_lo, s0
.LBB59_537:
	s_delay_alu instid0(SALU_CYCLE_1)
	s_or_b32 exec_lo, exec_lo, s4
	v_mov_b32_e32 v128, 0
	ds_load_b64 v[128:129], v128 offset:40
	s_waitcnt lgkmcnt(0)
	v_mul_f64 v[121:122], v[121:122], v[128:129]
	scratch_store_b64 off, v[121:122], off offset:40
.LBB59_538:
	s_or_b32 exec_lo, exec_lo, s3
	scratch_load_b64 v[121:122], off, off offset:32
	v_cmp_lt_u32_e64 s0, 4, v0
	s_waitcnt vmcnt(0)
	ds_store_b64 v124, v[121:122]
	s_waitcnt lgkmcnt(0)
	s_waitcnt_vscnt null, 0x0
	s_barrier
	buffer_gl0_inv
	s_and_saveexec_b32 s3, s0
	s_cbranch_execz .LBB59_548
; %bb.539:
	s_and_not1_b32 vcc_lo, exec_lo, s2
	s_cbranch_vccnz .LBB59_541
; %bb.540:
	scratch_load_b64 v[121:122], v125, off
	ds_load_b64 v[128:129], v124
	s_waitcnt vmcnt(0) lgkmcnt(0)
	v_mul_f64 v[121:122], v[121:122], v[128:129]
	s_cbranch_execz .LBB59_542
	s_branch .LBB59_543
.LBB59_541:
                                        ; implicit-def: $vgpr121_vgpr122
.LBB59_542:
	ds_load_b64 v[121:122], v124
.LBB59_543:
	s_and_saveexec_b32 s4, s1
	s_cbranch_execz .LBB59_547
; %bb.544:
	v_add_nc_u32_e64 v128, 0, 40
	v_add_nc_u32_e32 v129, -5, v0
	s_movk_i32 s5, 0x208
	s_mov_b32 s1, 0
.LBB59_545:                             ; =>This Inner Loop Header: Depth=1
	scratch_load_b64 v[130:131], v128, off
	v_dual_mov_b32 v132, s5 :: v_dual_add_nc_u32 v129, -1, v129
	v_add_nc_u32_e32 v128, 8, v128
	s_add_i32 s5, s5, 8
	ds_load_b64 v[132:133], v132
	v_cmp_eq_u32_e32 vcc_lo, 0, v129
	s_or_b32 s1, vcc_lo, s1
	s_waitcnt vmcnt(0) lgkmcnt(0)
	v_fma_f64 v[121:122], v[130:131], v[132:133], v[121:122]
	s_and_not1_b32 exec_lo, exec_lo, s1
	s_cbranch_execnz .LBB59_545
; %bb.546:
	s_or_b32 exec_lo, exec_lo, s1
.LBB59_547:
	s_delay_alu instid0(SALU_CYCLE_1)
	s_or_b32 exec_lo, exec_lo, s4
	v_mov_b32_e32 v128, 0
	ds_load_b64 v[128:129], v128 offset:32
	s_waitcnt lgkmcnt(0)
	v_mul_f64 v[121:122], v[121:122], v[128:129]
	scratch_store_b64 off, v[121:122], off offset:32
.LBB59_548:
	s_or_b32 exec_lo, exec_lo, s3
	scratch_load_b64 v[121:122], off, off offset:24
	v_cmp_lt_u32_e64 s1, 3, v0
	s_waitcnt vmcnt(0)
	ds_store_b64 v124, v[121:122]
	s_waitcnt lgkmcnt(0)
	s_waitcnt_vscnt null, 0x0
	s_barrier
	buffer_gl0_inv
	s_and_saveexec_b32 s3, s1
	s_cbranch_execz .LBB59_558
; %bb.549:
	s_and_not1_b32 vcc_lo, exec_lo, s2
	s_cbranch_vccnz .LBB59_551
; %bb.550:
	scratch_load_b64 v[121:122], v125, off
	ds_load_b64 v[128:129], v124
	s_waitcnt vmcnt(0) lgkmcnt(0)
	v_mul_f64 v[121:122], v[121:122], v[128:129]
	s_cbranch_execz .LBB59_552
	s_branch .LBB59_553
.LBB59_551:
                                        ; implicit-def: $vgpr121_vgpr122
.LBB59_552:
	ds_load_b64 v[121:122], v124
.LBB59_553:
	s_and_saveexec_b32 s4, s0
	s_cbranch_execz .LBB59_557
; %bb.554:
	v_add_nc_u32_e32 v128, -4, v0
	s_movk_i32 s5, 0x200
	s_mov_b32 s0, 0
.LBB59_555:                             ; =>This Inner Loop Header: Depth=1
	scratch_load_b64 v[129:130], v127, off
	v_dual_mov_b32 v131, s5 :: v_dual_add_nc_u32 v128, -1, v128
	v_add_nc_u32_e32 v127, 8, v127
	s_add_i32 s5, s5, 8
	ds_load_b64 v[131:132], v131
	v_cmp_eq_u32_e32 vcc_lo, 0, v128
	s_or_b32 s0, vcc_lo, s0
	s_waitcnt vmcnt(0) lgkmcnt(0)
	v_fma_f64 v[121:122], v[129:130], v[131:132], v[121:122]
	s_and_not1_b32 exec_lo, exec_lo, s0
	s_cbranch_execnz .LBB59_555
; %bb.556:
	s_or_b32 exec_lo, exec_lo, s0
.LBB59_557:
	s_delay_alu instid0(SALU_CYCLE_1)
	s_or_b32 exec_lo, exec_lo, s4
	v_mov_b32_e32 v127, 0
	ds_load_b64 v[127:128], v127 offset:24
	s_waitcnt lgkmcnt(0)
	v_mul_f64 v[121:122], v[121:122], v[127:128]
	scratch_store_b64 off, v[121:122], off offset:24
.LBB59_558:
	s_or_b32 exec_lo, exec_lo, s3
	scratch_load_b64 v[121:122], off, off offset:16
	v_cmp_lt_u32_e64 s0, 2, v0
	s_waitcnt vmcnt(0)
	ds_store_b64 v124, v[121:122]
	s_waitcnt lgkmcnt(0)
	s_waitcnt_vscnt null, 0x0
	s_barrier
	buffer_gl0_inv
	s_and_saveexec_b32 s3, s0
	s_cbranch_execz .LBB59_568
; %bb.559:
	s_and_not1_b32 vcc_lo, exec_lo, s2
	s_cbranch_vccnz .LBB59_561
; %bb.560:
	scratch_load_b64 v[121:122], v125, off
	ds_load_b64 v[127:128], v124
	s_waitcnt vmcnt(0) lgkmcnt(0)
	v_mul_f64 v[121:122], v[121:122], v[127:128]
	s_cbranch_execz .LBB59_562
	s_branch .LBB59_563
.LBB59_561:
                                        ; implicit-def: $vgpr121_vgpr122
.LBB59_562:
	ds_load_b64 v[121:122], v124
.LBB59_563:
	s_and_saveexec_b32 s4, s1
	s_cbranch_execz .LBB59_567
; %bb.564:
	v_add_nc_u32_e64 v127, 0, 24
	v_add_nc_u32_e32 v128, -3, v0
	s_movk_i32 s5, 0x1f8
	s_mov_b32 s1, 0
.LBB59_565:                             ; =>This Inner Loop Header: Depth=1
	scratch_load_b64 v[129:130], v127, off
	v_dual_mov_b32 v131, s5 :: v_dual_add_nc_u32 v128, -1, v128
	v_add_nc_u32_e32 v127, 8, v127
	s_add_i32 s5, s5, 8
	ds_load_b64 v[131:132], v131
	v_cmp_eq_u32_e32 vcc_lo, 0, v128
	s_or_b32 s1, vcc_lo, s1
	s_waitcnt vmcnt(0) lgkmcnt(0)
	v_fma_f64 v[121:122], v[129:130], v[131:132], v[121:122]
	s_and_not1_b32 exec_lo, exec_lo, s1
	s_cbranch_execnz .LBB59_565
; %bb.566:
	s_or_b32 exec_lo, exec_lo, s1
.LBB59_567:
	s_delay_alu instid0(SALU_CYCLE_1)
	s_or_b32 exec_lo, exec_lo, s4
	v_mov_b32_e32 v127, 0
	ds_load_b64 v[127:128], v127 offset:16
	s_waitcnt lgkmcnt(0)
	v_mul_f64 v[121:122], v[121:122], v[127:128]
	scratch_store_b64 off, v[121:122], off offset:16
.LBB59_568:
	s_or_b32 exec_lo, exec_lo, s3
	scratch_load_b64 v[121:122], off, off offset:8
	v_cmp_lt_u32_e64 s1, 1, v0
	s_waitcnt vmcnt(0)
	ds_store_b64 v124, v[121:122]
	s_waitcnt lgkmcnt(0)
	s_waitcnt_vscnt null, 0x0
	s_barrier
	buffer_gl0_inv
	s_and_saveexec_b32 s3, s1
	s_cbranch_execz .LBB59_578
; %bb.569:
	s_and_not1_b32 vcc_lo, exec_lo, s2
	s_cbranch_vccnz .LBB59_571
; %bb.570:
	scratch_load_b64 v[121:122], v125, off
	ds_load_b64 v[127:128], v124
	s_waitcnt vmcnt(0) lgkmcnt(0)
	v_mul_f64 v[121:122], v[121:122], v[127:128]
	s_cbranch_execz .LBB59_572
	s_branch .LBB59_573
.LBB59_571:
                                        ; implicit-def: $vgpr121_vgpr122
.LBB59_572:
	ds_load_b64 v[121:122], v124
.LBB59_573:
	s_and_saveexec_b32 s4, s0
	s_cbranch_execz .LBB59_577
; %bb.574:
	v_add_nc_u32_e32 v127, -2, v0
	s_movk_i32 s5, 0x1f0
	s_mov_b32 s0, 0
.LBB59_575:                             ; =>This Inner Loop Header: Depth=1
	scratch_load_b64 v[128:129], v126, off
	v_dual_mov_b32 v130, s5 :: v_dual_add_nc_u32 v127, -1, v127
	v_add_nc_u32_e32 v126, 8, v126
	s_add_i32 s5, s5, 8
	ds_load_b64 v[130:131], v130
	v_cmp_eq_u32_e32 vcc_lo, 0, v127
	s_or_b32 s0, vcc_lo, s0
	s_waitcnt vmcnt(0) lgkmcnt(0)
	v_fma_f64 v[121:122], v[128:129], v[130:131], v[121:122]
	s_and_not1_b32 exec_lo, exec_lo, s0
	s_cbranch_execnz .LBB59_575
; %bb.576:
	s_or_b32 exec_lo, exec_lo, s0
.LBB59_577:
	s_delay_alu instid0(SALU_CYCLE_1)
	s_or_b32 exec_lo, exec_lo, s4
	v_mov_b32_e32 v126, 0
	ds_load_b64 v[126:127], v126 offset:8
	s_waitcnt lgkmcnt(0)
	v_mul_f64 v[121:122], v[121:122], v[126:127]
	scratch_store_b64 off, v[121:122], off offset:8
.LBB59_578:
	s_or_b32 exec_lo, exec_lo, s3
	scratch_load_b64 v[121:122], off, off
	s_mov_b32 s0, 0
	s_mov_b32 s3, exec_lo
	s_waitcnt vmcnt(0)
	ds_store_b64 v124, v[121:122]
	s_waitcnt lgkmcnt(0)
	s_waitcnt_vscnt null, 0x0
	s_barrier
	buffer_gl0_inv
	v_cmpx_ne_u32_e32 0, v0
	s_cbranch_execz .LBB59_588
; %bb.579:
	s_and_not1_b32 vcc_lo, exec_lo, s2
	s_cbranch_vccnz .LBB59_581
; %bb.580:
	scratch_load_b64 v[121:122], v125, off
	ds_load_b64 v[126:127], v124
	s_waitcnt vmcnt(0) lgkmcnt(0)
	v_mul_f64 v[121:122], v[121:122], v[126:127]
	s_cbranch_execz .LBB59_582
	s_branch .LBB59_583
.LBB59_581:
                                        ; implicit-def: $vgpr121_vgpr122
.LBB59_582:
	ds_load_b64 v[121:122], v124
.LBB59_583:
	s_and_saveexec_b32 s4, s1
	s_cbranch_execz .LBB59_587
; %bb.584:
	v_or_b32_e64 v126, 0, 8
	v_add_nc_u32_e32 v127, -1, v0
	s_movk_i32 s5, 0x1e8
	s_mov_b32 s1, 0
.LBB59_585:                             ; =>This Inner Loop Header: Depth=1
	scratch_load_b64 v[128:129], v126, off
	v_dual_mov_b32 v130, s5 :: v_dual_add_nc_u32 v127, -1, v127
	v_add_nc_u32_e32 v126, 8, v126
	s_add_i32 s5, s5, 8
	ds_load_b64 v[130:131], v130
	v_cmp_eq_u32_e32 vcc_lo, 0, v127
	s_or_b32 s1, vcc_lo, s1
	s_waitcnt vmcnt(0) lgkmcnt(0)
	v_fma_f64 v[121:122], v[128:129], v[130:131], v[121:122]
	s_and_not1_b32 exec_lo, exec_lo, s1
	s_cbranch_execnz .LBB59_585
; %bb.586:
	s_or_b32 exec_lo, exec_lo, s1
.LBB59_587:
	s_delay_alu instid0(SALU_CYCLE_1)
	s_or_b32 exec_lo, exec_lo, s4
	v_mov_b32_e32 v126, 0
	ds_load_b64 v[126:127], v126
	s_waitcnt lgkmcnt(0)
	v_mul_f64 v[121:122], v[121:122], v[126:127]
	scratch_store_b64 off, v[121:122], off
.LBB59_588:
	s_or_b32 exec_lo, exec_lo, s3
.LBB59_589:
	s_delay_alu instid0(SALU_CYCLE_1)
	s_and_b32 vcc_lo, exec_lo, s0
	s_cbranch_vccz .LBB59_1175
; %bb.590:
	scratch_load_b64 v[121:122], off, off offset:8
	v_cmp_eq_u32_e64 s0, 0, v0
	s_waitcnt vmcnt(0)
	ds_store_b64 v124, v[121:122]
	s_waitcnt lgkmcnt(0)
	s_waitcnt_vscnt null, 0x0
	s_barrier
	buffer_gl0_inv
	s_and_saveexec_b32 s1, s0
	s_cbranch_execz .LBB59_596
; %bb.591:
	s_and_b32 vcc_lo, exec_lo, s2
	s_cbranch_vccz .LBB59_593
; %bb.592:
	scratch_load_b64 v[121:122], v125, off
	ds_load_b64 v[126:127], v124
	s_waitcnt vmcnt(0) lgkmcnt(0)
	v_mul_f64 v[121:122], v[121:122], v[126:127]
	s_cbranch_execz .LBB59_594
	s_branch .LBB59_595
.LBB59_593:
                                        ; implicit-def: $vgpr121_vgpr122
.LBB59_594:
	ds_load_b64 v[121:122], v124
.LBB59_595:
	v_mov_b32_e32 v126, 0
	ds_load_b64 v[126:127], v126 offset:8
	s_waitcnt lgkmcnt(0)
	v_mul_f64 v[121:122], v[121:122], v[126:127]
	scratch_store_b64 off, v[121:122], off offset:8
.LBB59_596:
	s_or_b32 exec_lo, exec_lo, s1
	scratch_load_b64 v[121:122], off, off offset:16
	v_cndmask_b32_e64 v126, 0, 1, s2
	s_mov_b32 s1, exec_lo
	s_waitcnt vmcnt(0)
	ds_store_b64 v124, v[121:122]
	s_waitcnt lgkmcnt(0)
	s_waitcnt_vscnt null, 0x0
	s_barrier
	buffer_gl0_inv
	v_cmpx_gt_u32_e32 2, v0
	s_cbranch_execz .LBB59_604
; %bb.597:
	s_and_not1_b32 vcc_lo, exec_lo, s2
	s_cbranch_vccnz .LBB59_599
; %bb.598:
	scratch_load_b64 v[121:122], v125, off
	ds_load_b64 v[127:128], v124
	s_waitcnt vmcnt(0) lgkmcnt(0)
	v_mul_f64 v[121:122], v[121:122], v[127:128]
	s_cbranch_execz .LBB59_600
	s_branch .LBB59_601
.LBB59_599:
                                        ; implicit-def: $vgpr121_vgpr122
.LBB59_600:
	ds_load_b64 v[121:122], v124
.LBB59_601:
	s_and_saveexec_b32 s2, s0
	s_cbranch_execz .LBB59_603
; %bb.602:
	scratch_load_b64 v[127:128], v125, off offset:8
	ds_load_b64 v[129:130], v124 offset:8
	s_waitcnt vmcnt(0) lgkmcnt(0)
	v_fma_f64 v[121:122], v[127:128], v[129:130], v[121:122]
.LBB59_603:
	s_or_b32 exec_lo, exec_lo, s2
	v_mov_b32_e32 v127, 0
	ds_load_b64 v[127:128], v127 offset:16
	s_waitcnt lgkmcnt(0)
	v_mul_f64 v[121:122], v[121:122], v[127:128]
	scratch_store_b64 off, v[121:122], off offset:16
.LBB59_604:
	s_or_b32 exec_lo, exec_lo, s1
	scratch_load_b64 v[121:122], off, off offset:24
	s_mov_b32 s1, exec_lo
	s_waitcnt vmcnt(0)
	ds_store_b64 v124, v[121:122]
	s_waitcnt lgkmcnt(0)
	s_waitcnt_vscnt null, 0x0
	s_barrier
	buffer_gl0_inv
	v_cmpx_gt_u32_e32 3, v0
	s_cbranch_execz .LBB59_614
; %bb.605:
	v_cmp_ne_u32_e32 vcc_lo, 1, v126
	s_cbranch_vccnz .LBB59_607
; %bb.606:
	scratch_load_b64 v[121:122], v125, off
	ds_load_b64 v[127:128], v124
	s_waitcnt vmcnt(0) lgkmcnt(0)
	v_mul_f64 v[121:122], v[121:122], v[127:128]
	s_cbranch_execz .LBB59_608
	s_branch .LBB59_609
.LBB59_607:
                                        ; implicit-def: $vgpr121_vgpr122
.LBB59_608:
	ds_load_b64 v[121:122], v124
.LBB59_609:
	s_mov_b32 s2, exec_lo
	v_cmpx_ne_u32_e32 2, v0
	s_cbranch_execz .LBB59_613
; %bb.610:
	scratch_load_b64 v[127:128], v125, off offset:8
	ds_load_b64 v[129:130], v124 offset:8
	s_waitcnt vmcnt(0) lgkmcnt(0)
	v_fma_f64 v[121:122], v[127:128], v[129:130], v[121:122]
	s_and_saveexec_b32 s3, s0
	s_cbranch_execz .LBB59_612
; %bb.611:
	scratch_load_b64 v[127:128], off, off offset:16
	v_mov_b32_e32 v129, 0
	ds_load_b64 v[129:130], v129 offset:496
	s_waitcnt vmcnt(0) lgkmcnt(0)
	v_fma_f64 v[121:122], v[127:128], v[129:130], v[121:122]
.LBB59_612:
	s_or_b32 exec_lo, exec_lo, s3
.LBB59_613:
	s_delay_alu instid0(SALU_CYCLE_1)
	s_or_b32 exec_lo, exec_lo, s2
	v_mov_b32_e32 v127, 0
	ds_load_b64 v[127:128], v127 offset:24
	s_waitcnt lgkmcnt(0)
	v_mul_f64 v[121:122], v[121:122], v[127:128]
	scratch_store_b64 off, v[121:122], off offset:24
.LBB59_614:
	s_or_b32 exec_lo, exec_lo, s1
	scratch_load_b64 v[121:122], off, off offset:32
	s_mov_b32 s0, exec_lo
	s_waitcnt vmcnt(0)
	ds_store_b64 v124, v[121:122]
	s_waitcnt lgkmcnt(0)
	s_waitcnt_vscnt null, 0x0
	s_barrier
	buffer_gl0_inv
	v_cmpx_gt_u32_e32 4, v0
	s_cbranch_execz .LBB59_624
; %bb.615:
	v_cmp_ne_u32_e32 vcc_lo, 1, v126
	s_cbranch_vccnz .LBB59_617
; %bb.616:
	scratch_load_b64 v[121:122], v125, off
	ds_load_b64 v[127:128], v124
	s_waitcnt vmcnt(0) lgkmcnt(0)
	v_mul_f64 v[121:122], v[121:122], v[127:128]
	s_cbranch_execz .LBB59_618
	s_branch .LBB59_619
.LBB59_617:
                                        ; implicit-def: $vgpr121_vgpr122
.LBB59_618:
	ds_load_b64 v[121:122], v124
.LBB59_619:
	s_mov_b32 s1, exec_lo
	v_cmpx_ne_u32_e32 3, v0
	s_cbranch_execz .LBB59_623
; %bb.620:
	v_add_nc_u32_e32 v127, 0x1e8, v123
	v_add3_u32 v128, 0, v123, 8
	v_mov_b32_e32 v129, v0
	s_mov_b32 s2, 0
.LBB59_621:                             ; =>This Inner Loop Header: Depth=1
	scratch_load_b64 v[130:131], v128, off
	ds_load_b64 v[132:133], v127
	v_add_nc_u32_e32 v129, 1, v129
	v_add_nc_u32_e32 v127, 8, v127
	v_add_nc_u32_e32 v128, 8, v128
	s_delay_alu instid0(VALU_DEP_3)
	v_cmp_lt_u32_e32 vcc_lo, 2, v129
	s_or_b32 s2, vcc_lo, s2
	s_waitcnt vmcnt(0) lgkmcnt(0)
	v_fma_f64 v[121:122], v[130:131], v[132:133], v[121:122]
	s_and_not1_b32 exec_lo, exec_lo, s2
	s_cbranch_execnz .LBB59_621
; %bb.622:
	s_or_b32 exec_lo, exec_lo, s2
.LBB59_623:
	s_delay_alu instid0(SALU_CYCLE_1)
	s_or_b32 exec_lo, exec_lo, s1
	v_mov_b32_e32 v127, 0
	ds_load_b64 v[127:128], v127 offset:32
	s_waitcnt lgkmcnt(0)
	v_mul_f64 v[121:122], v[121:122], v[127:128]
	scratch_store_b64 off, v[121:122], off offset:32
.LBB59_624:
	s_or_b32 exec_lo, exec_lo, s0
	scratch_load_b64 v[121:122], off, off offset:40
	s_mov_b32 s0, exec_lo
	s_waitcnt vmcnt(0)
	ds_store_b64 v124, v[121:122]
	s_waitcnt lgkmcnt(0)
	s_waitcnt_vscnt null, 0x0
	s_barrier
	buffer_gl0_inv
	v_cmpx_gt_u32_e32 5, v0
	s_cbranch_execz .LBB59_634
; %bb.625:
	v_cmp_ne_u32_e32 vcc_lo, 1, v126
	s_cbranch_vccnz .LBB59_627
; %bb.626:
	scratch_load_b64 v[121:122], v125, off
	ds_load_b64 v[127:128], v124
	s_waitcnt vmcnt(0) lgkmcnt(0)
	v_mul_f64 v[121:122], v[121:122], v[127:128]
	s_cbranch_execz .LBB59_628
	s_branch .LBB59_629
.LBB59_627:
                                        ; implicit-def: $vgpr121_vgpr122
.LBB59_628:
	ds_load_b64 v[121:122], v124
.LBB59_629:
	s_mov_b32 s1, exec_lo
	v_cmpx_ne_u32_e32 4, v0
	s_cbranch_execz .LBB59_633
; %bb.630:
	v_add_nc_u32_e32 v127, 0x1e8, v123
	v_add3_u32 v128, 0, v123, 8
	v_mov_b32_e32 v129, v0
	s_mov_b32 s2, 0
.LBB59_631:                             ; =>This Inner Loop Header: Depth=1
	scratch_load_b64 v[130:131], v128, off
	ds_load_b64 v[132:133], v127
	v_add_nc_u32_e32 v129, 1, v129
	v_add_nc_u32_e32 v127, 8, v127
	v_add_nc_u32_e32 v128, 8, v128
	s_delay_alu instid0(VALU_DEP_3)
	v_cmp_lt_u32_e32 vcc_lo, 3, v129
	s_or_b32 s2, vcc_lo, s2
	s_waitcnt vmcnt(0) lgkmcnt(0)
	v_fma_f64 v[121:122], v[130:131], v[132:133], v[121:122]
	s_and_not1_b32 exec_lo, exec_lo, s2
	s_cbranch_execnz .LBB59_631
; %bb.632:
	s_or_b32 exec_lo, exec_lo, s2
.LBB59_633:
	s_delay_alu instid0(SALU_CYCLE_1)
	s_or_b32 exec_lo, exec_lo, s1
	v_mov_b32_e32 v127, 0
	ds_load_b64 v[127:128], v127 offset:40
	s_waitcnt lgkmcnt(0)
	v_mul_f64 v[121:122], v[121:122], v[127:128]
	scratch_store_b64 off, v[121:122], off offset:40
.LBB59_634:
	;; [unrolled: 58-line block ×38, first 2 shown]
	s_or_b32 exec_lo, exec_lo, s0
	scratch_load_b64 v[121:122], off, off offset:336
	s_mov_b32 s0, exec_lo
	s_waitcnt vmcnt(0)
	ds_store_b64 v124, v[121:122]
	s_waitcnt lgkmcnt(0)
	s_waitcnt_vscnt null, 0x0
	s_barrier
	buffer_gl0_inv
	v_cmpx_gt_u32_e32 42, v0
	s_cbranch_execz .LBB59_1004
; %bb.995:
	v_cmp_ne_u32_e32 vcc_lo, 1, v126
	s_cbranch_vccnz .LBB59_997
; %bb.996:
	scratch_load_b64 v[121:122], v125, off
	ds_load_b64 v[127:128], v124
	s_waitcnt vmcnt(0) lgkmcnt(0)
	v_mul_f64 v[121:122], v[121:122], v[127:128]
	s_cbranch_execz .LBB59_998
	s_branch .LBB59_999
.LBB59_997:
                                        ; implicit-def: $vgpr121_vgpr122
.LBB59_998:
	ds_load_b64 v[121:122], v124
.LBB59_999:
	s_mov_b32 s1, exec_lo
	v_cmpx_ne_u32_e32 41, v0
	s_cbranch_execz .LBB59_1003
; %bb.1000:
	v_add_nc_u32_e32 v127, 0x1e8, v123
	v_add3_u32 v128, 0, v123, 8
	v_mov_b32_e32 v129, v0
	s_mov_b32 s2, 0
.LBB59_1001:                            ; =>This Inner Loop Header: Depth=1
	scratch_load_b64 v[130:131], v128, off
	ds_load_b64 v[132:133], v127
	v_add_nc_u32_e32 v129, 1, v129
	v_add_nc_u32_e32 v127, 8, v127
	v_add_nc_u32_e32 v128, 8, v128
	s_delay_alu instid0(VALU_DEP_3)
	v_cmp_lt_u32_e32 vcc_lo, 40, v129
	s_or_b32 s2, vcc_lo, s2
	s_waitcnt vmcnt(0) lgkmcnt(0)
	v_fma_f64 v[121:122], v[130:131], v[132:133], v[121:122]
	s_and_not1_b32 exec_lo, exec_lo, s2
	s_cbranch_execnz .LBB59_1001
; %bb.1002:
	s_or_b32 exec_lo, exec_lo, s2
.LBB59_1003:
	s_delay_alu instid0(SALU_CYCLE_1)
	s_or_b32 exec_lo, exec_lo, s1
	v_mov_b32_e32 v127, 0
	ds_load_b64 v[127:128], v127 offset:336
	s_waitcnt lgkmcnt(0)
	v_mul_f64 v[121:122], v[121:122], v[127:128]
	scratch_store_b64 off, v[121:122], off offset:336
.LBB59_1004:
	s_or_b32 exec_lo, exec_lo, s0
	scratch_load_b64 v[121:122], off, off offset:344
	s_mov_b32 s0, exec_lo
	s_waitcnt vmcnt(0)
	ds_store_b64 v124, v[121:122]
	s_waitcnt lgkmcnt(0)
	s_waitcnt_vscnt null, 0x0
	s_barrier
	buffer_gl0_inv
	v_cmpx_gt_u32_e32 43, v0
	s_cbranch_execz .LBB59_1014
; %bb.1005:
	v_cmp_ne_u32_e32 vcc_lo, 1, v126
	s_cbranch_vccnz .LBB59_1007
; %bb.1006:
	scratch_load_b64 v[121:122], v125, off
	ds_load_b64 v[127:128], v124
	s_waitcnt vmcnt(0) lgkmcnt(0)
	v_mul_f64 v[121:122], v[121:122], v[127:128]
	s_cbranch_execz .LBB59_1008
	s_branch .LBB59_1009
.LBB59_1007:
                                        ; implicit-def: $vgpr121_vgpr122
.LBB59_1008:
	ds_load_b64 v[121:122], v124
.LBB59_1009:
	s_mov_b32 s1, exec_lo
	v_cmpx_ne_u32_e32 42, v0
	s_cbranch_execz .LBB59_1013
; %bb.1010:
	v_add_nc_u32_e32 v127, 0x1e8, v123
	v_add3_u32 v128, 0, v123, 8
	v_mov_b32_e32 v129, v0
	s_mov_b32 s2, 0
.LBB59_1011:                            ; =>This Inner Loop Header: Depth=1
	scratch_load_b64 v[130:131], v128, off
	ds_load_b64 v[132:133], v127
	v_add_nc_u32_e32 v129, 1, v129
	v_add_nc_u32_e32 v127, 8, v127
	v_add_nc_u32_e32 v128, 8, v128
	s_delay_alu instid0(VALU_DEP_3)
	v_cmp_lt_u32_e32 vcc_lo, 41, v129
	s_or_b32 s2, vcc_lo, s2
	s_waitcnt vmcnt(0) lgkmcnt(0)
	v_fma_f64 v[121:122], v[130:131], v[132:133], v[121:122]
	s_and_not1_b32 exec_lo, exec_lo, s2
	s_cbranch_execnz .LBB59_1011
; %bb.1012:
	s_or_b32 exec_lo, exec_lo, s2
.LBB59_1013:
	s_delay_alu instid0(SALU_CYCLE_1)
	s_or_b32 exec_lo, exec_lo, s1
	v_mov_b32_e32 v127, 0
	ds_load_b64 v[127:128], v127 offset:344
	s_waitcnt lgkmcnt(0)
	v_mul_f64 v[121:122], v[121:122], v[127:128]
	scratch_store_b64 off, v[121:122], off offset:344
.LBB59_1014:
	;; [unrolled: 58-line block ×16, first 2 shown]
	s_or_b32 exec_lo, exec_lo, s0
	scratch_load_b64 v[121:122], off, off offset:464
	v_cmp_gt_u32_e64 s0, 58, v0
	s_waitcnt vmcnt(0)
	ds_store_b64 v124, v[121:122]
	s_waitcnt lgkmcnt(0)
	s_waitcnt_vscnt null, 0x0
	s_barrier
	buffer_gl0_inv
	s_and_saveexec_b32 s1, s0
	s_cbranch_execz .LBB59_1164
; %bb.1155:
	v_cmp_ne_u32_e32 vcc_lo, 1, v126
	s_cbranch_vccnz .LBB59_1157
; %bb.1156:
	scratch_load_b64 v[121:122], v125, off
	ds_load_b64 v[127:128], v124
	s_waitcnt vmcnt(0) lgkmcnt(0)
	v_mul_f64 v[121:122], v[121:122], v[127:128]
	s_cbranch_execz .LBB59_1158
	s_branch .LBB59_1159
.LBB59_1157:
                                        ; implicit-def: $vgpr121_vgpr122
.LBB59_1158:
	ds_load_b64 v[121:122], v124
.LBB59_1159:
	s_mov_b32 s2, exec_lo
	v_cmpx_ne_u32_e32 57, v0
	s_cbranch_execz .LBB59_1163
; %bb.1160:
	v_add_nc_u32_e32 v127, 0x1e8, v123
	v_add3_u32 v128, 0, v123, 8
	v_mov_b32_e32 v129, v0
	s_mov_b32 s3, 0
.LBB59_1161:                            ; =>This Inner Loop Header: Depth=1
	scratch_load_b64 v[130:131], v128, off
	ds_load_b64 v[132:133], v127
	v_add_nc_u32_e32 v129, 1, v129
	v_add_nc_u32_e32 v127, 8, v127
	;; [unrolled: 1-line block ×3, first 2 shown]
	s_delay_alu instid0(VALU_DEP_3)
	v_cmp_lt_u32_e32 vcc_lo, 56, v129
	s_or_b32 s3, vcc_lo, s3
	s_waitcnt vmcnt(0) lgkmcnt(0)
	v_fma_f64 v[121:122], v[130:131], v[132:133], v[121:122]
	s_and_not1_b32 exec_lo, exec_lo, s3
	s_cbranch_execnz .LBB59_1161
; %bb.1162:
	s_or_b32 exec_lo, exec_lo, s3
.LBB59_1163:
	s_delay_alu instid0(SALU_CYCLE_1)
	s_or_b32 exec_lo, exec_lo, s2
	v_mov_b32_e32 v127, 0
	ds_load_b64 v[127:128], v127 offset:464
	s_waitcnt lgkmcnt(0)
	v_mul_f64 v[121:122], v[121:122], v[127:128]
	scratch_store_b64 off, v[121:122], off offset:464
.LBB59_1164:
	s_or_b32 exec_lo, exec_lo, s1
	scratch_load_b64 v[121:122], off, off offset:472
	s_mov_b32 s1, exec_lo
	s_waitcnt vmcnt(0)
	ds_store_b64 v124, v[121:122]
	s_waitcnt lgkmcnt(0)
	s_waitcnt_vscnt null, 0x0
	s_barrier
	buffer_gl0_inv
	v_cmpx_ne_u32_e32 59, v0
	s_cbranch_execz .LBB59_1174
; %bb.1165:
	v_cmp_ne_u32_e32 vcc_lo, 1, v126
	s_cbranch_vccnz .LBB59_1167
; %bb.1166:
	scratch_load_b64 v[121:122], v125, off
	ds_load_b64 v[125:126], v124
	s_waitcnt vmcnt(0) lgkmcnt(0)
	v_mul_f64 v[121:122], v[121:122], v[125:126]
	s_cbranch_execz .LBB59_1168
	s_branch .LBB59_1169
.LBB59_1167:
                                        ; implicit-def: $vgpr121_vgpr122
.LBB59_1168:
	ds_load_b64 v[121:122], v124
.LBB59_1169:
	s_and_saveexec_b32 s2, s0
	s_cbranch_execz .LBB59_1173
; %bb.1170:
	v_add_nc_u32_e32 v124, 0x1e8, v123
	v_add3_u32 v123, 0, v123, 8
	s_mov_b32 s0, 0
.LBB59_1171:                            ; =>This Inner Loop Header: Depth=1
	scratch_load_b64 v[125:126], v123, off
	ds_load_b64 v[127:128], v124
	v_add_nc_u32_e32 v0, 1, v0
	v_add_nc_u32_e32 v124, 8, v124
	;; [unrolled: 1-line block ×3, first 2 shown]
	s_delay_alu instid0(VALU_DEP_3)
	v_cmp_lt_u32_e32 vcc_lo, 57, v0
	s_or_b32 s0, vcc_lo, s0
	s_waitcnt vmcnt(0) lgkmcnt(0)
	v_fma_f64 v[121:122], v[125:126], v[127:128], v[121:122]
	s_and_not1_b32 exec_lo, exec_lo, s0
	s_cbranch_execnz .LBB59_1171
; %bb.1172:
	s_or_b32 exec_lo, exec_lo, s0
.LBB59_1173:
	s_delay_alu instid0(SALU_CYCLE_1)
	s_or_b32 exec_lo, exec_lo, s2
	v_mov_b32_e32 v0, 0
	ds_load_b64 v[123:124], v0 offset:472
	s_waitcnt lgkmcnt(0)
	v_mul_f64 v[121:122], v[121:122], v[123:124]
	scratch_store_b64 off, v[121:122], off offset:472
.LBB59_1174:
	s_or_b32 exec_lo, exec_lo, s1
.LBB59_1175:
	s_clause 0xc
	scratch_load_b128 v[121:124], off, off
	scratch_load_b128 v[125:128], off, off offset:16
	scratch_load_b128 v[129:132], off, off offset:32
	;; [unrolled: 1-line block ×12, first 2 shown]
	s_waitcnt vmcnt(12)
	s_clause 0x1
	global_store_b64 v[27:28], v[121:122], off
	global_store_b64 v[15:16], v[123:124], off
	scratch_load_b128 v[121:124], off, off offset:176
	s_waitcnt vmcnt(12)
	s_clause 0x1
	global_store_b64 v[9:10], v[125:126], off
	global_store_b64 v[3:4], v[127:128], off
	scratch_load_b128 v[125:128], off, off offset:208
	s_waitcnt vmcnt(12)
	s_clause 0x1
	global_store_b64 v[49:50], v[129:130], off
	global_store_b64 v[47:48], v[131:132], off
	s_clause 0x1
	scratch_load_b128 v[47:50], off, off offset:240
	scratch_load_b128 v[129:132], off, off offset:256
	s_waitcnt vmcnt(13)
	s_clause 0x1
	global_store_b64 v[39:40], v[133:134], off
	global_store_b64 v[45:46], v[135:136], off
	scratch_load_b128 v[133:136], off, off offset:272
	s_waitcnt vmcnt(13)
	global_store_b64 v[41:42], v[137:138], off
	scratch_load_b128 v[39:42], off, off offset:288
	global_store_b64 v[33:34], v[139:140], off
	scratch_load_b128 v[137:140], off, off offset:304
	s_waitcnt vmcnt(14)
	global_store_b64 v[35:36], v[141:142], off
	scratch_load_b128 v[33:36], off, off offset:320
	;; [unrolled: 5-line block ×6, first 2 shown]
	global_store_b64 v[7:8], v[159:160], off
	scratch_load_b128 v[7:10], off, off offset:464
	s_waitcnt vmcnt(19)
	s_clause 0x1
	global_store_b64 v[11:12], v[161:162], off
	global_store_b64 v[13:14], v[163:164], off
	s_waitcnt vmcnt(16)
	s_clause 0x3
	global_store_b64 v[37:38], v[121:122], off
	global_store_b64 v[43:44], v[123:124], off
	global_store_b64 v[51:52], v[165:166], off
	global_store_b64 v[53:54], v[167:168], off
	s_waitcnt vmcnt(15)
	s_clause 0x3
	global_store_b64 v[55:56], v[125:126], off
	global_store_b64 v[57:58], v[127:128], off
	;; [unrolled: 6-line block ×3, first 2 shown]
	s_waitcnt vmcnt(13)
	s_clause 0x1
	global_store_b64 v[67:68], v[129:130], off
	global_store_b64 v[69:70], v[131:132], off
	s_waitcnt vmcnt(12)
	s_clause 0x1
	global_store_b64 v[71:72], v[133:134], off
	global_store_b64 v[73:74], v[135:136], off
	;; [unrolled: 4-line block ×14, first 2 shown]
.LBB59_1176:
	s_endpgm
	.section	.rodata,"a",@progbits
	.p2align	6, 0x0
	.amdhsa_kernel _ZN9rocsolver6v33100L18trti2_kernel_smallILi60EdPdEEv13rocblas_fill_17rocblas_diagonal_T1_iil
		.amdhsa_group_segment_fixed_size 960
		.amdhsa_private_segment_fixed_size 496
		.amdhsa_kernarg_size 32
		.amdhsa_user_sgpr_count 15
		.amdhsa_user_sgpr_dispatch_ptr 0
		.amdhsa_user_sgpr_queue_ptr 0
		.amdhsa_user_sgpr_kernarg_segment_ptr 1
		.amdhsa_user_sgpr_dispatch_id 0
		.amdhsa_user_sgpr_private_segment_size 0
		.amdhsa_wavefront_size32 1
		.amdhsa_uses_dynamic_stack 0
		.amdhsa_enable_private_segment 1
		.amdhsa_system_sgpr_workgroup_id_x 1
		.amdhsa_system_sgpr_workgroup_id_y 0
		.amdhsa_system_sgpr_workgroup_id_z 0
		.amdhsa_system_sgpr_workgroup_info 0
		.amdhsa_system_vgpr_workitem_id 0
		.amdhsa_next_free_vgpr 174
		.amdhsa_next_free_sgpr 27
		.amdhsa_reserve_vcc 1
		.amdhsa_float_round_mode_32 0
		.amdhsa_float_round_mode_16_64 0
		.amdhsa_float_denorm_mode_32 3
		.amdhsa_float_denorm_mode_16_64 3
		.amdhsa_dx10_clamp 1
		.amdhsa_ieee_mode 1
		.amdhsa_fp16_overflow 0
		.amdhsa_workgroup_processor_mode 1
		.amdhsa_memory_ordered 1
		.amdhsa_forward_progress 0
		.amdhsa_shared_vgpr_count 0
		.amdhsa_exception_fp_ieee_invalid_op 0
		.amdhsa_exception_fp_denorm_src 0
		.amdhsa_exception_fp_ieee_div_zero 0
		.amdhsa_exception_fp_ieee_overflow 0
		.amdhsa_exception_fp_ieee_underflow 0
		.amdhsa_exception_fp_ieee_inexact 0
		.amdhsa_exception_int_div_zero 0
	.end_amdhsa_kernel
	.section	.text._ZN9rocsolver6v33100L18trti2_kernel_smallILi60EdPdEEv13rocblas_fill_17rocblas_diagonal_T1_iil,"axG",@progbits,_ZN9rocsolver6v33100L18trti2_kernel_smallILi60EdPdEEv13rocblas_fill_17rocblas_diagonal_T1_iil,comdat
.Lfunc_end59:
	.size	_ZN9rocsolver6v33100L18trti2_kernel_smallILi60EdPdEEv13rocblas_fill_17rocblas_diagonal_T1_iil, .Lfunc_end59-_ZN9rocsolver6v33100L18trti2_kernel_smallILi60EdPdEEv13rocblas_fill_17rocblas_diagonal_T1_iil
                                        ; -- End function
	.section	.AMDGPU.csdata,"",@progbits
; Kernel info:
; codeLenInByte = 32952
; NumSgprs: 29
; NumVgprs: 174
; ScratchSize: 496
; MemoryBound: 0
; FloatMode: 240
; IeeeMode: 1
; LDSByteSize: 960 bytes/workgroup (compile time only)
; SGPRBlocks: 3
; VGPRBlocks: 21
; NumSGPRsForWavesPerEU: 29
; NumVGPRsForWavesPerEU: 174
; Occupancy: 8
; WaveLimiterHint : 0
; COMPUTE_PGM_RSRC2:SCRATCH_EN: 1
; COMPUTE_PGM_RSRC2:USER_SGPR: 15
; COMPUTE_PGM_RSRC2:TRAP_HANDLER: 0
; COMPUTE_PGM_RSRC2:TGID_X_EN: 1
; COMPUTE_PGM_RSRC2:TGID_Y_EN: 0
; COMPUTE_PGM_RSRC2:TGID_Z_EN: 0
; COMPUTE_PGM_RSRC2:TIDIG_COMP_CNT: 0
	.section	.text._ZN9rocsolver6v33100L18trti2_kernel_smallILi61EdPdEEv13rocblas_fill_17rocblas_diagonal_T1_iil,"axG",@progbits,_ZN9rocsolver6v33100L18trti2_kernel_smallILi61EdPdEEv13rocblas_fill_17rocblas_diagonal_T1_iil,comdat
	.globl	_ZN9rocsolver6v33100L18trti2_kernel_smallILi61EdPdEEv13rocblas_fill_17rocblas_diagonal_T1_iil ; -- Begin function _ZN9rocsolver6v33100L18trti2_kernel_smallILi61EdPdEEv13rocblas_fill_17rocblas_diagonal_T1_iil
	.p2align	8
	.type	_ZN9rocsolver6v33100L18trti2_kernel_smallILi61EdPdEEv13rocblas_fill_17rocblas_diagonal_T1_iil,@function
_ZN9rocsolver6v33100L18trti2_kernel_smallILi61EdPdEEv13rocblas_fill_17rocblas_diagonal_T1_iil: ; @_ZN9rocsolver6v33100L18trti2_kernel_smallILi61EdPdEEv13rocblas_fill_17rocblas_diagonal_T1_iil
; %bb.0:
	s_mov_b32 s2, exec_lo
	v_cmpx_gt_u32_e32 61, v0
	s_cbranch_execz .LBB60_1196
; %bb.1:
	s_load_b256 s[0:7], s[0:1], 0x0
	s_ashr_i32 s8, s15, 31
	v_lshlrev_b32_e32 v145, 3, v0
	s_waitcnt lgkmcnt(0)
	s_mul_i32 s7, s15, s7
	s_mul_hi_u32 s10, s15, s6
	v_add3_u32 v1, s5, s5, v0
	s_mul_i32 s11, s8, s6
	s_ashr_i32 s9, s4, 31
	s_mov_b32 s8, s4
	s_add_i32 s4, s10, s7
	s_mul_i32 s6, s15, s6
	s_add_i32 s7, s4, s11
	v_add_nc_u32_e32 v3, s5, v1
	s_lshl_b64 s[6:7], s[6:7], 3
	v_ashrrev_i32_e32 v2, 31, v1
	s_add_u32 s4, s2, s6
	s_addc_u32 s6, s3, s7
	s_lshl_b64 s[2:3], s[8:9], 3
	v_add_nc_u32_e32 v7, s5, v3
	s_add_u32 s2, s4, s2
	s_addc_u32 s3, s6, s3
	v_add_co_u32 v47, s4, s2, v145
	s_mov_b32 s10, s5
	s_ashr_i32 s11, s5, 31
	v_lshlrev_b64 v[5:6], 3, v[1:2]
	v_add_co_ci_u32_e64 v48, null, s3, 0, s4
	s_lshl_b64 s[6:7], s[10:11], 3
	v_add_nc_u32_e32 v9, s5, v7
	v_ashrrev_i32_e32 v4, 31, v3
	v_add_co_u32 v51, vcc_lo, v47, s6
	v_ashrrev_i32_e32 v8, 31, v7
	v_add_co_ci_u32_e32 v52, vcc_lo, s7, v48, vcc_lo
	v_add_co_u32 v45, vcc_lo, s2, v5
	v_add_nc_u32_e32 v5, s5, v9
	v_lshlrev_b64 v[3:4], 3, v[3:4]
	v_ashrrev_i32_e32 v10, 31, v9
	v_lshlrev_b64 v[7:8], 3, v[7:8]
	v_add_co_ci_u32_e32 v46, vcc_lo, s3, v6, vcc_lo
	v_add_nc_u32_e32 v13, s5, v5
	v_add_co_u32 v49, vcc_lo, s2, v3
	v_ashrrev_i32_e32 v6, 31, v5
	v_add_co_ci_u32_e32 v50, vcc_lo, s3, v4, vcc_lo
	v_lshlrev_b64 v[3:4], 3, v[9:10]
	v_add_co_u32 v53, vcc_lo, s2, v7
	v_add_nc_u32_e32 v15, s5, v13
	v_add_co_ci_u32_e32 v54, vcc_lo, s3, v8, vcc_lo
	v_lshlrev_b64 v[7:8], 3, v[5:6]
	v_ashrrev_i32_e32 v14, 31, v13
	v_add_co_u32 v55, vcc_lo, s2, v3
	v_ashrrev_i32_e32 v16, 31, v15
	v_add_nc_u32_e32 v17, s5, v15
	v_add_co_ci_u32_e32 v56, vcc_lo, s3, v4, vcc_lo
	v_lshlrev_b64 v[13:14], 3, v[13:14]
	v_add_co_u32 v57, vcc_lo, s2, v7
	v_add_co_ci_u32_e32 v58, vcc_lo, s3, v8, vcc_lo
	v_lshlrev_b64 v[7:8], 3, v[15:16]
	v_ashrrev_i32_e32 v18, 31, v17
	v_add_nc_u32_e32 v15, s5, v17
	v_add_co_u32 v59, vcc_lo, s2, v13
	v_add_co_ci_u32_e32 v60, vcc_lo, s3, v14, vcc_lo
	s_delay_alu instid0(VALU_DEP_4) | instskip(NEXT) | instid1(VALU_DEP_4)
	v_lshlrev_b64 v[13:14], 3, v[17:18]
	v_ashrrev_i32_e32 v16, 31, v15
	v_add_nc_u32_e32 v17, s5, v15
	v_add_co_u32 v61, vcc_lo, s2, v7
	v_add_co_ci_u32_e32 v62, vcc_lo, s3, v8, vcc_lo
	s_delay_alu instid0(VALU_DEP_4) | instskip(NEXT) | instid1(VALU_DEP_4)
	v_lshlrev_b64 v[7:8], 3, v[15:16]
	v_ashrrev_i32_e32 v18, 31, v17
	v_add_nc_u32_e32 v15, s5, v17
	v_add_co_u32 v63, vcc_lo, s2, v13
	v_add_co_ci_u32_e32 v64, vcc_lo, s3, v14, vcc_lo
	s_delay_alu instid0(VALU_DEP_4) | instskip(NEXT) | instid1(VALU_DEP_4)
	v_lshlrev_b64 v[13:14], 3, v[17:18]
	v_ashrrev_i32_e32 v16, 31, v15
	v_add_nc_u32_e32 v17, s5, v15
	v_add_co_u32 v65, vcc_lo, s2, v7
	v_add_co_ci_u32_e32 v66, vcc_lo, s3, v8, vcc_lo
	s_delay_alu instid0(VALU_DEP_4) | instskip(NEXT) | instid1(VALU_DEP_4)
	v_lshlrev_b64 v[7:8], 3, v[15:16]
	v_ashrrev_i32_e32 v18, 31, v17
	v_add_nc_u32_e32 v15, s5, v17
	v_add_co_u32 v67, vcc_lo, s2, v13
	v_add_co_ci_u32_e32 v68, vcc_lo, s3, v14, vcc_lo
	s_delay_alu instid0(VALU_DEP_4) | instskip(NEXT) | instid1(VALU_DEP_4)
	v_lshlrev_b64 v[13:14], 3, v[17:18]
	v_ashrrev_i32_e32 v16, 31, v15
	v_add_nc_u32_e32 v17, s5, v15
	v_add_co_u32 v69, vcc_lo, s2, v7
	v_add_co_ci_u32_e32 v70, vcc_lo, s3, v8, vcc_lo
	s_delay_alu instid0(VALU_DEP_4) | instskip(NEXT) | instid1(VALU_DEP_4)
	v_lshlrev_b64 v[7:8], 3, v[15:16]
	v_ashrrev_i32_e32 v18, 31, v17
	v_add_nc_u32_e32 v15, s5, v17
	v_add_co_u32 v71, vcc_lo, s2, v13
	v_add_co_ci_u32_e32 v72, vcc_lo, s3, v14, vcc_lo
	s_delay_alu instid0(VALU_DEP_4) | instskip(NEXT) | instid1(VALU_DEP_4)
	v_lshlrev_b64 v[13:14], 3, v[17:18]
	v_ashrrev_i32_e32 v16, 31, v15
	v_add_nc_u32_e32 v17, s5, v15
	v_add_co_u32 v73, vcc_lo, s2, v7
	v_add_co_ci_u32_e32 v74, vcc_lo, s3, v8, vcc_lo
	s_delay_alu instid0(VALU_DEP_4) | instskip(NEXT) | instid1(VALU_DEP_4)
	v_lshlrev_b64 v[7:8], 3, v[15:16]
	v_ashrrev_i32_e32 v18, 31, v17
	v_add_nc_u32_e32 v15, s5, v17
	global_load_b64 v[1:2], v145, s[2:3]
	v_add_co_u32 v75, vcc_lo, s2, v13
	s_clause 0x3
	global_load_b64 v[3:4], v[51:52], off
	global_load_b64 v[9:10], v[45:46], off
	;; [unrolled: 1-line block ×4, first 2 shown]
	v_add_co_ci_u32_e32 v76, vcc_lo, s3, v14, vcc_lo
	v_lshlrev_b64 v[13:14], 3, v[17:18]
	v_add_nc_u32_e32 v17, s5, v15
	v_ashrrev_i32_e32 v16, 31, v15
	v_add_co_u32 v77, vcc_lo, s2, v7
	v_add_co_ci_u32_e32 v78, vcc_lo, s3, v8, vcc_lo
	s_delay_alu instid0(VALU_DEP_4)
	v_ashrrev_i32_e32 v18, 31, v17
	v_add_nc_u32_e32 v19, s5, v17
	s_clause 0x2
	global_load_b64 v[7:8], v[55:56], off
	global_load_b64 v[146:147], v[57:58], off
	;; [unrolled: 1-line block ×3, first 2 shown]
	v_add_co_u32 v89, vcc_lo, s2, v13
	v_lshlrev_b64 v[15:16], 3, v[15:16]
	v_add_co_ci_u32_e32 v90, vcc_lo, s3, v14, vcc_lo
	v_lshlrev_b64 v[13:14], 3, v[17:18]
	v_add_nc_u32_e32 v17, s5, v19
	v_ashrrev_i32_e32 v20, 31, v19
	s_clause 0x1
	global_load_b64 v[150:151], v[61:62], off
	global_load_b64 v[152:153], v[63:64], off
	v_add_co_u32 v85, vcc_lo, s2, v15
	v_ashrrev_i32_e32 v18, 31, v17
	v_add_co_ci_u32_e32 v86, vcc_lo, s3, v16, vcc_lo
	v_lshlrev_b64 v[15:16], 3, v[19:20]
	s_clause 0x3
	global_load_b64 v[37:38], v[65:66], off
	global_load_b64 v[39:40], v[67:68], off
	;; [unrolled: 1-line block ×4, first 2 shown]
	v_add_co_u32 v83, vcc_lo, s2, v13
	s_clause 0x1
	global_load_b64 v[33:34], v[73:74], off
	global_load_b64 v[35:36], v[75:76], off
	v_add_co_ci_u32_e32 v84, vcc_lo, s3, v14, vcc_lo
	v_lshlrev_b64 v[13:14], 3, v[17:18]
	v_add_co_u32 v79, vcc_lo, s2, v15
	v_add_co_ci_u32_e32 v80, vcc_lo, s3, v16, vcc_lo
	s_cmpk_lg_i32 s1, 0x84
	s_delay_alu instid0(VALU_DEP_3) | instskip(NEXT) | instid1(VALU_DEP_4)
	v_add_co_u32 v81, vcc_lo, s2, v13
	v_add_co_ci_u32_e32 v82, vcc_lo, s3, v14, vcc_lo
	s_clause 0x5
	global_load_b64 v[21:22], v[77:78], off
	global_load_b64 v[23:24], v[89:90], off
	;; [unrolled: 1-line block ×6, first 2 shown]
	v_add_nc_u32_e32 v13, s5, v17
	s_delay_alu instid0(VALU_DEP_1) | instskip(SKIP_1) | instid1(VALU_DEP_2)
	v_add_nc_u32_e32 v15, s5, v13
	v_ashrrev_i32_e32 v14, 31, v13
	v_add_nc_u32_e32 v17, s5, v15
	v_ashrrev_i32_e32 v16, 31, v15
	s_delay_alu instid0(VALU_DEP_3) | instskip(NEXT) | instid1(VALU_DEP_3)
	v_lshlrev_b64 v[13:14], 3, v[13:14]
	v_ashrrev_i32_e32 v18, 31, v17
	v_add_nc_u32_e32 v19, s5, v17
	s_delay_alu instid0(VALU_DEP_4) | instskip(NEXT) | instid1(VALU_DEP_4)
	v_lshlrev_b64 v[15:16], 3, v[15:16]
	v_add_co_u32 v87, vcc_lo, s2, v13
	v_add_co_ci_u32_e32 v88, vcc_lo, s3, v14, vcc_lo
	v_lshlrev_b64 v[13:14], 3, v[17:18]
	v_ashrrev_i32_e32 v20, 31, v19
	v_add_nc_u32_e32 v17, s5, v19
	v_add_co_u32 v91, vcc_lo, s2, v15
	v_add_co_ci_u32_e32 v92, vcc_lo, s3, v16, vcc_lo
	s_delay_alu instid0(VALU_DEP_4) | instskip(NEXT) | instid1(VALU_DEP_4)
	v_lshlrev_b64 v[15:16], 3, v[19:20]
	v_add_nc_u32_e32 v19, s5, v17
	v_ashrrev_i32_e32 v18, 31, v17
	v_add_co_u32 v93, vcc_lo, s2, v13
	v_add_co_ci_u32_e32 v94, vcc_lo, s3, v14, vcc_lo
	s_delay_alu instid0(VALU_DEP_4) | instskip(SKIP_3) | instid1(VALU_DEP_4)
	v_add_nc_u32_e32 v99, s5, v19
	v_ashrrev_i32_e32 v20, 31, v19
	v_lshlrev_b64 v[97:98], 3, v[17:18]
	v_add_co_u32 v95, vcc_lo, s2, v15
	v_add_nc_u32_e32 v101, s5, v99
	s_delay_alu instid0(VALU_DEP_4) | instskip(SKIP_2) | instid1(VALU_DEP_4)
	v_lshlrev_b64 v[19:20], 3, v[19:20]
	v_ashrrev_i32_e32 v100, 31, v99
	v_add_co_ci_u32_e32 v96, vcc_lo, s3, v16, vcc_lo
	v_add_nc_u32_e32 v105, s5, v101
	v_add_co_u32 v97, vcc_lo, s2, v97
	v_ashrrev_i32_e32 v102, 31, v101
	v_add_co_ci_u32_e32 v98, vcc_lo, s3, v98, vcc_lo
	s_delay_alu instid0(VALU_DEP_4) | instskip(SKIP_3) | instid1(VALU_DEP_4)
	v_add_nc_u32_e32 v107, s5, v105
	v_lshlrev_b64 v[103:104], 3, v[99:100]
	v_add_co_u32 v99, vcc_lo, s2, v19
	v_add_co_ci_u32_e32 v100, vcc_lo, s3, v20, vcc_lo
	v_add_nc_u32_e32 v109, s5, v107
	v_lshlrev_b64 v[19:20], 3, v[101:102]
	v_ashrrev_i32_e32 v106, 31, v105
	v_add_co_u32 v101, vcc_lo, s2, v103
	s_delay_alu instid0(VALU_DEP_4) | instskip(SKIP_3) | instid1(VALU_DEP_4)
	v_add_nc_u32_e32 v111, s5, v109
	v_ashrrev_i32_e32 v108, 31, v107
	v_add_co_ci_u32_e32 v102, vcc_lo, s3, v104, vcc_lo
	v_lshlrev_b64 v[105:106], 3, v[105:106]
	v_add_nc_u32_e32 v113, s5, v111
	v_add_co_u32 v103, vcc_lo, s2, v19
	v_add_co_ci_u32_e32 v104, vcc_lo, s3, v20, vcc_lo
	s_delay_alu instid0(VALU_DEP_3) | instskip(SKIP_3) | instid1(VALU_DEP_4)
	v_add_nc_u32_e32 v115, s5, v113
	v_lshlrev_b64 v[19:20], 3, v[107:108]
	v_ashrrev_i32_e32 v110, 31, v109
	v_add_co_u32 v105, vcc_lo, s2, v105
	v_add_nc_u32_e32 v117, s5, v115
	v_ashrrev_i32_e32 v112, 31, v111
	v_add_co_ci_u32_e32 v106, vcc_lo, s3, v106, vcc_lo
	v_lshlrev_b64 v[109:110], 3, v[109:110]
	s_delay_alu instid0(VALU_DEP_4) | instskip(SKIP_2) | instid1(VALU_DEP_3)
	v_add_nc_u32_e32 v119, s5, v117
	v_add_co_u32 v107, vcc_lo, s2, v19
	v_add_co_ci_u32_e32 v108, vcc_lo, s3, v20, vcc_lo
	v_add_nc_u32_e32 v121, s5, v119
	v_lshlrev_b64 v[19:20], 3, v[111:112]
	v_ashrrev_i32_e32 v114, 31, v113
	v_add_co_u32 v109, vcc_lo, s2, v109
	s_delay_alu instid0(VALU_DEP_4)
	v_add_nc_u32_e32 v123, s5, v121
	v_ashrrev_i32_e32 v116, 31, v115
	v_add_co_ci_u32_e32 v110, vcc_lo, s3, v110, vcc_lo
	v_lshlrev_b64 v[113:114], 3, v[113:114]
	v_add_co_u32 v111, vcc_lo, s2, v19
	v_add_nc_u32_e32 v125, s5, v123
	v_add_co_ci_u32_e32 v112, vcc_lo, s3, v20, vcc_lo
	v_lshlrev_b64 v[19:20], 3, v[115:116]
	v_ashrrev_i32_e32 v118, 31, v117
	v_add_co_u32 v113, vcc_lo, s2, v113
	v_ashrrev_i32_e32 v120, 31, v119
	v_add_nc_u32_e32 v127, s5, v125
	v_add_co_ci_u32_e32 v114, vcc_lo, s3, v114, vcc_lo
	v_lshlrev_b64 v[117:118], 3, v[117:118]
	v_add_co_u32 v115, vcc_lo, s2, v19
	v_add_co_ci_u32_e32 v116, vcc_lo, s3, v20, vcc_lo
	v_lshlrev_b64 v[19:20], 3, v[119:120]
	v_ashrrev_i32_e32 v122, 31, v121
	v_add_nc_u32_e32 v129, s5, v127
	v_add_co_u32 v117, vcc_lo, s2, v117
	v_ashrrev_i32_e32 v124, 31, v123
	v_add_co_ci_u32_e32 v118, vcc_lo, s3, v118, vcc_lo
	v_lshlrev_b64 v[121:122], 3, v[121:122]
	v_add_co_u32 v119, vcc_lo, s2, v19
	v_add_nc_u32_e32 v131, s5, v129
	v_add_co_ci_u32_e32 v120, vcc_lo, s3, v20, vcc_lo
	v_ashrrev_i32_e32 v126, 31, v125
	v_lshlrev_b64 v[19:20], 3, v[123:124]
	v_add_co_u32 v121, vcc_lo, s2, v121
	v_ashrrev_i32_e32 v128, 31, v127
	v_add_nc_u32_e32 v133, s5, v131
	v_add_co_ci_u32_e32 v122, vcc_lo, s3, v122, vcc_lo
	v_lshlrev_b64 v[125:126], 3, v[125:126]
	v_add_co_u32 v123, vcc_lo, s2, v19
	v_add_co_ci_u32_e32 v124, vcc_lo, s3, v20, vcc_lo
	v_lshlrev_b64 v[19:20], 3, v[127:128]
	v_ashrrev_i32_e32 v130, 31, v129
	v_add_nc_u32_e32 v135, s5, v133
	v_add_co_u32 v125, vcc_lo, s2, v125
	v_ashrrev_i32_e32 v132, 31, v131
	v_add_co_ci_u32_e32 v126, vcc_lo, s3, v126, vcc_lo
	v_lshlrev_b64 v[129:130], 3, v[129:130]
	v_add_nc_u32_e32 v137, s5, v135
	v_add_co_u32 v127, vcc_lo, s2, v19
	v_add_co_ci_u32_e32 v128, vcc_lo, s3, v20, vcc_lo
	v_lshlrev_b64 v[19:20], 3, v[131:132]
	v_ashrrev_i32_e32 v134, 31, v133
	v_add_nc_u32_e32 v139, s5, v137
	v_add_co_u32 v129, vcc_lo, s2, v129
	v_ashrrev_i32_e32 v136, 31, v135
	v_add_co_ci_u32_e32 v130, vcc_lo, s3, v130, vcc_lo
	v_lshlrev_b64 v[133:134], 3, v[133:134]
	v_add_co_u32 v131, vcc_lo, s2, v19
	v_add_nc_u32_e32 v141, s5, v139
	v_add_co_ci_u32_e32 v132, vcc_lo, s3, v20, vcc_lo
	v_lshlrev_b64 v[19:20], 3, v[135:136]
	v_ashrrev_i32_e32 v138, 31, v137
	v_add_co_u32 v133, vcc_lo, s2, v133
	v_ashrrev_i32_e32 v140, 31, v139
	v_add_nc_u32_e32 v143, s5, v141
	v_add_co_ci_u32_e32 v134, vcc_lo, s3, v134, vcc_lo
	v_lshlrev_b64 v[137:138], 3, v[137:138]
	v_add_co_u32 v135, vcc_lo, s2, v19
	v_add_co_ci_u32_e32 v136, vcc_lo, s3, v20, vcc_lo
	v_lshlrev_b64 v[19:20], 3, v[139:140]
	v_ashrrev_i32_e32 v142, 31, v141
	v_add_nc_u32_e32 v160, s5, v143
	v_add_co_u32 v137, vcc_lo, s2, v137
	v_ashrrev_i32_e32 v144, 31, v143
	v_add_co_ci_u32_e32 v138, vcc_lo, s3, v138, vcc_lo
	v_lshlrev_b64 v[141:142], 3, v[141:142]
	v_add_co_u32 v139, vcc_lo, s2, v19
	v_add_nc_u32_e32 v162, s5, v160
	v_add_co_ci_u32_e32 v140, vcc_lo, s3, v20, vcc_lo
	v_lshlrev_b64 v[19:20], 3, v[143:144]
	v_add_co_u32 v141, vcc_lo, s2, v141
	s_delay_alu instid0(VALU_DEP_4) | instskip(SKIP_1) | instid1(VALU_DEP_4)
	v_add_nc_u32_e32 v164, s5, v162
	v_add_co_ci_u32_e32 v142, vcc_lo, s3, v142, vcc_lo
	v_add_co_u32 v143, vcc_lo, s2, v19
	s_clause 0x2
	global_load_b64 v[13:14], v[87:88], off
	global_load_b64 v[15:16], v[91:92], off
	;; [unrolled: 1-line block ×3, first 2 shown]
	v_add_co_ci_u32_e32 v144, vcc_lo, s3, v20, vcc_lo
	v_ashrrev_i32_e32 v161, 31, v160
	v_ashrrev_i32_e32 v163, 31, v162
	;; [unrolled: 1-line block ×3, first 2 shown]
	s_waitcnt vmcnt(23)
	scratch_store_b128 off, v[1:4], off
	s_clause 0x3
	global_load_b64 v[19:20], v[95:96], off
	global_load_b64 v[154:155], v[97:98], off
	;; [unrolled: 1-line block ×4, first 2 shown]
	s_waitcnt vmcnt(25)
	scratch_store_b128 off, v[9:12], off offset:16
	v_add_nc_u32_e32 v9, s5, v164
	s_waitcnt vmcnt(23)
	scratch_store_b128 off, v[5:8], off offset:32
	s_waitcnt vmcnt(21)
	scratch_store_b128 off, v[146:149], off offset:48
	v_ashrrev_i32_e32 v10, 31, v9
	v_add_nc_u32_e32 v11, s5, v9
	v_lshlrev_b64 v[1:2], 3, v[160:161]
	v_lshlrev_b64 v[3:4], 3, v[162:163]
	s_clause 0x3
	global_load_b64 v[160:161], v[103:104], off
	global_load_b64 v[146:147], v[105:106], off
	global_load_b64 v[148:149], v[107:108], off
	global_load_b64 v[162:163], v[109:110], off
	v_lshlrev_b64 v[7:8], 3, v[9:10]
	v_add_nc_u32_e32 v9, s5, v11
	v_lshlrev_b64 v[5:6], 3, v[164:165]
	s_waitcnt vmcnt(23)
	scratch_store_b128 off, v[150:153], off offset:64
	v_add_co_u32 v1, vcc_lo, s2, v1
	v_add_nc_u32_e32 v150, s5, v9
	s_waitcnt vmcnt(21)
	scratch_store_b128 off, v[37:40], off offset:80
	s_waitcnt vmcnt(19)
	scratch_store_b128 off, v[41:44], off offset:96
	v_ashrrev_i32_e32 v12, 31, v11
	s_clause 0x4
	global_load_b64 v[164:165], v[111:112], off
	global_load_b64 v[37:38], v[113:114], off
	;; [unrolled: 1-line block ×5, first 2 shown]
	v_ashrrev_i32_e32 v151, 31, v150
	s_waitcnt vmcnt(22)
	scratch_store_b128 off, v[33:36], off offset:112
	v_add_nc_u32_e32 v33, s5, v150
	v_add_co_ci_u32_e32 v2, vcc_lo, s3, v2, vcc_lo
	v_add_co_u32 v3, vcc_lo, s2, v3
	v_ashrrev_i32_e32 v10, 31, v9
	v_add_co_ci_u32_e32 v4, vcc_lo, s3, v4, vcc_lo
	v_add_co_u32 v5, vcc_lo, s2, v5
	v_lshlrev_b64 v[11:12], 3, v[11:12]
	v_lshlrev_b64 v[35:36], 3, v[150:151]
	v_add_nc_u32_e32 v150, s5, v33
	v_add_co_ci_u32_e32 v6, vcc_lo, s3, v6, vcc_lo
	v_add_co_u32 v7, vcc_lo, s2, v7
	v_lshlrev_b64 v[152:153], 3, v[9:10]
	v_ashrrev_i32_e32 v34, 31, v33
	v_add_co_ci_u32_e32 v8, vcc_lo, s3, v8, vcc_lo
	s_waitcnt vmcnt(20)
	scratch_store_b128 off, v[21:24], off offset:128
	s_waitcnt vmcnt(18)
	scratch_store_b128 off, v[25:28], off offset:144
	;; [unrolled: 2-line block ×3, first 2 shown]
	v_add_nc_u32_e32 v25, s5, v150
	v_add_co_u32 v9, vcc_lo, s2, v11
	v_ashrrev_i32_e32 v151, 31, v150
	v_add_co_ci_u32_e32 v10, vcc_lo, s3, v12, vcc_lo
	v_add_co_u32 v11, vcc_lo, s2, v152
	v_lshlrev_b64 v[23:24], 3, v[33:34]
	v_ashrrev_i32_e32 v26, 31, v25
	v_add_co_ci_u32_e32 v12, vcc_lo, s3, v153, vcc_lo
	v_add_co_u32 v21, vcc_lo, s2, v35
	v_lshlrev_b64 v[27:28], 3, v[150:151]
	v_add_co_ci_u32_e32 v22, vcc_lo, s3, v36, vcc_lo
	v_add_co_u32 v23, vcc_lo, s2, v23
	v_lshlrev_b64 v[31:32], 3, v[25:26]
	v_add_co_ci_u32_e32 v24, vcc_lo, s3, v24, vcc_lo
	v_add_nc_u32_e32 v29, s5, v25
	v_add_co_u32 v25, vcc_lo, s2, v27
	v_add_co_ci_u32_e32 v26, vcc_lo, s3, v28, vcc_lo
	v_add_co_u32 v27, vcc_lo, s2, v31
	v_add_co_ci_u32_e32 v28, vcc_lo, s3, v32, vcc_lo
	s_clause 0x3
	global_load_b64 v[31:32], v[121:122], off
	global_load_b64 v[33:34], v[123:124], off
	;; [unrolled: 1-line block ×4, first 2 shown]
	v_ashrrev_i32_e32 v30, 31, v29
	s_waitcnt vmcnt(18)
	scratch_store_b128 off, v[13:16], off offset:176
	s_waitcnt vmcnt(16)
	scratch_store_b128 off, v[17:20], off offset:192
	v_lshlrev_b64 v[29:30], 3, v[29:30]
	s_clause 0x2
	global_load_b64 v[13:14], v[129:130], off
	global_load_b64 v[15:16], v[131:132], off
	global_load_b64 v[17:18], v[133:134], off
	s_waitcnt vmcnt(17)
	scratch_store_b128 off, v[154:157], off offset:208
	s_waitcnt vmcnt(15)
	scratch_store_b128 off, v[158:161], off offset:224
	s_clause 0x3
	global_load_b64 v[19:20], v[135:136], off
	global_load_b64 v[154:155], v[137:138], off
	global_load_b64 v[156:157], v[139:140], off
	global_load_b64 v[158:159], v[141:142], off
	s_waitcnt vmcnt(17)
	scratch_store_b128 off, v[146:149], off offset:240
	s_waitcnt vmcnt(15)
	scratch_store_b128 off, v[162:165], off offset:256
	s_clause 0x3
	global_load_b64 v[160:161], v[143:144], off
	;; [unrolled: 9-line block ×3, first 2 shown]
	global_load_b64 v[39:40], v[9:10], off
	global_load_b64 v[41:42], v[11:12], off
	;; [unrolled: 1-line block ×3, first 2 shown]
	v_add_co_u32 v29, vcc_lo, s2, v29
	v_add_co_ci_u32_e32 v30, vcc_lo, s3, v30, vcc_lo
	s_waitcnt vmcnt(17)
	scratch_store_b128 off, v[31:34], off offset:304
	s_waitcnt vmcnt(15)
	scratch_store_b128 off, v[150:153], off offset:320
	s_clause 0x3
	global_load_b64 v[164:165], v[23:24], off
	global_load_b64 v[31:32], v[25:26], off
	;; [unrolled: 1-line block ×4, first 2 shown]
	s_cselect_b32 s3, -1, 0
	s_cmpk_eq_i32 s1, 0x84
	s_waitcnt vmcnt(17)
	scratch_store_b128 off, v[13:16], off offset:336
	s_waitcnt vmcnt(15)
	scratch_store_b128 off, v[17:20], off offset:352
	;; [unrolled: 2-line block ×7, first 2 shown]
	v_mov_b32_e32 v13, 0
	v_mov_b32_e32 v14, 0xbff00000
	s_waitcnt vmcnt(3)
	scratch_store_b128 off, v[162:165], off offset:448
	s_waitcnt vmcnt(1)
	scratch_store_b128 off, v[31:34], off offset:464
	s_waitcnt vmcnt(0)
	scratch_store_b64 off, v[43:44], off offset:480
	s_cbranch_scc1 .LBB60_3
; %bb.2:
	scratch_load_b64 v[13:14], v145, off
	s_waitcnt vmcnt(0)
	v_div_scale_f64 v[15:16], null, v[13:14], v[13:14], 1.0
	v_div_scale_f64 v[31:32], vcc_lo, 1.0, v[13:14], 1.0
	s_delay_alu instid0(VALU_DEP_2) | instskip(SKIP_2) | instid1(VALU_DEP_1)
	v_rcp_f64_e32 v[17:18], v[15:16]
	s_waitcnt_depctr 0xfff
	v_fma_f64 v[19:20], -v[15:16], v[17:18], 1.0
	v_fma_f64 v[17:18], v[17:18], v[19:20], v[17:18]
	s_delay_alu instid0(VALU_DEP_1) | instskip(NEXT) | instid1(VALU_DEP_1)
	v_fma_f64 v[19:20], -v[15:16], v[17:18], 1.0
	v_fma_f64 v[17:18], v[17:18], v[19:20], v[17:18]
	s_delay_alu instid0(VALU_DEP_1) | instskip(NEXT) | instid1(VALU_DEP_1)
	v_mul_f64 v[19:20], v[31:32], v[17:18]
	v_fma_f64 v[15:16], -v[15:16], v[19:20], v[31:32]
	s_delay_alu instid0(VALU_DEP_1) | instskip(NEXT) | instid1(VALU_DEP_1)
	v_div_fmas_f64 v[15:16], v[15:16], v[17:18], v[19:20]
	v_div_fixup_f64 v[13:14], v[15:16], v[13:14], 1.0
	scratch_store_b64 v145, v[13:14], off
	v_xor_b32_e32 v14, 0x80000000, v14
.LBB60_3:
	v_add_nc_u32_e32 v15, 0x1f0, v145
	v_add_nc_u32_e32 v16, 0, v145
	s_cmpk_eq_i32 s0, 0x79
	s_mov_b32 s0, -1
	ds_store_b64 v145, v[13:14]
	s_cbranch_scc1 .LBB60_599
; %bb.4:
	scratch_load_b64 v[13:14], off, off offset:472
	v_cmp_eq_u32_e64 s0, 60, v0
	s_movk_i32 s1, 0x50
	s_movk_i32 s2, 0x60
	;; [unrolled: 1-line block ×25, first 2 shown]
	s_waitcnt vmcnt(0)
	ds_store_b64 v15, v[13:14]
	s_waitcnt lgkmcnt(0)
	s_waitcnt_vscnt null, 0x0
	s_barrier
	buffer_gl0_inv
	s_and_saveexec_b32 s27, s0
	s_cbranch_execz .LBB60_10
; %bb.5:
	s_and_b32 vcc_lo, exec_lo, s3
	s_cbranch_vccz .LBB60_7
; %bb.6:
	scratch_load_b64 v[13:14], v16, off
	ds_load_b64 v[17:18], v15
	s_waitcnt vmcnt(0) lgkmcnt(0)
	v_mul_f64 v[13:14], v[13:14], v[17:18]
	s_cbranch_execz .LBB60_8
	s_branch .LBB60_9
.LBB60_7:
                                        ; implicit-def: $vgpr13_vgpr14
.LBB60_8:
	ds_load_b64 v[13:14], v15
.LBB60_9:
	v_mov_b32_e32 v17, 0
	ds_load_b64 v[17:18], v17 offset:472
	s_waitcnt lgkmcnt(0)
	v_mul_f64 v[13:14], v[13:14], v[17:18]
	scratch_store_b64 off, v[13:14], off offset:472
.LBB60_10:
	s_or_b32 exec_lo, exec_lo, s27
	scratch_load_b64 v[13:14], off, off offset:464
	v_add_nc_u32_e64 v17, 0, 16
	v_add_nc_u32_e64 v18, 0, 32
	;; [unrolled: 1-line block ×29, first 2 shown]
	v_cmp_lt_u32_e64 s2, 58, v0
	s_waitcnt vmcnt(0)
	ds_store_b64 v15, v[13:14]
	s_waitcnt lgkmcnt(0)
	s_waitcnt_vscnt null, 0x0
	s_barrier
	buffer_gl0_inv
	s_and_saveexec_b32 s1, s2
	s_cbranch_execz .LBB60_18
; %bb.11:
	s_and_not1_b32 vcc_lo, exec_lo, s3
	s_cbranch_vccnz .LBB60_13
; %bb.12:
	scratch_load_b64 v[13:14], v16, off
	ds_load_b64 v[157:158], v15
	s_waitcnt vmcnt(0) lgkmcnt(0)
	v_mul_f64 v[13:14], v[13:14], v[157:158]
	s_cbranch_execz .LBB60_14
	s_branch .LBB60_15
.LBB60_13:
                                        ; implicit-def: $vgpr13_vgpr14
.LBB60_14:
	ds_load_b64 v[13:14], v15
.LBB60_15:
	s_and_saveexec_b32 s4, s0
	s_cbranch_execz .LBB60_17
; %bb.16:
	scratch_load_b64 v[157:158], off, off offset:472
	v_mov_b32_e32 v159, 0
	ds_load_b64 v[159:160], v159 offset:968
	s_waitcnt vmcnt(0) lgkmcnt(0)
	v_fma_f64 v[13:14], v[157:158], v[159:160], v[13:14]
.LBB60_17:
	s_or_b32 exec_lo, exec_lo, s4
	v_mov_b32_e32 v157, 0
	ds_load_b64 v[157:158], v157 offset:464
	s_waitcnt lgkmcnt(0)
	v_mul_f64 v[13:14], v[13:14], v[157:158]
	scratch_store_b64 off, v[13:14], off offset:464
.LBB60_18:
	s_or_b32 exec_lo, exec_lo, s1
	scratch_load_b64 v[13:14], off, off offset:456
	v_cmp_lt_u32_e64 s1, 57, v0
	s_waitcnt vmcnt(0)
	ds_store_b64 v15, v[13:14]
	s_waitcnt lgkmcnt(0)
	s_waitcnt_vscnt null, 0x0
	s_barrier
	buffer_gl0_inv
	s_and_saveexec_b32 s0, s1
	s_cbranch_execz .LBB60_28
; %bb.19:
	s_and_not1_b32 vcc_lo, exec_lo, s3
	s_cbranch_vccnz .LBB60_21
; %bb.20:
	scratch_load_b64 v[13:14], v16, off
	ds_load_b64 v[157:158], v15
	s_waitcnt vmcnt(0) lgkmcnt(0)
	v_mul_f64 v[13:14], v[13:14], v[157:158]
	s_cbranch_execz .LBB60_22
	s_branch .LBB60_23
.LBB60_21:
                                        ; implicit-def: $vgpr13_vgpr14
.LBB60_22:
	ds_load_b64 v[13:14], v15
.LBB60_23:
	s_and_saveexec_b32 s4, s2
	s_cbranch_execz .LBB60_27
; %bb.24:
	v_subrev_nc_u32_e32 v157, 58, v0
	s_movk_i32 s5, 0x3c0
	s_mov_b32 s2, 0
.LBB60_25:                              ; =>This Inner Loop Header: Depth=1
	scratch_load_b64 v[158:159], v156, off
	v_dual_mov_b32 v160, s5 :: v_dual_add_nc_u32 v157, -1, v157
	v_add_nc_u32_e32 v156, 8, v156
	s_add_i32 s5, s5, 8
	ds_load_b64 v[160:161], v160
	v_cmp_eq_u32_e32 vcc_lo, 0, v157
	s_or_b32 s2, vcc_lo, s2
	s_waitcnt vmcnt(0) lgkmcnt(0)
	v_fma_f64 v[13:14], v[158:159], v[160:161], v[13:14]
	s_and_not1_b32 exec_lo, exec_lo, s2
	s_cbranch_execnz .LBB60_25
; %bb.26:
	s_or_b32 exec_lo, exec_lo, s2
.LBB60_27:
	s_delay_alu instid0(SALU_CYCLE_1)
	s_or_b32 exec_lo, exec_lo, s4
	v_mov_b32_e32 v156, 0
	ds_load_b64 v[156:157], v156 offset:456
	s_waitcnt lgkmcnt(0)
	v_mul_f64 v[13:14], v[13:14], v[156:157]
	scratch_store_b64 off, v[13:14], off offset:456
.LBB60_28:
	s_or_b32 exec_lo, exec_lo, s0
	scratch_load_b64 v[13:14], off, off offset:448
	v_cmp_lt_u32_e64 s0, 56, v0
	s_waitcnt vmcnt(0)
	ds_store_b64 v15, v[13:14]
	s_waitcnt lgkmcnt(0)
	s_waitcnt_vscnt null, 0x0
	s_barrier
	buffer_gl0_inv
	s_and_saveexec_b32 s2, s0
	s_cbranch_execz .LBB60_38
; %bb.29:
	s_and_not1_b32 vcc_lo, exec_lo, s3
	s_cbranch_vccnz .LBB60_31
; %bb.30:
	scratch_load_b64 v[13:14], v16, off
	ds_load_b64 v[156:157], v15
	s_waitcnt vmcnt(0) lgkmcnt(0)
	v_mul_f64 v[13:14], v[13:14], v[156:157]
	s_cbranch_execz .LBB60_32
	s_branch .LBB60_33
.LBB60_31:
                                        ; implicit-def: $vgpr13_vgpr14
.LBB60_32:
	ds_load_b64 v[13:14], v15
.LBB60_33:
	s_and_saveexec_b32 s4, s1
	s_cbranch_execz .LBB60_37
; %bb.34:
	v_mov_b32_e32 v156, 0
	v_subrev_nc_u32_e32 v157, 57, v0
	s_movk_i32 s5, 0x3b8
	s_mov_b32 s1, 0
	s_delay_alu instid0(VALU_DEP_2)
	v_add_nc_u32_e32 v156, 0x1c8, v156
.LBB60_35:                              ; =>This Inner Loop Header: Depth=1
	scratch_load_b64 v[158:159], v156, off
	v_dual_mov_b32 v160, s5 :: v_dual_add_nc_u32 v157, -1, v157
	v_add_nc_u32_e32 v156, 8, v156
	s_add_i32 s5, s5, 8
	ds_load_b64 v[160:161], v160
	v_cmp_eq_u32_e32 vcc_lo, 0, v157
	s_or_b32 s1, vcc_lo, s1
	s_waitcnt vmcnt(0) lgkmcnt(0)
	v_fma_f64 v[13:14], v[158:159], v[160:161], v[13:14]
	s_and_not1_b32 exec_lo, exec_lo, s1
	s_cbranch_execnz .LBB60_35
; %bb.36:
	s_or_b32 exec_lo, exec_lo, s1
.LBB60_37:
	s_delay_alu instid0(SALU_CYCLE_1)
	s_or_b32 exec_lo, exec_lo, s4
	v_mov_b32_e32 v156, 0
	ds_load_b64 v[156:157], v156 offset:448
	s_waitcnt lgkmcnt(0)
	v_mul_f64 v[13:14], v[13:14], v[156:157]
	scratch_store_b64 off, v[13:14], off offset:448
.LBB60_38:
	s_or_b32 exec_lo, exec_lo, s2
	scratch_load_b64 v[13:14], off, off offset:440
	v_cmp_lt_u32_e64 s1, 55, v0
	s_waitcnt vmcnt(0)
	ds_store_b64 v15, v[13:14]
	s_waitcnt lgkmcnt(0)
	s_waitcnt_vscnt null, 0x0
	s_barrier
	buffer_gl0_inv
	s_and_saveexec_b32 s2, s1
	s_cbranch_execz .LBB60_48
; %bb.39:
	s_and_not1_b32 vcc_lo, exec_lo, s3
	s_cbranch_vccnz .LBB60_41
; %bb.40:
	scratch_load_b64 v[13:14], v16, off
	ds_load_b64 v[156:157], v15
	s_waitcnt vmcnt(0) lgkmcnt(0)
	v_mul_f64 v[13:14], v[13:14], v[156:157]
	s_cbranch_execz .LBB60_42
	s_branch .LBB60_43
.LBB60_41:
                                        ; implicit-def: $vgpr13_vgpr14
.LBB60_42:
	ds_load_b64 v[13:14], v15
.LBB60_43:
	s_and_saveexec_b32 s4, s0
	s_cbranch_execz .LBB60_47
; %bb.44:
	v_subrev_nc_u32_e32 v156, 56, v0
	s_movk_i32 s5, 0x3b0
	s_mov_b32 s0, 0
.LBB60_45:                              ; =>This Inner Loop Header: Depth=1
	scratch_load_b64 v[157:158], v155, off
	v_dual_mov_b32 v159, s5 :: v_dual_add_nc_u32 v156, -1, v156
	v_add_nc_u32_e32 v155, 8, v155
	s_add_i32 s5, s5, 8
	ds_load_b64 v[159:160], v159
	v_cmp_eq_u32_e32 vcc_lo, 0, v156
	s_or_b32 s0, vcc_lo, s0
	s_waitcnt vmcnt(0) lgkmcnt(0)
	v_fma_f64 v[13:14], v[157:158], v[159:160], v[13:14]
	s_and_not1_b32 exec_lo, exec_lo, s0
	s_cbranch_execnz .LBB60_45
; %bb.46:
	s_or_b32 exec_lo, exec_lo, s0
.LBB60_47:
	s_delay_alu instid0(SALU_CYCLE_1)
	s_or_b32 exec_lo, exec_lo, s4
	v_mov_b32_e32 v155, 0
	ds_load_b64 v[155:156], v155 offset:440
	s_waitcnt lgkmcnt(0)
	v_mul_f64 v[13:14], v[13:14], v[155:156]
	scratch_store_b64 off, v[13:14], off offset:440
.LBB60_48:
	s_or_b32 exec_lo, exec_lo, s2
	scratch_load_b64 v[13:14], off, off offset:432
	v_cmp_lt_u32_e64 s0, 54, v0
	s_waitcnt vmcnt(0)
	ds_store_b64 v15, v[13:14]
	s_waitcnt lgkmcnt(0)
	s_waitcnt_vscnt null, 0x0
	s_barrier
	buffer_gl0_inv
	s_and_saveexec_b32 s2, s0
	s_cbranch_execz .LBB60_58
; %bb.49:
	s_and_not1_b32 vcc_lo, exec_lo, s3
	s_cbranch_vccnz .LBB60_51
; %bb.50:
	scratch_load_b64 v[13:14], v16, off
	ds_load_b64 v[155:156], v15
	s_waitcnt vmcnt(0) lgkmcnt(0)
	v_mul_f64 v[13:14], v[13:14], v[155:156]
	s_cbranch_execz .LBB60_52
	s_branch .LBB60_53
.LBB60_51:
                                        ; implicit-def: $vgpr13_vgpr14
.LBB60_52:
	ds_load_b64 v[13:14], v15
.LBB60_53:
	s_and_saveexec_b32 s4, s1
	s_cbranch_execz .LBB60_57
; %bb.54:
	v_mov_b32_e32 v155, 0
	v_subrev_nc_u32_e32 v156, 55, v0
	s_movk_i32 s5, 0x3a8
	s_mov_b32 s1, 0
	s_delay_alu instid0(VALU_DEP_2)
	v_add_nc_u32_e32 v155, 0x1b8, v155
.LBB60_55:                              ; =>This Inner Loop Header: Depth=1
	scratch_load_b64 v[157:158], v155, off
	v_dual_mov_b32 v159, s5 :: v_dual_add_nc_u32 v156, -1, v156
	v_add_nc_u32_e32 v155, 8, v155
	s_add_i32 s5, s5, 8
	ds_load_b64 v[159:160], v159
	v_cmp_eq_u32_e32 vcc_lo, 0, v156
	s_or_b32 s1, vcc_lo, s1
	s_waitcnt vmcnt(0) lgkmcnt(0)
	v_fma_f64 v[13:14], v[157:158], v[159:160], v[13:14]
	s_and_not1_b32 exec_lo, exec_lo, s1
	s_cbranch_execnz .LBB60_55
; %bb.56:
	s_or_b32 exec_lo, exec_lo, s1
.LBB60_57:
	s_delay_alu instid0(SALU_CYCLE_1)
	s_or_b32 exec_lo, exec_lo, s4
	v_mov_b32_e32 v155, 0
	ds_load_b64 v[155:156], v155 offset:432
	s_waitcnt lgkmcnt(0)
	v_mul_f64 v[13:14], v[13:14], v[155:156]
	scratch_store_b64 off, v[13:14], off offset:432
.LBB60_58:
	s_or_b32 exec_lo, exec_lo, s2
	scratch_load_b64 v[13:14], off, off offset:424
	v_cmp_lt_u32_e64 s1, 53, v0
	s_waitcnt vmcnt(0)
	ds_store_b64 v15, v[13:14]
	s_waitcnt lgkmcnt(0)
	s_waitcnt_vscnt null, 0x0
	s_barrier
	buffer_gl0_inv
	s_and_saveexec_b32 s2, s1
	s_cbranch_execz .LBB60_68
; %bb.59:
	s_and_not1_b32 vcc_lo, exec_lo, s3
	s_cbranch_vccnz .LBB60_61
; %bb.60:
	scratch_load_b64 v[13:14], v16, off
	ds_load_b64 v[155:156], v15
	s_waitcnt vmcnt(0) lgkmcnt(0)
	v_mul_f64 v[13:14], v[13:14], v[155:156]
	s_cbranch_execz .LBB60_62
	s_branch .LBB60_63
.LBB60_61:
                                        ; implicit-def: $vgpr13_vgpr14
.LBB60_62:
	ds_load_b64 v[13:14], v15
.LBB60_63:
	s_and_saveexec_b32 s4, s0
	s_cbranch_execz .LBB60_67
; %bb.64:
	v_subrev_nc_u32_e32 v155, 54, v0
	s_movk_i32 s5, 0x3a0
	s_mov_b32 s0, 0
.LBB60_65:                              ; =>This Inner Loop Header: Depth=1
	scratch_load_b64 v[156:157], v154, off
	v_dual_mov_b32 v158, s5 :: v_dual_add_nc_u32 v155, -1, v155
	v_add_nc_u32_e32 v154, 8, v154
	s_add_i32 s5, s5, 8
	ds_load_b64 v[158:159], v158
	v_cmp_eq_u32_e32 vcc_lo, 0, v155
	s_or_b32 s0, vcc_lo, s0
	s_waitcnt vmcnt(0) lgkmcnt(0)
	v_fma_f64 v[13:14], v[156:157], v[158:159], v[13:14]
	s_and_not1_b32 exec_lo, exec_lo, s0
	s_cbranch_execnz .LBB60_65
; %bb.66:
	s_or_b32 exec_lo, exec_lo, s0
.LBB60_67:
	s_delay_alu instid0(SALU_CYCLE_1)
	s_or_b32 exec_lo, exec_lo, s4
	v_mov_b32_e32 v154, 0
	ds_load_b64 v[154:155], v154 offset:424
	s_waitcnt lgkmcnt(0)
	v_mul_f64 v[13:14], v[13:14], v[154:155]
	scratch_store_b64 off, v[13:14], off offset:424
.LBB60_68:
	s_or_b32 exec_lo, exec_lo, s2
	scratch_load_b64 v[13:14], off, off offset:416
	v_cmp_lt_u32_e64 s0, 52, v0
	s_waitcnt vmcnt(0)
	ds_store_b64 v15, v[13:14]
	s_waitcnt lgkmcnt(0)
	s_waitcnt_vscnt null, 0x0
	s_barrier
	buffer_gl0_inv
	s_and_saveexec_b32 s2, s0
	s_cbranch_execz .LBB60_78
; %bb.69:
	s_and_not1_b32 vcc_lo, exec_lo, s3
	s_cbranch_vccnz .LBB60_71
; %bb.70:
	scratch_load_b64 v[13:14], v16, off
	ds_load_b64 v[154:155], v15
	s_waitcnt vmcnt(0) lgkmcnt(0)
	v_mul_f64 v[13:14], v[13:14], v[154:155]
	s_cbranch_execz .LBB60_72
	s_branch .LBB60_73
.LBB60_71:
                                        ; implicit-def: $vgpr13_vgpr14
.LBB60_72:
	ds_load_b64 v[13:14], v15
.LBB60_73:
	s_and_saveexec_b32 s4, s1
	s_cbranch_execz .LBB60_77
; %bb.74:
	v_mov_b32_e32 v154, 0
	v_subrev_nc_u32_e32 v155, 53, v0
	s_movk_i32 s5, 0x398
	s_mov_b32 s1, 0
	s_delay_alu instid0(VALU_DEP_2)
	v_add_nc_u32_e32 v154, 0x1a8, v154
.LBB60_75:                              ; =>This Inner Loop Header: Depth=1
	scratch_load_b64 v[156:157], v154, off
	v_dual_mov_b32 v158, s5 :: v_dual_add_nc_u32 v155, -1, v155
	v_add_nc_u32_e32 v154, 8, v154
	s_add_i32 s5, s5, 8
	ds_load_b64 v[158:159], v158
	v_cmp_eq_u32_e32 vcc_lo, 0, v155
	s_or_b32 s1, vcc_lo, s1
	s_waitcnt vmcnt(0) lgkmcnt(0)
	v_fma_f64 v[13:14], v[156:157], v[158:159], v[13:14]
	s_and_not1_b32 exec_lo, exec_lo, s1
	s_cbranch_execnz .LBB60_75
; %bb.76:
	s_or_b32 exec_lo, exec_lo, s1
.LBB60_77:
	s_delay_alu instid0(SALU_CYCLE_1)
	s_or_b32 exec_lo, exec_lo, s4
	v_mov_b32_e32 v154, 0
	ds_load_b64 v[154:155], v154 offset:416
	s_waitcnt lgkmcnt(0)
	v_mul_f64 v[13:14], v[13:14], v[154:155]
	scratch_store_b64 off, v[13:14], off offset:416
.LBB60_78:
	s_or_b32 exec_lo, exec_lo, s2
	scratch_load_b64 v[13:14], off, off offset:408
	v_cmp_lt_u32_e64 s1, 51, v0
	s_waitcnt vmcnt(0)
	ds_store_b64 v15, v[13:14]
	s_waitcnt lgkmcnt(0)
	s_waitcnt_vscnt null, 0x0
	s_barrier
	buffer_gl0_inv
	s_and_saveexec_b32 s2, s1
	s_cbranch_execz .LBB60_88
; %bb.79:
	s_and_not1_b32 vcc_lo, exec_lo, s3
	s_cbranch_vccnz .LBB60_81
; %bb.80:
	scratch_load_b64 v[13:14], v16, off
	ds_load_b64 v[154:155], v15
	s_waitcnt vmcnt(0) lgkmcnt(0)
	v_mul_f64 v[13:14], v[13:14], v[154:155]
	s_cbranch_execz .LBB60_82
	s_branch .LBB60_83
.LBB60_81:
                                        ; implicit-def: $vgpr13_vgpr14
.LBB60_82:
	ds_load_b64 v[13:14], v15
.LBB60_83:
	s_and_saveexec_b32 s4, s0
	s_cbranch_execz .LBB60_87
; %bb.84:
	v_subrev_nc_u32_e32 v154, 52, v0
	s_movk_i32 s5, 0x390
	s_mov_b32 s0, 0
.LBB60_85:                              ; =>This Inner Loop Header: Depth=1
	scratch_load_b64 v[155:156], v153, off
	v_dual_mov_b32 v157, s5 :: v_dual_add_nc_u32 v154, -1, v154
	v_add_nc_u32_e32 v153, 8, v153
	s_add_i32 s5, s5, 8
	ds_load_b64 v[157:158], v157
	v_cmp_eq_u32_e32 vcc_lo, 0, v154
	s_or_b32 s0, vcc_lo, s0
	s_waitcnt vmcnt(0) lgkmcnt(0)
	v_fma_f64 v[13:14], v[155:156], v[157:158], v[13:14]
	s_and_not1_b32 exec_lo, exec_lo, s0
	s_cbranch_execnz .LBB60_85
; %bb.86:
	s_or_b32 exec_lo, exec_lo, s0
.LBB60_87:
	s_delay_alu instid0(SALU_CYCLE_1)
	s_or_b32 exec_lo, exec_lo, s4
	v_mov_b32_e32 v153, 0
	ds_load_b64 v[153:154], v153 offset:408
	s_waitcnt lgkmcnt(0)
	v_mul_f64 v[13:14], v[13:14], v[153:154]
	scratch_store_b64 off, v[13:14], off offset:408
.LBB60_88:
	s_or_b32 exec_lo, exec_lo, s2
	scratch_load_b64 v[13:14], off, off offset:400
	v_cmp_lt_u32_e64 s0, 50, v0
	s_waitcnt vmcnt(0)
	ds_store_b64 v15, v[13:14]
	s_waitcnt lgkmcnt(0)
	s_waitcnt_vscnt null, 0x0
	s_barrier
	buffer_gl0_inv
	s_and_saveexec_b32 s2, s0
	s_cbranch_execz .LBB60_98
; %bb.89:
	s_and_not1_b32 vcc_lo, exec_lo, s3
	s_cbranch_vccnz .LBB60_91
; %bb.90:
	scratch_load_b64 v[13:14], v16, off
	ds_load_b64 v[153:154], v15
	s_waitcnt vmcnt(0) lgkmcnt(0)
	v_mul_f64 v[13:14], v[13:14], v[153:154]
	s_cbranch_execz .LBB60_92
	s_branch .LBB60_93
.LBB60_91:
                                        ; implicit-def: $vgpr13_vgpr14
.LBB60_92:
	ds_load_b64 v[13:14], v15
.LBB60_93:
	s_and_saveexec_b32 s4, s1
	s_cbranch_execz .LBB60_97
; %bb.94:
	v_mov_b32_e32 v153, 0
	v_subrev_nc_u32_e32 v154, 51, v0
	s_movk_i32 s5, 0x388
	s_mov_b32 s1, 0
	s_delay_alu instid0(VALU_DEP_2)
	v_add_nc_u32_e32 v153, 0x198, v153
.LBB60_95:                              ; =>This Inner Loop Header: Depth=1
	scratch_load_b64 v[155:156], v153, off
	v_dual_mov_b32 v157, s5 :: v_dual_add_nc_u32 v154, -1, v154
	v_add_nc_u32_e32 v153, 8, v153
	s_add_i32 s5, s5, 8
	ds_load_b64 v[157:158], v157
	v_cmp_eq_u32_e32 vcc_lo, 0, v154
	s_or_b32 s1, vcc_lo, s1
	s_waitcnt vmcnt(0) lgkmcnt(0)
	v_fma_f64 v[13:14], v[155:156], v[157:158], v[13:14]
	s_and_not1_b32 exec_lo, exec_lo, s1
	s_cbranch_execnz .LBB60_95
; %bb.96:
	s_or_b32 exec_lo, exec_lo, s1
.LBB60_97:
	s_delay_alu instid0(SALU_CYCLE_1)
	s_or_b32 exec_lo, exec_lo, s4
	v_mov_b32_e32 v153, 0
	ds_load_b64 v[153:154], v153 offset:400
	s_waitcnt lgkmcnt(0)
	v_mul_f64 v[13:14], v[13:14], v[153:154]
	scratch_store_b64 off, v[13:14], off offset:400
.LBB60_98:
	s_or_b32 exec_lo, exec_lo, s2
	scratch_load_b64 v[13:14], off, off offset:392
	v_cmp_lt_u32_e64 s1, 49, v0
	s_waitcnt vmcnt(0)
	ds_store_b64 v15, v[13:14]
	s_waitcnt lgkmcnt(0)
	s_waitcnt_vscnt null, 0x0
	s_barrier
	buffer_gl0_inv
	s_and_saveexec_b32 s2, s1
	s_cbranch_execz .LBB60_108
; %bb.99:
	s_and_not1_b32 vcc_lo, exec_lo, s3
	s_cbranch_vccnz .LBB60_101
; %bb.100:
	scratch_load_b64 v[13:14], v16, off
	ds_load_b64 v[153:154], v15
	s_waitcnt vmcnt(0) lgkmcnt(0)
	v_mul_f64 v[13:14], v[13:14], v[153:154]
	s_cbranch_execz .LBB60_102
	s_branch .LBB60_103
.LBB60_101:
                                        ; implicit-def: $vgpr13_vgpr14
.LBB60_102:
	ds_load_b64 v[13:14], v15
.LBB60_103:
	s_and_saveexec_b32 s4, s0
	s_cbranch_execz .LBB60_107
; %bb.104:
	v_subrev_nc_u32_e32 v153, 50, v0
	s_movk_i32 s5, 0x380
	s_mov_b32 s0, 0
.LBB60_105:                             ; =>This Inner Loop Header: Depth=1
	scratch_load_b64 v[154:155], v152, off
	v_dual_mov_b32 v156, s5 :: v_dual_add_nc_u32 v153, -1, v153
	v_add_nc_u32_e32 v152, 8, v152
	s_add_i32 s5, s5, 8
	ds_load_b64 v[156:157], v156
	v_cmp_eq_u32_e32 vcc_lo, 0, v153
	s_or_b32 s0, vcc_lo, s0
	s_waitcnt vmcnt(0) lgkmcnt(0)
	v_fma_f64 v[13:14], v[154:155], v[156:157], v[13:14]
	s_and_not1_b32 exec_lo, exec_lo, s0
	s_cbranch_execnz .LBB60_105
; %bb.106:
	s_or_b32 exec_lo, exec_lo, s0
.LBB60_107:
	s_delay_alu instid0(SALU_CYCLE_1)
	s_or_b32 exec_lo, exec_lo, s4
	v_mov_b32_e32 v152, 0
	ds_load_b64 v[152:153], v152 offset:392
	s_waitcnt lgkmcnt(0)
	v_mul_f64 v[13:14], v[13:14], v[152:153]
	scratch_store_b64 off, v[13:14], off offset:392
.LBB60_108:
	s_or_b32 exec_lo, exec_lo, s2
	scratch_load_b64 v[13:14], off, off offset:384
	v_cmp_lt_u32_e64 s0, 48, v0
	s_waitcnt vmcnt(0)
	ds_store_b64 v15, v[13:14]
	s_waitcnt lgkmcnt(0)
	s_waitcnt_vscnt null, 0x0
	s_barrier
	buffer_gl0_inv
	s_and_saveexec_b32 s2, s0
	s_cbranch_execz .LBB60_118
; %bb.109:
	s_and_not1_b32 vcc_lo, exec_lo, s3
	s_cbranch_vccnz .LBB60_111
; %bb.110:
	scratch_load_b64 v[13:14], v16, off
	ds_load_b64 v[152:153], v15
	s_waitcnt vmcnt(0) lgkmcnt(0)
	v_mul_f64 v[13:14], v[13:14], v[152:153]
	s_cbranch_execz .LBB60_112
	s_branch .LBB60_113
.LBB60_111:
                                        ; implicit-def: $vgpr13_vgpr14
.LBB60_112:
	ds_load_b64 v[13:14], v15
.LBB60_113:
	s_and_saveexec_b32 s4, s1
	s_cbranch_execz .LBB60_117
; %bb.114:
	v_mov_b32_e32 v152, 0
	v_subrev_nc_u32_e32 v153, 49, v0
	s_movk_i32 s5, 0x378
	s_mov_b32 s1, 0
	s_delay_alu instid0(VALU_DEP_2)
	v_add_nc_u32_e32 v152, 0x188, v152
.LBB60_115:                             ; =>This Inner Loop Header: Depth=1
	scratch_load_b64 v[154:155], v152, off
	v_dual_mov_b32 v156, s5 :: v_dual_add_nc_u32 v153, -1, v153
	v_add_nc_u32_e32 v152, 8, v152
	s_add_i32 s5, s5, 8
	ds_load_b64 v[156:157], v156
	v_cmp_eq_u32_e32 vcc_lo, 0, v153
	s_or_b32 s1, vcc_lo, s1
	s_waitcnt vmcnt(0) lgkmcnt(0)
	v_fma_f64 v[13:14], v[154:155], v[156:157], v[13:14]
	s_and_not1_b32 exec_lo, exec_lo, s1
	s_cbranch_execnz .LBB60_115
; %bb.116:
	s_or_b32 exec_lo, exec_lo, s1
.LBB60_117:
	s_delay_alu instid0(SALU_CYCLE_1)
	s_or_b32 exec_lo, exec_lo, s4
	v_mov_b32_e32 v152, 0
	ds_load_b64 v[152:153], v152 offset:384
	s_waitcnt lgkmcnt(0)
	v_mul_f64 v[13:14], v[13:14], v[152:153]
	scratch_store_b64 off, v[13:14], off offset:384
.LBB60_118:
	s_or_b32 exec_lo, exec_lo, s2
	scratch_load_b64 v[13:14], off, off offset:376
	v_cmp_lt_u32_e64 s1, 47, v0
	s_waitcnt vmcnt(0)
	ds_store_b64 v15, v[13:14]
	s_waitcnt lgkmcnt(0)
	s_waitcnt_vscnt null, 0x0
	s_barrier
	buffer_gl0_inv
	s_and_saveexec_b32 s2, s1
	s_cbranch_execz .LBB60_128
; %bb.119:
	s_and_not1_b32 vcc_lo, exec_lo, s3
	s_cbranch_vccnz .LBB60_121
; %bb.120:
	scratch_load_b64 v[13:14], v16, off
	ds_load_b64 v[152:153], v15
	s_waitcnt vmcnt(0) lgkmcnt(0)
	v_mul_f64 v[13:14], v[13:14], v[152:153]
	s_cbranch_execz .LBB60_122
	s_branch .LBB60_123
.LBB60_121:
                                        ; implicit-def: $vgpr13_vgpr14
.LBB60_122:
	ds_load_b64 v[13:14], v15
.LBB60_123:
	s_and_saveexec_b32 s4, s0
	s_cbranch_execz .LBB60_127
; %bb.124:
	v_subrev_nc_u32_e32 v152, 48, v0
	s_movk_i32 s5, 0x370
	s_mov_b32 s0, 0
.LBB60_125:                             ; =>This Inner Loop Header: Depth=1
	scratch_load_b64 v[153:154], v151, off
	v_dual_mov_b32 v155, s5 :: v_dual_add_nc_u32 v152, -1, v152
	v_add_nc_u32_e32 v151, 8, v151
	s_add_i32 s5, s5, 8
	ds_load_b64 v[155:156], v155
	v_cmp_eq_u32_e32 vcc_lo, 0, v152
	s_or_b32 s0, vcc_lo, s0
	s_waitcnt vmcnt(0) lgkmcnt(0)
	v_fma_f64 v[13:14], v[153:154], v[155:156], v[13:14]
	s_and_not1_b32 exec_lo, exec_lo, s0
	s_cbranch_execnz .LBB60_125
; %bb.126:
	s_or_b32 exec_lo, exec_lo, s0
.LBB60_127:
	s_delay_alu instid0(SALU_CYCLE_1)
	s_or_b32 exec_lo, exec_lo, s4
	v_mov_b32_e32 v151, 0
	ds_load_b64 v[151:152], v151 offset:376
	s_waitcnt lgkmcnt(0)
	v_mul_f64 v[13:14], v[13:14], v[151:152]
	scratch_store_b64 off, v[13:14], off offset:376
.LBB60_128:
	s_or_b32 exec_lo, exec_lo, s2
	scratch_load_b64 v[13:14], off, off offset:368
	v_cmp_lt_u32_e64 s0, 46, v0
	s_waitcnt vmcnt(0)
	ds_store_b64 v15, v[13:14]
	s_waitcnt lgkmcnt(0)
	s_waitcnt_vscnt null, 0x0
	s_barrier
	buffer_gl0_inv
	s_and_saveexec_b32 s2, s0
	s_cbranch_execz .LBB60_138
; %bb.129:
	s_and_not1_b32 vcc_lo, exec_lo, s3
	s_cbranch_vccnz .LBB60_131
; %bb.130:
	scratch_load_b64 v[13:14], v16, off
	ds_load_b64 v[151:152], v15
	s_waitcnt vmcnt(0) lgkmcnt(0)
	v_mul_f64 v[13:14], v[13:14], v[151:152]
	s_cbranch_execz .LBB60_132
	s_branch .LBB60_133
.LBB60_131:
                                        ; implicit-def: $vgpr13_vgpr14
.LBB60_132:
	ds_load_b64 v[13:14], v15
.LBB60_133:
	s_and_saveexec_b32 s4, s1
	s_cbranch_execz .LBB60_137
; %bb.134:
	v_mov_b32_e32 v151, 0
	v_subrev_nc_u32_e32 v152, 47, v0
	s_movk_i32 s5, 0x368
	s_mov_b32 s1, 0
	s_delay_alu instid0(VALU_DEP_2)
	v_add_nc_u32_e32 v151, 0x178, v151
.LBB60_135:                             ; =>This Inner Loop Header: Depth=1
	scratch_load_b64 v[153:154], v151, off
	v_dual_mov_b32 v155, s5 :: v_dual_add_nc_u32 v152, -1, v152
	v_add_nc_u32_e32 v151, 8, v151
	s_add_i32 s5, s5, 8
	ds_load_b64 v[155:156], v155
	v_cmp_eq_u32_e32 vcc_lo, 0, v152
	s_or_b32 s1, vcc_lo, s1
	s_waitcnt vmcnt(0) lgkmcnt(0)
	v_fma_f64 v[13:14], v[153:154], v[155:156], v[13:14]
	s_and_not1_b32 exec_lo, exec_lo, s1
	s_cbranch_execnz .LBB60_135
; %bb.136:
	s_or_b32 exec_lo, exec_lo, s1
.LBB60_137:
	s_delay_alu instid0(SALU_CYCLE_1)
	s_or_b32 exec_lo, exec_lo, s4
	v_mov_b32_e32 v151, 0
	ds_load_b64 v[151:152], v151 offset:368
	s_waitcnt lgkmcnt(0)
	v_mul_f64 v[13:14], v[13:14], v[151:152]
	scratch_store_b64 off, v[13:14], off offset:368
.LBB60_138:
	s_or_b32 exec_lo, exec_lo, s2
	scratch_load_b64 v[13:14], off, off offset:360
	v_cmp_lt_u32_e64 s1, 45, v0
	s_waitcnt vmcnt(0)
	ds_store_b64 v15, v[13:14]
	s_waitcnt lgkmcnt(0)
	s_waitcnt_vscnt null, 0x0
	s_barrier
	buffer_gl0_inv
	s_and_saveexec_b32 s2, s1
	s_cbranch_execz .LBB60_148
; %bb.139:
	s_and_not1_b32 vcc_lo, exec_lo, s3
	s_cbranch_vccnz .LBB60_141
; %bb.140:
	scratch_load_b64 v[13:14], v16, off
	ds_load_b64 v[151:152], v15
	s_waitcnt vmcnt(0) lgkmcnt(0)
	v_mul_f64 v[13:14], v[13:14], v[151:152]
	s_cbranch_execz .LBB60_142
	s_branch .LBB60_143
.LBB60_141:
                                        ; implicit-def: $vgpr13_vgpr14
.LBB60_142:
	ds_load_b64 v[13:14], v15
.LBB60_143:
	s_and_saveexec_b32 s4, s0
	s_cbranch_execz .LBB60_147
; %bb.144:
	v_subrev_nc_u32_e32 v151, 46, v0
	s_movk_i32 s5, 0x360
	s_mov_b32 s0, 0
.LBB60_145:                             ; =>This Inner Loop Header: Depth=1
	scratch_load_b64 v[152:153], v150, off
	v_dual_mov_b32 v154, s5 :: v_dual_add_nc_u32 v151, -1, v151
	v_add_nc_u32_e32 v150, 8, v150
	s_add_i32 s5, s5, 8
	ds_load_b64 v[154:155], v154
	v_cmp_eq_u32_e32 vcc_lo, 0, v151
	s_or_b32 s0, vcc_lo, s0
	s_waitcnt vmcnt(0) lgkmcnt(0)
	v_fma_f64 v[13:14], v[152:153], v[154:155], v[13:14]
	s_and_not1_b32 exec_lo, exec_lo, s0
	s_cbranch_execnz .LBB60_145
; %bb.146:
	s_or_b32 exec_lo, exec_lo, s0
.LBB60_147:
	s_delay_alu instid0(SALU_CYCLE_1)
	s_or_b32 exec_lo, exec_lo, s4
	v_mov_b32_e32 v150, 0
	ds_load_b64 v[150:151], v150 offset:360
	s_waitcnt lgkmcnt(0)
	v_mul_f64 v[13:14], v[13:14], v[150:151]
	scratch_store_b64 off, v[13:14], off offset:360
.LBB60_148:
	s_or_b32 exec_lo, exec_lo, s2
	scratch_load_b64 v[13:14], off, off offset:352
	v_cmp_lt_u32_e64 s0, 44, v0
	s_waitcnt vmcnt(0)
	ds_store_b64 v15, v[13:14]
	s_waitcnt lgkmcnt(0)
	s_waitcnt_vscnt null, 0x0
	s_barrier
	buffer_gl0_inv
	s_and_saveexec_b32 s2, s0
	s_cbranch_execz .LBB60_158
; %bb.149:
	s_and_not1_b32 vcc_lo, exec_lo, s3
	s_cbranch_vccnz .LBB60_151
; %bb.150:
	scratch_load_b64 v[13:14], v16, off
	ds_load_b64 v[150:151], v15
	s_waitcnt vmcnt(0) lgkmcnt(0)
	v_mul_f64 v[13:14], v[13:14], v[150:151]
	s_cbranch_execz .LBB60_152
	s_branch .LBB60_153
.LBB60_151:
                                        ; implicit-def: $vgpr13_vgpr14
.LBB60_152:
	ds_load_b64 v[13:14], v15
.LBB60_153:
	s_and_saveexec_b32 s4, s1
	s_cbranch_execz .LBB60_157
; %bb.154:
	v_mov_b32_e32 v150, 0
	v_subrev_nc_u32_e32 v151, 45, v0
	s_movk_i32 s5, 0x358
	s_mov_b32 s1, 0
	s_delay_alu instid0(VALU_DEP_2)
	v_add_nc_u32_e32 v150, 0x168, v150
.LBB60_155:                             ; =>This Inner Loop Header: Depth=1
	scratch_load_b64 v[152:153], v150, off
	v_dual_mov_b32 v154, s5 :: v_dual_add_nc_u32 v151, -1, v151
	v_add_nc_u32_e32 v150, 8, v150
	s_add_i32 s5, s5, 8
	ds_load_b64 v[154:155], v154
	v_cmp_eq_u32_e32 vcc_lo, 0, v151
	s_or_b32 s1, vcc_lo, s1
	s_waitcnt vmcnt(0) lgkmcnt(0)
	v_fma_f64 v[13:14], v[152:153], v[154:155], v[13:14]
	s_and_not1_b32 exec_lo, exec_lo, s1
	s_cbranch_execnz .LBB60_155
; %bb.156:
	s_or_b32 exec_lo, exec_lo, s1
.LBB60_157:
	s_delay_alu instid0(SALU_CYCLE_1)
	s_or_b32 exec_lo, exec_lo, s4
	v_mov_b32_e32 v150, 0
	ds_load_b64 v[150:151], v150 offset:352
	s_waitcnt lgkmcnt(0)
	v_mul_f64 v[13:14], v[13:14], v[150:151]
	scratch_store_b64 off, v[13:14], off offset:352
.LBB60_158:
	s_or_b32 exec_lo, exec_lo, s2
	scratch_load_b64 v[13:14], off, off offset:344
	v_cmp_lt_u32_e64 s1, 43, v0
	s_waitcnt vmcnt(0)
	ds_store_b64 v15, v[13:14]
	s_waitcnt lgkmcnt(0)
	s_waitcnt_vscnt null, 0x0
	s_barrier
	buffer_gl0_inv
	s_and_saveexec_b32 s2, s1
	s_cbranch_execz .LBB60_168
; %bb.159:
	s_and_not1_b32 vcc_lo, exec_lo, s3
	s_cbranch_vccnz .LBB60_161
; %bb.160:
	scratch_load_b64 v[13:14], v16, off
	ds_load_b64 v[150:151], v15
	s_waitcnt vmcnt(0) lgkmcnt(0)
	v_mul_f64 v[13:14], v[13:14], v[150:151]
	s_cbranch_execz .LBB60_162
	s_branch .LBB60_163
.LBB60_161:
                                        ; implicit-def: $vgpr13_vgpr14
.LBB60_162:
	ds_load_b64 v[13:14], v15
.LBB60_163:
	s_and_saveexec_b32 s4, s0
	s_cbranch_execz .LBB60_167
; %bb.164:
	v_subrev_nc_u32_e32 v150, 44, v0
	s_movk_i32 s5, 0x350
	s_mov_b32 s0, 0
.LBB60_165:                             ; =>This Inner Loop Header: Depth=1
	scratch_load_b64 v[151:152], v149, off
	v_dual_mov_b32 v153, s5 :: v_dual_add_nc_u32 v150, -1, v150
	v_add_nc_u32_e32 v149, 8, v149
	s_add_i32 s5, s5, 8
	ds_load_b64 v[153:154], v153
	v_cmp_eq_u32_e32 vcc_lo, 0, v150
	s_or_b32 s0, vcc_lo, s0
	s_waitcnt vmcnt(0) lgkmcnt(0)
	v_fma_f64 v[13:14], v[151:152], v[153:154], v[13:14]
	s_and_not1_b32 exec_lo, exec_lo, s0
	s_cbranch_execnz .LBB60_165
; %bb.166:
	s_or_b32 exec_lo, exec_lo, s0
.LBB60_167:
	s_delay_alu instid0(SALU_CYCLE_1)
	s_or_b32 exec_lo, exec_lo, s4
	v_mov_b32_e32 v149, 0
	ds_load_b64 v[149:150], v149 offset:344
	s_waitcnt lgkmcnt(0)
	v_mul_f64 v[13:14], v[13:14], v[149:150]
	scratch_store_b64 off, v[13:14], off offset:344
.LBB60_168:
	s_or_b32 exec_lo, exec_lo, s2
	scratch_load_b64 v[13:14], off, off offset:336
	v_cmp_lt_u32_e64 s0, 42, v0
	s_waitcnt vmcnt(0)
	ds_store_b64 v15, v[13:14]
	s_waitcnt lgkmcnt(0)
	s_waitcnt_vscnt null, 0x0
	s_barrier
	buffer_gl0_inv
	s_and_saveexec_b32 s2, s0
	s_cbranch_execz .LBB60_178
; %bb.169:
	s_and_not1_b32 vcc_lo, exec_lo, s3
	s_cbranch_vccnz .LBB60_171
; %bb.170:
	scratch_load_b64 v[13:14], v16, off
	ds_load_b64 v[149:150], v15
	s_waitcnt vmcnt(0) lgkmcnt(0)
	v_mul_f64 v[13:14], v[13:14], v[149:150]
	s_cbranch_execz .LBB60_172
	s_branch .LBB60_173
.LBB60_171:
                                        ; implicit-def: $vgpr13_vgpr14
.LBB60_172:
	ds_load_b64 v[13:14], v15
.LBB60_173:
	s_and_saveexec_b32 s4, s1
	s_cbranch_execz .LBB60_177
; %bb.174:
	v_mov_b32_e32 v149, 0
	v_subrev_nc_u32_e32 v150, 43, v0
	s_movk_i32 s5, 0x348
	s_mov_b32 s1, 0
	s_delay_alu instid0(VALU_DEP_2)
	v_add_nc_u32_e32 v149, 0x158, v149
.LBB60_175:                             ; =>This Inner Loop Header: Depth=1
	scratch_load_b64 v[151:152], v149, off
	v_dual_mov_b32 v153, s5 :: v_dual_add_nc_u32 v150, -1, v150
	v_add_nc_u32_e32 v149, 8, v149
	s_add_i32 s5, s5, 8
	ds_load_b64 v[153:154], v153
	v_cmp_eq_u32_e32 vcc_lo, 0, v150
	s_or_b32 s1, vcc_lo, s1
	s_waitcnt vmcnt(0) lgkmcnt(0)
	v_fma_f64 v[13:14], v[151:152], v[153:154], v[13:14]
	s_and_not1_b32 exec_lo, exec_lo, s1
	s_cbranch_execnz .LBB60_175
; %bb.176:
	s_or_b32 exec_lo, exec_lo, s1
.LBB60_177:
	s_delay_alu instid0(SALU_CYCLE_1)
	s_or_b32 exec_lo, exec_lo, s4
	v_mov_b32_e32 v149, 0
	ds_load_b64 v[149:150], v149 offset:336
	s_waitcnt lgkmcnt(0)
	v_mul_f64 v[13:14], v[13:14], v[149:150]
	scratch_store_b64 off, v[13:14], off offset:336
.LBB60_178:
	s_or_b32 exec_lo, exec_lo, s2
	scratch_load_b64 v[13:14], off, off offset:328
	v_cmp_lt_u32_e64 s1, 41, v0
	s_waitcnt vmcnt(0)
	ds_store_b64 v15, v[13:14]
	s_waitcnt lgkmcnt(0)
	s_waitcnt_vscnt null, 0x0
	s_barrier
	buffer_gl0_inv
	s_and_saveexec_b32 s2, s1
	s_cbranch_execz .LBB60_188
; %bb.179:
	s_and_not1_b32 vcc_lo, exec_lo, s3
	s_cbranch_vccnz .LBB60_181
; %bb.180:
	scratch_load_b64 v[13:14], v16, off
	ds_load_b64 v[149:150], v15
	s_waitcnt vmcnt(0) lgkmcnt(0)
	v_mul_f64 v[13:14], v[13:14], v[149:150]
	s_cbranch_execz .LBB60_182
	s_branch .LBB60_183
.LBB60_181:
                                        ; implicit-def: $vgpr13_vgpr14
.LBB60_182:
	ds_load_b64 v[13:14], v15
.LBB60_183:
	s_and_saveexec_b32 s4, s0
	s_cbranch_execz .LBB60_187
; %bb.184:
	v_subrev_nc_u32_e32 v149, 42, v0
	s_movk_i32 s5, 0x340
	s_mov_b32 s0, 0
.LBB60_185:                             ; =>This Inner Loop Header: Depth=1
	scratch_load_b64 v[150:151], v148, off
	v_dual_mov_b32 v152, s5 :: v_dual_add_nc_u32 v149, -1, v149
	v_add_nc_u32_e32 v148, 8, v148
	s_add_i32 s5, s5, 8
	ds_load_b64 v[152:153], v152
	v_cmp_eq_u32_e32 vcc_lo, 0, v149
	s_or_b32 s0, vcc_lo, s0
	s_waitcnt vmcnt(0) lgkmcnt(0)
	v_fma_f64 v[13:14], v[150:151], v[152:153], v[13:14]
	s_and_not1_b32 exec_lo, exec_lo, s0
	s_cbranch_execnz .LBB60_185
; %bb.186:
	s_or_b32 exec_lo, exec_lo, s0
.LBB60_187:
	s_delay_alu instid0(SALU_CYCLE_1)
	s_or_b32 exec_lo, exec_lo, s4
	v_mov_b32_e32 v148, 0
	ds_load_b64 v[148:149], v148 offset:328
	s_waitcnt lgkmcnt(0)
	v_mul_f64 v[13:14], v[13:14], v[148:149]
	scratch_store_b64 off, v[13:14], off offset:328
.LBB60_188:
	s_or_b32 exec_lo, exec_lo, s2
	scratch_load_b64 v[13:14], off, off offset:320
	v_cmp_lt_u32_e64 s0, 40, v0
	s_waitcnt vmcnt(0)
	ds_store_b64 v15, v[13:14]
	s_waitcnt lgkmcnt(0)
	s_waitcnt_vscnt null, 0x0
	s_barrier
	buffer_gl0_inv
	s_and_saveexec_b32 s2, s0
	s_cbranch_execz .LBB60_198
; %bb.189:
	s_and_not1_b32 vcc_lo, exec_lo, s3
	s_cbranch_vccnz .LBB60_191
; %bb.190:
	scratch_load_b64 v[13:14], v16, off
	ds_load_b64 v[148:149], v15
	s_waitcnt vmcnt(0) lgkmcnt(0)
	v_mul_f64 v[13:14], v[13:14], v[148:149]
	s_cbranch_execz .LBB60_192
	s_branch .LBB60_193
.LBB60_191:
                                        ; implicit-def: $vgpr13_vgpr14
.LBB60_192:
	ds_load_b64 v[13:14], v15
.LBB60_193:
	s_and_saveexec_b32 s4, s1
	s_cbranch_execz .LBB60_197
; %bb.194:
	v_mov_b32_e32 v148, 0
	v_subrev_nc_u32_e32 v149, 41, v0
	s_movk_i32 s5, 0x338
	s_mov_b32 s1, 0
	s_delay_alu instid0(VALU_DEP_2)
	v_add_nc_u32_e32 v148, 0x148, v148
.LBB60_195:                             ; =>This Inner Loop Header: Depth=1
	scratch_load_b64 v[150:151], v148, off
	v_dual_mov_b32 v152, s5 :: v_dual_add_nc_u32 v149, -1, v149
	v_add_nc_u32_e32 v148, 8, v148
	s_add_i32 s5, s5, 8
	ds_load_b64 v[152:153], v152
	v_cmp_eq_u32_e32 vcc_lo, 0, v149
	s_or_b32 s1, vcc_lo, s1
	s_waitcnt vmcnt(0) lgkmcnt(0)
	v_fma_f64 v[13:14], v[150:151], v[152:153], v[13:14]
	s_and_not1_b32 exec_lo, exec_lo, s1
	s_cbranch_execnz .LBB60_195
; %bb.196:
	s_or_b32 exec_lo, exec_lo, s1
.LBB60_197:
	s_delay_alu instid0(SALU_CYCLE_1)
	s_or_b32 exec_lo, exec_lo, s4
	v_mov_b32_e32 v148, 0
	ds_load_b64 v[148:149], v148 offset:320
	s_waitcnt lgkmcnt(0)
	v_mul_f64 v[13:14], v[13:14], v[148:149]
	scratch_store_b64 off, v[13:14], off offset:320
.LBB60_198:
	s_or_b32 exec_lo, exec_lo, s2
	scratch_load_b64 v[13:14], off, off offset:312
	v_cmp_lt_u32_e64 s1, 39, v0
	s_waitcnt vmcnt(0)
	ds_store_b64 v15, v[13:14]
	s_waitcnt lgkmcnt(0)
	s_waitcnt_vscnt null, 0x0
	s_barrier
	buffer_gl0_inv
	s_and_saveexec_b32 s2, s1
	s_cbranch_execz .LBB60_208
; %bb.199:
	s_and_not1_b32 vcc_lo, exec_lo, s3
	s_cbranch_vccnz .LBB60_201
; %bb.200:
	scratch_load_b64 v[13:14], v16, off
	ds_load_b64 v[148:149], v15
	s_waitcnt vmcnt(0) lgkmcnt(0)
	v_mul_f64 v[13:14], v[13:14], v[148:149]
	s_cbranch_execz .LBB60_202
	s_branch .LBB60_203
.LBB60_201:
                                        ; implicit-def: $vgpr13_vgpr14
.LBB60_202:
	ds_load_b64 v[13:14], v15
.LBB60_203:
	s_and_saveexec_b32 s4, s0
	s_cbranch_execz .LBB60_207
; %bb.204:
	v_subrev_nc_u32_e32 v148, 40, v0
	s_movk_i32 s5, 0x330
	s_mov_b32 s0, 0
.LBB60_205:                             ; =>This Inner Loop Header: Depth=1
	scratch_load_b64 v[149:150], v147, off
	v_dual_mov_b32 v151, s5 :: v_dual_add_nc_u32 v148, -1, v148
	v_add_nc_u32_e32 v147, 8, v147
	s_add_i32 s5, s5, 8
	ds_load_b64 v[151:152], v151
	v_cmp_eq_u32_e32 vcc_lo, 0, v148
	s_or_b32 s0, vcc_lo, s0
	s_waitcnt vmcnt(0) lgkmcnt(0)
	v_fma_f64 v[13:14], v[149:150], v[151:152], v[13:14]
	s_and_not1_b32 exec_lo, exec_lo, s0
	s_cbranch_execnz .LBB60_205
; %bb.206:
	s_or_b32 exec_lo, exec_lo, s0
.LBB60_207:
	s_delay_alu instid0(SALU_CYCLE_1)
	s_or_b32 exec_lo, exec_lo, s4
	v_mov_b32_e32 v147, 0
	ds_load_b64 v[147:148], v147 offset:312
	s_waitcnt lgkmcnt(0)
	v_mul_f64 v[13:14], v[13:14], v[147:148]
	scratch_store_b64 off, v[13:14], off offset:312
.LBB60_208:
	s_or_b32 exec_lo, exec_lo, s2
	scratch_load_b64 v[13:14], off, off offset:304
	v_cmp_lt_u32_e64 s0, 38, v0
	s_waitcnt vmcnt(0)
	ds_store_b64 v15, v[13:14]
	s_waitcnt lgkmcnt(0)
	s_waitcnt_vscnt null, 0x0
	s_barrier
	buffer_gl0_inv
	s_and_saveexec_b32 s2, s0
	s_cbranch_execz .LBB60_218
; %bb.209:
	s_and_not1_b32 vcc_lo, exec_lo, s3
	s_cbranch_vccnz .LBB60_211
; %bb.210:
	scratch_load_b64 v[13:14], v16, off
	ds_load_b64 v[147:148], v15
	s_waitcnt vmcnt(0) lgkmcnt(0)
	v_mul_f64 v[13:14], v[13:14], v[147:148]
	s_cbranch_execz .LBB60_212
	s_branch .LBB60_213
.LBB60_211:
                                        ; implicit-def: $vgpr13_vgpr14
.LBB60_212:
	ds_load_b64 v[13:14], v15
.LBB60_213:
	s_and_saveexec_b32 s4, s1
	s_cbranch_execz .LBB60_217
; %bb.214:
	v_mov_b32_e32 v147, 0
	v_subrev_nc_u32_e32 v148, 39, v0
	s_movk_i32 s5, 0x328
	s_mov_b32 s1, 0
	s_delay_alu instid0(VALU_DEP_2)
	v_add_nc_u32_e32 v147, 0x138, v147
.LBB60_215:                             ; =>This Inner Loop Header: Depth=1
	scratch_load_b64 v[149:150], v147, off
	v_dual_mov_b32 v151, s5 :: v_dual_add_nc_u32 v148, -1, v148
	v_add_nc_u32_e32 v147, 8, v147
	s_add_i32 s5, s5, 8
	ds_load_b64 v[151:152], v151
	v_cmp_eq_u32_e32 vcc_lo, 0, v148
	s_or_b32 s1, vcc_lo, s1
	s_waitcnt vmcnt(0) lgkmcnt(0)
	v_fma_f64 v[13:14], v[149:150], v[151:152], v[13:14]
	s_and_not1_b32 exec_lo, exec_lo, s1
	s_cbranch_execnz .LBB60_215
; %bb.216:
	s_or_b32 exec_lo, exec_lo, s1
.LBB60_217:
	s_delay_alu instid0(SALU_CYCLE_1)
	s_or_b32 exec_lo, exec_lo, s4
	v_mov_b32_e32 v147, 0
	ds_load_b64 v[147:148], v147 offset:304
	s_waitcnt lgkmcnt(0)
	v_mul_f64 v[13:14], v[13:14], v[147:148]
	scratch_store_b64 off, v[13:14], off offset:304
.LBB60_218:
	s_or_b32 exec_lo, exec_lo, s2
	scratch_load_b64 v[13:14], off, off offset:296
	v_cmp_lt_u32_e64 s1, 37, v0
	s_waitcnt vmcnt(0)
	ds_store_b64 v15, v[13:14]
	s_waitcnt lgkmcnt(0)
	s_waitcnt_vscnt null, 0x0
	s_barrier
	buffer_gl0_inv
	s_and_saveexec_b32 s2, s1
	s_cbranch_execz .LBB60_228
; %bb.219:
	s_and_not1_b32 vcc_lo, exec_lo, s3
	s_cbranch_vccnz .LBB60_221
; %bb.220:
	scratch_load_b64 v[13:14], v16, off
	ds_load_b64 v[147:148], v15
	s_waitcnt vmcnt(0) lgkmcnt(0)
	v_mul_f64 v[13:14], v[13:14], v[147:148]
	s_cbranch_execz .LBB60_222
	s_branch .LBB60_223
.LBB60_221:
                                        ; implicit-def: $vgpr13_vgpr14
.LBB60_222:
	ds_load_b64 v[13:14], v15
.LBB60_223:
	s_and_saveexec_b32 s4, s0
	s_cbranch_execz .LBB60_227
; %bb.224:
	v_subrev_nc_u32_e32 v147, 38, v0
	s_movk_i32 s5, 0x320
	s_mov_b32 s0, 0
.LBB60_225:                             ; =>This Inner Loop Header: Depth=1
	scratch_load_b64 v[148:149], v146, off
	v_dual_mov_b32 v150, s5 :: v_dual_add_nc_u32 v147, -1, v147
	v_add_nc_u32_e32 v146, 8, v146
	s_add_i32 s5, s5, 8
	ds_load_b64 v[150:151], v150
	v_cmp_eq_u32_e32 vcc_lo, 0, v147
	s_or_b32 s0, vcc_lo, s0
	s_waitcnt vmcnt(0) lgkmcnt(0)
	v_fma_f64 v[13:14], v[148:149], v[150:151], v[13:14]
	s_and_not1_b32 exec_lo, exec_lo, s0
	s_cbranch_execnz .LBB60_225
; %bb.226:
	s_or_b32 exec_lo, exec_lo, s0
.LBB60_227:
	s_delay_alu instid0(SALU_CYCLE_1)
	s_or_b32 exec_lo, exec_lo, s4
	v_mov_b32_e32 v146, 0
	ds_load_b64 v[146:147], v146 offset:296
	s_waitcnt lgkmcnt(0)
	v_mul_f64 v[13:14], v[13:14], v[146:147]
	scratch_store_b64 off, v[13:14], off offset:296
.LBB60_228:
	s_or_b32 exec_lo, exec_lo, s2
	scratch_load_b64 v[13:14], off, off offset:288
	v_cmp_lt_u32_e64 s0, 36, v0
	s_waitcnt vmcnt(0)
	ds_store_b64 v15, v[13:14]
	s_waitcnt lgkmcnt(0)
	s_waitcnt_vscnt null, 0x0
	s_barrier
	buffer_gl0_inv
	s_and_saveexec_b32 s2, s0
	s_cbranch_execz .LBB60_238
; %bb.229:
	s_and_not1_b32 vcc_lo, exec_lo, s3
	s_cbranch_vccnz .LBB60_231
; %bb.230:
	scratch_load_b64 v[13:14], v16, off
	ds_load_b64 v[146:147], v15
	s_waitcnt vmcnt(0) lgkmcnt(0)
	v_mul_f64 v[13:14], v[13:14], v[146:147]
	s_cbranch_execz .LBB60_232
	s_branch .LBB60_233
.LBB60_231:
                                        ; implicit-def: $vgpr13_vgpr14
.LBB60_232:
	ds_load_b64 v[13:14], v15
.LBB60_233:
	s_and_saveexec_b32 s4, s1
	s_cbranch_execz .LBB60_237
; %bb.234:
	v_mov_b32_e32 v146, 0
	v_subrev_nc_u32_e32 v147, 37, v0
	s_movk_i32 s5, 0x318
	s_mov_b32 s1, 0
	s_delay_alu instid0(VALU_DEP_2)
	v_add_nc_u32_e32 v146, 0x128, v146
.LBB60_235:                             ; =>This Inner Loop Header: Depth=1
	scratch_load_b64 v[148:149], v146, off
	v_dual_mov_b32 v150, s5 :: v_dual_add_nc_u32 v147, -1, v147
	v_add_nc_u32_e32 v146, 8, v146
	s_add_i32 s5, s5, 8
	ds_load_b64 v[150:151], v150
	v_cmp_eq_u32_e32 vcc_lo, 0, v147
	s_or_b32 s1, vcc_lo, s1
	s_waitcnt vmcnt(0) lgkmcnt(0)
	v_fma_f64 v[13:14], v[148:149], v[150:151], v[13:14]
	s_and_not1_b32 exec_lo, exec_lo, s1
	s_cbranch_execnz .LBB60_235
; %bb.236:
	s_or_b32 exec_lo, exec_lo, s1
.LBB60_237:
	s_delay_alu instid0(SALU_CYCLE_1)
	s_or_b32 exec_lo, exec_lo, s4
	v_mov_b32_e32 v146, 0
	ds_load_b64 v[146:147], v146 offset:288
	s_waitcnt lgkmcnt(0)
	v_mul_f64 v[13:14], v[13:14], v[146:147]
	scratch_store_b64 off, v[13:14], off offset:288
.LBB60_238:
	s_or_b32 exec_lo, exec_lo, s2
	scratch_load_b64 v[13:14], off, off offset:280
	v_cmp_lt_u32_e64 s1, 35, v0
	s_waitcnt vmcnt(0)
	ds_store_b64 v15, v[13:14]
	s_waitcnt lgkmcnt(0)
	s_waitcnt_vscnt null, 0x0
	s_barrier
	buffer_gl0_inv
	s_and_saveexec_b32 s2, s1
	s_cbranch_execz .LBB60_248
; %bb.239:
	s_and_not1_b32 vcc_lo, exec_lo, s3
	s_cbranch_vccnz .LBB60_241
; %bb.240:
	scratch_load_b64 v[13:14], v16, off
	ds_load_b64 v[146:147], v15
	s_waitcnt vmcnt(0) lgkmcnt(0)
	v_mul_f64 v[13:14], v[13:14], v[146:147]
	s_cbranch_execz .LBB60_242
	s_branch .LBB60_243
.LBB60_241:
                                        ; implicit-def: $vgpr13_vgpr14
.LBB60_242:
	ds_load_b64 v[13:14], v15
.LBB60_243:
	s_and_saveexec_b32 s4, s0
	s_cbranch_execz .LBB60_247
; %bb.244:
	v_subrev_nc_u32_e32 v146, 36, v0
	s_movk_i32 s5, 0x310
	s_mov_b32 s0, 0
.LBB60_245:                             ; =>This Inner Loop Header: Depth=1
	scratch_load_b64 v[147:148], v44, off
	v_dual_mov_b32 v149, s5 :: v_dual_add_nc_u32 v146, -1, v146
	v_add_nc_u32_e32 v44, 8, v44
	s_add_i32 s5, s5, 8
	ds_load_b64 v[149:150], v149
	v_cmp_eq_u32_e32 vcc_lo, 0, v146
	s_or_b32 s0, vcc_lo, s0
	s_waitcnt vmcnt(0) lgkmcnt(0)
	v_fma_f64 v[13:14], v[147:148], v[149:150], v[13:14]
	s_and_not1_b32 exec_lo, exec_lo, s0
	s_cbranch_execnz .LBB60_245
; %bb.246:
	s_or_b32 exec_lo, exec_lo, s0
.LBB60_247:
	s_delay_alu instid0(SALU_CYCLE_1)
	s_or_b32 exec_lo, exec_lo, s4
	v_mov_b32_e32 v44, 0
	ds_load_b64 v[146:147], v44 offset:280
	s_waitcnt lgkmcnt(0)
	v_mul_f64 v[13:14], v[13:14], v[146:147]
	scratch_store_b64 off, v[13:14], off offset:280
.LBB60_248:
	s_or_b32 exec_lo, exec_lo, s2
	scratch_load_b64 v[13:14], off, off offset:272
	v_cmp_lt_u32_e64 s0, 34, v0
	s_waitcnt vmcnt(0)
	ds_store_b64 v15, v[13:14]
	s_waitcnt lgkmcnt(0)
	s_waitcnt_vscnt null, 0x0
	s_barrier
	buffer_gl0_inv
	s_and_saveexec_b32 s2, s0
	s_cbranch_execz .LBB60_258
; %bb.249:
	s_and_not1_b32 vcc_lo, exec_lo, s3
	s_cbranch_vccnz .LBB60_251
; %bb.250:
	scratch_load_b64 v[13:14], v16, off
	ds_load_b64 v[146:147], v15
	s_waitcnt vmcnt(0) lgkmcnt(0)
	v_mul_f64 v[13:14], v[13:14], v[146:147]
	s_cbranch_execz .LBB60_252
	s_branch .LBB60_253
.LBB60_251:
                                        ; implicit-def: $vgpr13_vgpr14
.LBB60_252:
	ds_load_b64 v[13:14], v15
.LBB60_253:
	s_and_saveexec_b32 s4, s1
	s_cbranch_execz .LBB60_257
; %bb.254:
	v_mov_b32_e32 v44, 0
	v_subrev_nc_u32_e32 v146, 35, v0
	s_movk_i32 s5, 0x308
	s_mov_b32 s1, 0
	s_delay_alu instid0(VALU_DEP_2)
	v_add_nc_u32_e32 v44, 0x118, v44
.LBB60_255:                             ; =>This Inner Loop Header: Depth=1
	scratch_load_b64 v[147:148], v44, off
	v_dual_mov_b32 v149, s5 :: v_dual_add_nc_u32 v146, -1, v146
	v_add_nc_u32_e32 v44, 8, v44
	s_add_i32 s5, s5, 8
	ds_load_b64 v[149:150], v149
	v_cmp_eq_u32_e32 vcc_lo, 0, v146
	s_or_b32 s1, vcc_lo, s1
	s_waitcnt vmcnt(0) lgkmcnt(0)
	v_fma_f64 v[13:14], v[147:148], v[149:150], v[13:14]
	s_and_not1_b32 exec_lo, exec_lo, s1
	s_cbranch_execnz .LBB60_255
; %bb.256:
	s_or_b32 exec_lo, exec_lo, s1
.LBB60_257:
	s_delay_alu instid0(SALU_CYCLE_1)
	s_or_b32 exec_lo, exec_lo, s4
	v_mov_b32_e32 v44, 0
	ds_load_b64 v[146:147], v44 offset:272
	s_waitcnt lgkmcnt(0)
	v_mul_f64 v[13:14], v[13:14], v[146:147]
	scratch_store_b64 off, v[13:14], off offset:272
.LBB60_258:
	s_or_b32 exec_lo, exec_lo, s2
	scratch_load_b64 v[13:14], off, off offset:264
	v_cmp_lt_u32_e64 s1, 33, v0
	s_waitcnt vmcnt(0)
	ds_store_b64 v15, v[13:14]
	s_waitcnt lgkmcnt(0)
	s_waitcnt_vscnt null, 0x0
	s_barrier
	buffer_gl0_inv
	s_and_saveexec_b32 s2, s1
	s_cbranch_execz .LBB60_268
; %bb.259:
	s_and_not1_b32 vcc_lo, exec_lo, s3
	s_cbranch_vccnz .LBB60_261
; %bb.260:
	scratch_load_b64 v[13:14], v16, off
	ds_load_b64 v[146:147], v15
	s_waitcnt vmcnt(0) lgkmcnt(0)
	v_mul_f64 v[13:14], v[13:14], v[146:147]
	s_cbranch_execz .LBB60_262
	s_branch .LBB60_263
.LBB60_261:
                                        ; implicit-def: $vgpr13_vgpr14
.LBB60_262:
	ds_load_b64 v[13:14], v15
.LBB60_263:
	s_and_saveexec_b32 s4, s0
	s_cbranch_execz .LBB60_267
; %bb.264:
	v_subrev_nc_u32_e32 v44, 34, v0
	s_movk_i32 s5, 0x300
	s_mov_b32 s0, 0
.LBB60_265:                             ; =>This Inner Loop Header: Depth=1
	scratch_load_b64 v[146:147], v43, off
	v_dual_mov_b32 v148, s5 :: v_dual_add_nc_u32 v43, 8, v43
	v_add_nc_u32_e32 v44, -1, v44
	s_add_i32 s5, s5, 8
	ds_load_b64 v[148:149], v148
	v_cmp_eq_u32_e32 vcc_lo, 0, v44
	s_or_b32 s0, vcc_lo, s0
	s_waitcnt vmcnt(0) lgkmcnt(0)
	v_fma_f64 v[13:14], v[146:147], v[148:149], v[13:14]
	s_and_not1_b32 exec_lo, exec_lo, s0
	s_cbranch_execnz .LBB60_265
; %bb.266:
	s_or_b32 exec_lo, exec_lo, s0
.LBB60_267:
	s_delay_alu instid0(SALU_CYCLE_1)
	s_or_b32 exec_lo, exec_lo, s4
	v_mov_b32_e32 v43, 0
	ds_load_b64 v[43:44], v43 offset:264
	s_waitcnt lgkmcnt(0)
	v_mul_f64 v[13:14], v[13:14], v[43:44]
	scratch_store_b64 off, v[13:14], off offset:264
.LBB60_268:
	s_or_b32 exec_lo, exec_lo, s2
	scratch_load_b64 v[13:14], off, off offset:256
	v_cmp_lt_u32_e64 s0, 32, v0
	s_waitcnt vmcnt(0)
	ds_store_b64 v15, v[13:14]
	s_waitcnt lgkmcnt(0)
	s_waitcnt_vscnt null, 0x0
	s_barrier
	buffer_gl0_inv
	s_and_saveexec_b32 s2, s0
	s_cbranch_execz .LBB60_278
; %bb.269:
	s_and_not1_b32 vcc_lo, exec_lo, s3
	s_cbranch_vccnz .LBB60_271
; %bb.270:
	scratch_load_b64 v[13:14], v16, off
	ds_load_b64 v[43:44], v15
	s_waitcnt vmcnt(0) lgkmcnt(0)
	v_mul_f64 v[13:14], v[13:14], v[43:44]
	s_cbranch_execz .LBB60_272
	s_branch .LBB60_273
.LBB60_271:
                                        ; implicit-def: $vgpr13_vgpr14
.LBB60_272:
	ds_load_b64 v[13:14], v15
.LBB60_273:
	s_and_saveexec_b32 s4, s1
	s_cbranch_execz .LBB60_277
; %bb.274:
	v_mov_b32_e32 v43, 0
	v_subrev_nc_u32_e32 v44, 33, v0
	s_movk_i32 s5, 0x2f8
	s_mov_b32 s1, 0
	s_delay_alu instid0(VALU_DEP_2)
	v_add_nc_u32_e32 v43, 0x108, v43
.LBB60_275:                             ; =>This Inner Loop Header: Depth=1
	scratch_load_b64 v[146:147], v43, off
	v_dual_mov_b32 v148, s5 :: v_dual_add_nc_u32 v43, 8, v43
	v_add_nc_u32_e32 v44, -1, v44
	s_add_i32 s5, s5, 8
	ds_load_b64 v[148:149], v148
	v_cmp_eq_u32_e32 vcc_lo, 0, v44
	s_or_b32 s1, vcc_lo, s1
	s_waitcnt vmcnt(0) lgkmcnt(0)
	v_fma_f64 v[13:14], v[146:147], v[148:149], v[13:14]
	s_and_not1_b32 exec_lo, exec_lo, s1
	s_cbranch_execnz .LBB60_275
; %bb.276:
	s_or_b32 exec_lo, exec_lo, s1
.LBB60_277:
	s_delay_alu instid0(SALU_CYCLE_1)
	s_or_b32 exec_lo, exec_lo, s4
	v_mov_b32_e32 v43, 0
	ds_load_b64 v[43:44], v43 offset:256
	s_waitcnt lgkmcnt(0)
	v_mul_f64 v[13:14], v[13:14], v[43:44]
	scratch_store_b64 off, v[13:14], off offset:256
.LBB60_278:
	s_or_b32 exec_lo, exec_lo, s2
	scratch_load_b64 v[13:14], off, off offset:248
	v_cmp_lt_u32_e64 s1, 31, v0
	s_waitcnt vmcnt(0)
	ds_store_b64 v15, v[13:14]
	s_waitcnt lgkmcnt(0)
	s_waitcnt_vscnt null, 0x0
	s_barrier
	buffer_gl0_inv
	s_and_saveexec_b32 s2, s1
	s_cbranch_execz .LBB60_288
; %bb.279:
	s_and_not1_b32 vcc_lo, exec_lo, s3
	s_cbranch_vccnz .LBB60_281
; %bb.280:
	scratch_load_b64 v[13:14], v16, off
	ds_load_b64 v[43:44], v15
	s_waitcnt vmcnt(0) lgkmcnt(0)
	v_mul_f64 v[13:14], v[13:14], v[43:44]
	s_cbranch_execz .LBB60_282
	s_branch .LBB60_283
.LBB60_281:
                                        ; implicit-def: $vgpr13_vgpr14
.LBB60_282:
	ds_load_b64 v[13:14], v15
.LBB60_283:
	s_and_saveexec_b32 s4, s0
	s_cbranch_execz .LBB60_287
; %bb.284:
	v_subrev_nc_u32_e32 v43, 32, v0
	s_movk_i32 s5, 0x2f0
	s_mov_b32 s0, 0
.LBB60_285:                             ; =>This Inner Loop Header: Depth=1
	scratch_load_b64 v[146:147], v42, off
	v_dual_mov_b32 v44, s5 :: v_dual_add_nc_u32 v43, -1, v43
	v_add_nc_u32_e32 v42, 8, v42
	s_add_i32 s5, s5, 8
	ds_load_b64 v[148:149], v44
	v_cmp_eq_u32_e32 vcc_lo, 0, v43
	s_or_b32 s0, vcc_lo, s0
	s_waitcnt vmcnt(0) lgkmcnt(0)
	v_fma_f64 v[13:14], v[146:147], v[148:149], v[13:14]
	s_and_not1_b32 exec_lo, exec_lo, s0
	s_cbranch_execnz .LBB60_285
; %bb.286:
	s_or_b32 exec_lo, exec_lo, s0
.LBB60_287:
	s_delay_alu instid0(SALU_CYCLE_1)
	s_or_b32 exec_lo, exec_lo, s4
	v_mov_b32_e32 v42, 0
	ds_load_b64 v[42:43], v42 offset:248
	s_waitcnt lgkmcnt(0)
	v_mul_f64 v[13:14], v[13:14], v[42:43]
	scratch_store_b64 off, v[13:14], off offset:248
.LBB60_288:
	s_or_b32 exec_lo, exec_lo, s2
	scratch_load_b64 v[13:14], off, off offset:240
	v_cmp_lt_u32_e64 s0, 30, v0
	s_waitcnt vmcnt(0)
	ds_store_b64 v15, v[13:14]
	s_waitcnt lgkmcnt(0)
	s_waitcnt_vscnt null, 0x0
	s_barrier
	buffer_gl0_inv
	s_and_saveexec_b32 s2, s0
	s_cbranch_execz .LBB60_298
; %bb.289:
	s_and_not1_b32 vcc_lo, exec_lo, s3
	s_cbranch_vccnz .LBB60_291
; %bb.290:
	scratch_load_b64 v[13:14], v16, off
	ds_load_b64 v[42:43], v15
	s_waitcnt vmcnt(0) lgkmcnt(0)
	v_mul_f64 v[13:14], v[13:14], v[42:43]
	s_cbranch_execz .LBB60_292
	s_branch .LBB60_293
.LBB60_291:
                                        ; implicit-def: $vgpr13_vgpr14
.LBB60_292:
	ds_load_b64 v[13:14], v15
.LBB60_293:
	s_and_saveexec_b32 s4, s1
	s_cbranch_execz .LBB60_297
; %bb.294:
	v_mov_b32_e32 v42, 0
	v_subrev_nc_u32_e32 v43, 31, v0
	s_movk_i32 s5, 0x2e8
	s_mov_b32 s1, 0
	s_delay_alu instid0(VALU_DEP_2)
	v_add_nc_u32_e32 v42, 0xf8, v42
.LBB60_295:                             ; =>This Inner Loop Header: Depth=1
	scratch_load_b64 v[146:147], v42, off
	v_dual_mov_b32 v44, s5 :: v_dual_add_nc_u32 v43, -1, v43
	v_add_nc_u32_e32 v42, 8, v42
	s_add_i32 s5, s5, 8
	ds_load_b64 v[148:149], v44
	v_cmp_eq_u32_e32 vcc_lo, 0, v43
	s_or_b32 s1, vcc_lo, s1
	s_waitcnt vmcnt(0) lgkmcnt(0)
	v_fma_f64 v[13:14], v[146:147], v[148:149], v[13:14]
	s_and_not1_b32 exec_lo, exec_lo, s1
	s_cbranch_execnz .LBB60_295
; %bb.296:
	s_or_b32 exec_lo, exec_lo, s1
.LBB60_297:
	s_delay_alu instid0(SALU_CYCLE_1)
	s_or_b32 exec_lo, exec_lo, s4
	v_mov_b32_e32 v42, 0
	ds_load_b64 v[42:43], v42 offset:240
	s_waitcnt lgkmcnt(0)
	v_mul_f64 v[13:14], v[13:14], v[42:43]
	scratch_store_b64 off, v[13:14], off offset:240
.LBB60_298:
	s_or_b32 exec_lo, exec_lo, s2
	scratch_load_b64 v[13:14], off, off offset:232
	v_cmp_lt_u32_e64 s1, 29, v0
	s_waitcnt vmcnt(0)
	ds_store_b64 v15, v[13:14]
	s_waitcnt lgkmcnt(0)
	s_waitcnt_vscnt null, 0x0
	s_barrier
	buffer_gl0_inv
	s_and_saveexec_b32 s2, s1
	s_cbranch_execz .LBB60_308
; %bb.299:
	s_and_not1_b32 vcc_lo, exec_lo, s3
	s_cbranch_vccnz .LBB60_301
; %bb.300:
	scratch_load_b64 v[13:14], v16, off
	ds_load_b64 v[42:43], v15
	s_waitcnt vmcnt(0) lgkmcnt(0)
	v_mul_f64 v[13:14], v[13:14], v[42:43]
	s_cbranch_execz .LBB60_302
	s_branch .LBB60_303
.LBB60_301:
                                        ; implicit-def: $vgpr13_vgpr14
.LBB60_302:
	ds_load_b64 v[13:14], v15
.LBB60_303:
	s_and_saveexec_b32 s4, s0
	s_cbranch_execz .LBB60_307
; %bb.304:
	v_subrev_nc_u32_e32 v42, 30, v0
	s_movk_i32 s5, 0x2e0
	s_mov_b32 s0, 0
.LBB60_305:                             ; =>This Inner Loop Header: Depth=1
	scratch_load_b64 v[43:44], v41, off
	v_dual_mov_b32 v146, s5 :: v_dual_add_nc_u32 v41, 8, v41
	v_add_nc_u32_e32 v42, -1, v42
	s_add_i32 s5, s5, 8
	ds_load_b64 v[146:147], v146
	v_cmp_eq_u32_e32 vcc_lo, 0, v42
	s_or_b32 s0, vcc_lo, s0
	s_waitcnt vmcnt(0) lgkmcnt(0)
	v_fma_f64 v[13:14], v[43:44], v[146:147], v[13:14]
	s_and_not1_b32 exec_lo, exec_lo, s0
	s_cbranch_execnz .LBB60_305
; %bb.306:
	s_or_b32 exec_lo, exec_lo, s0
.LBB60_307:
	s_delay_alu instid0(SALU_CYCLE_1)
	s_or_b32 exec_lo, exec_lo, s4
	v_mov_b32_e32 v41, 0
	ds_load_b64 v[41:42], v41 offset:232
	s_waitcnt lgkmcnt(0)
	v_mul_f64 v[13:14], v[13:14], v[41:42]
	scratch_store_b64 off, v[13:14], off offset:232
.LBB60_308:
	s_or_b32 exec_lo, exec_lo, s2
	scratch_load_b64 v[13:14], off, off offset:224
	v_cmp_lt_u32_e64 s0, 28, v0
	s_waitcnt vmcnt(0)
	ds_store_b64 v15, v[13:14]
	s_waitcnt lgkmcnt(0)
	s_waitcnt_vscnt null, 0x0
	s_barrier
	buffer_gl0_inv
	s_and_saveexec_b32 s2, s0
	s_cbranch_execz .LBB60_318
; %bb.309:
	s_and_not1_b32 vcc_lo, exec_lo, s3
	s_cbranch_vccnz .LBB60_311
; %bb.310:
	scratch_load_b64 v[13:14], v16, off
	ds_load_b64 v[41:42], v15
	s_waitcnt vmcnt(0) lgkmcnt(0)
	v_mul_f64 v[13:14], v[13:14], v[41:42]
	s_cbranch_execz .LBB60_312
	s_branch .LBB60_313
.LBB60_311:
                                        ; implicit-def: $vgpr13_vgpr14
.LBB60_312:
	ds_load_b64 v[13:14], v15
.LBB60_313:
	s_and_saveexec_b32 s4, s1
	s_cbranch_execz .LBB60_317
; %bb.314:
	v_mov_b32_e32 v41, 0
	v_subrev_nc_u32_e32 v42, 29, v0
	s_movk_i32 s5, 0x2d8
	s_mov_b32 s1, 0
	s_delay_alu instid0(VALU_DEP_2)
	v_add_nc_u32_e32 v41, 0xe8, v41
.LBB60_315:                             ; =>This Inner Loop Header: Depth=1
	scratch_load_b64 v[43:44], v41, off
	v_dual_mov_b32 v146, s5 :: v_dual_add_nc_u32 v41, 8, v41
	v_add_nc_u32_e32 v42, -1, v42
	s_add_i32 s5, s5, 8
	ds_load_b64 v[146:147], v146
	v_cmp_eq_u32_e32 vcc_lo, 0, v42
	s_or_b32 s1, vcc_lo, s1
	s_waitcnt vmcnt(0) lgkmcnt(0)
	v_fma_f64 v[13:14], v[43:44], v[146:147], v[13:14]
	s_and_not1_b32 exec_lo, exec_lo, s1
	s_cbranch_execnz .LBB60_315
; %bb.316:
	s_or_b32 exec_lo, exec_lo, s1
.LBB60_317:
	s_delay_alu instid0(SALU_CYCLE_1)
	s_or_b32 exec_lo, exec_lo, s4
	v_mov_b32_e32 v41, 0
	ds_load_b64 v[41:42], v41 offset:224
	s_waitcnt lgkmcnt(0)
	v_mul_f64 v[13:14], v[13:14], v[41:42]
	scratch_store_b64 off, v[13:14], off offset:224
.LBB60_318:
	s_or_b32 exec_lo, exec_lo, s2
	scratch_load_b64 v[13:14], off, off offset:216
	v_cmp_lt_u32_e64 s1, 27, v0
	s_waitcnt vmcnt(0)
	ds_store_b64 v15, v[13:14]
	s_waitcnt lgkmcnt(0)
	s_waitcnt_vscnt null, 0x0
	s_barrier
	buffer_gl0_inv
	s_and_saveexec_b32 s2, s1
	s_cbranch_execz .LBB60_328
; %bb.319:
	s_and_not1_b32 vcc_lo, exec_lo, s3
	s_cbranch_vccnz .LBB60_321
; %bb.320:
	scratch_load_b64 v[13:14], v16, off
	ds_load_b64 v[41:42], v15
	s_waitcnt vmcnt(0) lgkmcnt(0)
	v_mul_f64 v[13:14], v[13:14], v[41:42]
	s_cbranch_execz .LBB60_322
	s_branch .LBB60_323
.LBB60_321:
                                        ; implicit-def: $vgpr13_vgpr14
.LBB60_322:
	ds_load_b64 v[13:14], v15
.LBB60_323:
	s_and_saveexec_b32 s4, s0
	s_cbranch_execz .LBB60_327
; %bb.324:
	v_subrev_nc_u32_e32 v41, 28, v0
	s_movk_i32 s5, 0x2d0
	s_mov_b32 s0, 0
.LBB60_325:                             ; =>This Inner Loop Header: Depth=1
	scratch_load_b64 v[42:43], v40, off
	v_dual_mov_b32 v44, s5 :: v_dual_add_nc_u32 v41, -1, v41
	v_add_nc_u32_e32 v40, 8, v40
	s_add_i32 s5, s5, 8
	ds_load_b64 v[146:147], v44
	v_cmp_eq_u32_e32 vcc_lo, 0, v41
	s_or_b32 s0, vcc_lo, s0
	s_waitcnt vmcnt(0) lgkmcnt(0)
	v_fma_f64 v[13:14], v[42:43], v[146:147], v[13:14]
	s_and_not1_b32 exec_lo, exec_lo, s0
	s_cbranch_execnz .LBB60_325
; %bb.326:
	s_or_b32 exec_lo, exec_lo, s0
.LBB60_327:
	s_delay_alu instid0(SALU_CYCLE_1)
	s_or_b32 exec_lo, exec_lo, s4
	v_mov_b32_e32 v40, 0
	ds_load_b64 v[40:41], v40 offset:216
	s_waitcnt lgkmcnt(0)
	v_mul_f64 v[13:14], v[13:14], v[40:41]
	scratch_store_b64 off, v[13:14], off offset:216
.LBB60_328:
	s_or_b32 exec_lo, exec_lo, s2
	scratch_load_b64 v[13:14], off, off offset:208
	v_cmp_lt_u32_e64 s0, 26, v0
	s_waitcnt vmcnt(0)
	ds_store_b64 v15, v[13:14]
	s_waitcnt lgkmcnt(0)
	s_waitcnt_vscnt null, 0x0
	s_barrier
	buffer_gl0_inv
	s_and_saveexec_b32 s2, s0
	s_cbranch_execz .LBB60_338
; %bb.329:
	s_and_not1_b32 vcc_lo, exec_lo, s3
	s_cbranch_vccnz .LBB60_331
; %bb.330:
	scratch_load_b64 v[13:14], v16, off
	ds_load_b64 v[40:41], v15
	s_waitcnt vmcnt(0) lgkmcnt(0)
	v_mul_f64 v[13:14], v[13:14], v[40:41]
	s_cbranch_execz .LBB60_332
	s_branch .LBB60_333
.LBB60_331:
                                        ; implicit-def: $vgpr13_vgpr14
.LBB60_332:
	ds_load_b64 v[13:14], v15
.LBB60_333:
	s_and_saveexec_b32 s4, s1
	s_cbranch_execz .LBB60_337
; %bb.334:
	v_mov_b32_e32 v40, 0
	v_subrev_nc_u32_e32 v41, 27, v0
	s_movk_i32 s5, 0x2c8
	s_mov_b32 s1, 0
	s_delay_alu instid0(VALU_DEP_2)
	v_add_nc_u32_e32 v40, 0xd8, v40
.LBB60_335:                             ; =>This Inner Loop Header: Depth=1
	scratch_load_b64 v[42:43], v40, off
	v_dual_mov_b32 v44, s5 :: v_dual_add_nc_u32 v41, -1, v41
	v_add_nc_u32_e32 v40, 8, v40
	s_add_i32 s5, s5, 8
	ds_load_b64 v[146:147], v44
	v_cmp_eq_u32_e32 vcc_lo, 0, v41
	s_or_b32 s1, vcc_lo, s1
	s_waitcnt vmcnt(0) lgkmcnt(0)
	v_fma_f64 v[13:14], v[42:43], v[146:147], v[13:14]
	s_and_not1_b32 exec_lo, exec_lo, s1
	s_cbranch_execnz .LBB60_335
; %bb.336:
	s_or_b32 exec_lo, exec_lo, s1
.LBB60_337:
	s_delay_alu instid0(SALU_CYCLE_1)
	s_or_b32 exec_lo, exec_lo, s4
	v_mov_b32_e32 v40, 0
	ds_load_b64 v[40:41], v40 offset:208
	s_waitcnt lgkmcnt(0)
	v_mul_f64 v[13:14], v[13:14], v[40:41]
	scratch_store_b64 off, v[13:14], off offset:208
.LBB60_338:
	s_or_b32 exec_lo, exec_lo, s2
	scratch_load_b64 v[13:14], off, off offset:200
	v_cmp_lt_u32_e64 s1, 25, v0
	s_waitcnt vmcnt(0)
	ds_store_b64 v15, v[13:14]
	s_waitcnt lgkmcnt(0)
	s_waitcnt_vscnt null, 0x0
	s_barrier
	buffer_gl0_inv
	s_and_saveexec_b32 s2, s1
	s_cbranch_execz .LBB60_348
; %bb.339:
	s_and_not1_b32 vcc_lo, exec_lo, s3
	s_cbranch_vccnz .LBB60_341
; %bb.340:
	scratch_load_b64 v[13:14], v16, off
	ds_load_b64 v[40:41], v15
	s_waitcnt vmcnt(0) lgkmcnt(0)
	v_mul_f64 v[13:14], v[13:14], v[40:41]
	s_cbranch_execz .LBB60_342
	s_branch .LBB60_343
.LBB60_341:
                                        ; implicit-def: $vgpr13_vgpr14
.LBB60_342:
	ds_load_b64 v[13:14], v15
.LBB60_343:
	s_and_saveexec_b32 s4, s0
	s_cbranch_execz .LBB60_347
; %bb.344:
	v_subrev_nc_u32_e32 v40, 26, v0
	s_movk_i32 s5, 0x2c0
	s_mov_b32 s0, 0
.LBB60_345:                             ; =>This Inner Loop Header: Depth=1
	scratch_load_b64 v[41:42], v39, off
	v_dual_mov_b32 v43, s5 :: v_dual_add_nc_u32 v40, -1, v40
	v_add_nc_u32_e32 v39, 8, v39
	s_add_i32 s5, s5, 8
	ds_load_b64 v[43:44], v43
	v_cmp_eq_u32_e32 vcc_lo, 0, v40
	s_or_b32 s0, vcc_lo, s0
	s_waitcnt vmcnt(0) lgkmcnt(0)
	v_fma_f64 v[13:14], v[41:42], v[43:44], v[13:14]
	s_and_not1_b32 exec_lo, exec_lo, s0
	s_cbranch_execnz .LBB60_345
; %bb.346:
	s_or_b32 exec_lo, exec_lo, s0
.LBB60_347:
	s_delay_alu instid0(SALU_CYCLE_1)
	s_or_b32 exec_lo, exec_lo, s4
	v_mov_b32_e32 v39, 0
	ds_load_b64 v[39:40], v39 offset:200
	s_waitcnt lgkmcnt(0)
	v_mul_f64 v[13:14], v[13:14], v[39:40]
	scratch_store_b64 off, v[13:14], off offset:200
.LBB60_348:
	s_or_b32 exec_lo, exec_lo, s2
	scratch_load_b64 v[13:14], off, off offset:192
	v_cmp_lt_u32_e64 s0, 24, v0
	s_waitcnt vmcnt(0)
	ds_store_b64 v15, v[13:14]
	s_waitcnt lgkmcnt(0)
	s_waitcnt_vscnt null, 0x0
	s_barrier
	buffer_gl0_inv
	s_and_saveexec_b32 s2, s0
	s_cbranch_execz .LBB60_358
; %bb.349:
	s_and_not1_b32 vcc_lo, exec_lo, s3
	s_cbranch_vccnz .LBB60_351
; %bb.350:
	scratch_load_b64 v[13:14], v16, off
	ds_load_b64 v[39:40], v15
	s_waitcnt vmcnt(0) lgkmcnt(0)
	v_mul_f64 v[13:14], v[13:14], v[39:40]
	s_cbranch_execz .LBB60_352
	s_branch .LBB60_353
.LBB60_351:
                                        ; implicit-def: $vgpr13_vgpr14
.LBB60_352:
	ds_load_b64 v[13:14], v15
.LBB60_353:
	s_and_saveexec_b32 s4, s1
	s_cbranch_execz .LBB60_357
; %bb.354:
	v_mov_b32_e32 v39, 0
	v_subrev_nc_u32_e32 v40, 25, v0
	s_movk_i32 s5, 0x2b8
	s_mov_b32 s1, 0
	s_delay_alu instid0(VALU_DEP_2)
	v_add_nc_u32_e32 v39, 0xc8, v39
.LBB60_355:                             ; =>This Inner Loop Header: Depth=1
	scratch_load_b64 v[41:42], v39, off
	v_dual_mov_b32 v43, s5 :: v_dual_add_nc_u32 v40, -1, v40
	v_add_nc_u32_e32 v39, 8, v39
	s_add_i32 s5, s5, 8
	ds_load_b64 v[43:44], v43
	v_cmp_eq_u32_e32 vcc_lo, 0, v40
	s_or_b32 s1, vcc_lo, s1
	s_waitcnt vmcnt(0) lgkmcnt(0)
	v_fma_f64 v[13:14], v[41:42], v[43:44], v[13:14]
	s_and_not1_b32 exec_lo, exec_lo, s1
	s_cbranch_execnz .LBB60_355
; %bb.356:
	s_or_b32 exec_lo, exec_lo, s1
.LBB60_357:
	s_delay_alu instid0(SALU_CYCLE_1)
	s_or_b32 exec_lo, exec_lo, s4
	v_mov_b32_e32 v39, 0
	ds_load_b64 v[39:40], v39 offset:192
	s_waitcnt lgkmcnt(0)
	v_mul_f64 v[13:14], v[13:14], v[39:40]
	scratch_store_b64 off, v[13:14], off offset:192
.LBB60_358:
	s_or_b32 exec_lo, exec_lo, s2
	scratch_load_b64 v[13:14], off, off offset:184
	v_cmp_lt_u32_e64 s1, 23, v0
	s_waitcnt vmcnt(0)
	ds_store_b64 v15, v[13:14]
	s_waitcnt lgkmcnt(0)
	s_waitcnt_vscnt null, 0x0
	s_barrier
	buffer_gl0_inv
	s_and_saveexec_b32 s2, s1
	s_cbranch_execz .LBB60_368
; %bb.359:
	s_and_not1_b32 vcc_lo, exec_lo, s3
	s_cbranch_vccnz .LBB60_361
; %bb.360:
	scratch_load_b64 v[13:14], v16, off
	ds_load_b64 v[39:40], v15
	s_waitcnt vmcnt(0) lgkmcnt(0)
	v_mul_f64 v[13:14], v[13:14], v[39:40]
	s_cbranch_execz .LBB60_362
	s_branch .LBB60_363
.LBB60_361:
                                        ; implicit-def: $vgpr13_vgpr14
.LBB60_362:
	ds_load_b64 v[13:14], v15
.LBB60_363:
	s_and_saveexec_b32 s4, s0
	s_cbranch_execz .LBB60_367
; %bb.364:
	v_subrev_nc_u32_e32 v39, 24, v0
	s_movk_i32 s5, 0x2b0
	s_mov_b32 s0, 0
.LBB60_365:                             ; =>This Inner Loop Header: Depth=1
	scratch_load_b64 v[40:41], v38, off
	v_dual_mov_b32 v42, s5 :: v_dual_add_nc_u32 v39, -1, v39
	v_add_nc_u32_e32 v38, 8, v38
	s_add_i32 s5, s5, 8
	ds_load_b64 v[42:43], v42
	v_cmp_eq_u32_e32 vcc_lo, 0, v39
	s_or_b32 s0, vcc_lo, s0
	s_waitcnt vmcnt(0) lgkmcnt(0)
	v_fma_f64 v[13:14], v[40:41], v[42:43], v[13:14]
	s_and_not1_b32 exec_lo, exec_lo, s0
	s_cbranch_execnz .LBB60_365
; %bb.366:
	s_or_b32 exec_lo, exec_lo, s0
.LBB60_367:
	s_delay_alu instid0(SALU_CYCLE_1)
	s_or_b32 exec_lo, exec_lo, s4
	v_mov_b32_e32 v38, 0
	ds_load_b64 v[38:39], v38 offset:184
	s_waitcnt lgkmcnt(0)
	v_mul_f64 v[13:14], v[13:14], v[38:39]
	scratch_store_b64 off, v[13:14], off offset:184
.LBB60_368:
	s_or_b32 exec_lo, exec_lo, s2
	scratch_load_b64 v[13:14], off, off offset:176
	v_cmp_lt_u32_e64 s0, 22, v0
	s_waitcnt vmcnt(0)
	ds_store_b64 v15, v[13:14]
	s_waitcnt lgkmcnt(0)
	s_waitcnt_vscnt null, 0x0
	s_barrier
	buffer_gl0_inv
	s_and_saveexec_b32 s2, s0
	s_cbranch_execz .LBB60_378
; %bb.369:
	s_and_not1_b32 vcc_lo, exec_lo, s3
	s_cbranch_vccnz .LBB60_371
; %bb.370:
	scratch_load_b64 v[13:14], v16, off
	ds_load_b64 v[38:39], v15
	s_waitcnt vmcnt(0) lgkmcnt(0)
	v_mul_f64 v[13:14], v[13:14], v[38:39]
	s_cbranch_execz .LBB60_372
	s_branch .LBB60_373
.LBB60_371:
                                        ; implicit-def: $vgpr13_vgpr14
.LBB60_372:
	ds_load_b64 v[13:14], v15
.LBB60_373:
	s_and_saveexec_b32 s4, s1
	s_cbranch_execz .LBB60_377
; %bb.374:
	v_mov_b32_e32 v38, 0
	v_subrev_nc_u32_e32 v39, 23, v0
	s_movk_i32 s5, 0x2a8
	s_mov_b32 s1, 0
	s_delay_alu instid0(VALU_DEP_2)
	v_add_nc_u32_e32 v38, 0xb8, v38
.LBB60_375:                             ; =>This Inner Loop Header: Depth=1
	scratch_load_b64 v[40:41], v38, off
	v_dual_mov_b32 v42, s5 :: v_dual_add_nc_u32 v39, -1, v39
	v_add_nc_u32_e32 v38, 8, v38
	s_add_i32 s5, s5, 8
	ds_load_b64 v[42:43], v42
	v_cmp_eq_u32_e32 vcc_lo, 0, v39
	s_or_b32 s1, vcc_lo, s1
	s_waitcnt vmcnt(0) lgkmcnt(0)
	v_fma_f64 v[13:14], v[40:41], v[42:43], v[13:14]
	s_and_not1_b32 exec_lo, exec_lo, s1
	s_cbranch_execnz .LBB60_375
; %bb.376:
	s_or_b32 exec_lo, exec_lo, s1
.LBB60_377:
	s_delay_alu instid0(SALU_CYCLE_1)
	s_or_b32 exec_lo, exec_lo, s4
	v_mov_b32_e32 v38, 0
	ds_load_b64 v[38:39], v38 offset:176
	s_waitcnt lgkmcnt(0)
	v_mul_f64 v[13:14], v[13:14], v[38:39]
	scratch_store_b64 off, v[13:14], off offset:176
.LBB60_378:
	s_or_b32 exec_lo, exec_lo, s2
	scratch_load_b64 v[13:14], off, off offset:168
	v_cmp_lt_u32_e64 s1, 21, v0
	s_waitcnt vmcnt(0)
	ds_store_b64 v15, v[13:14]
	s_waitcnt lgkmcnt(0)
	s_waitcnt_vscnt null, 0x0
	s_barrier
	buffer_gl0_inv
	s_and_saveexec_b32 s2, s1
	s_cbranch_execz .LBB60_388
; %bb.379:
	s_and_not1_b32 vcc_lo, exec_lo, s3
	s_cbranch_vccnz .LBB60_381
; %bb.380:
	scratch_load_b64 v[13:14], v16, off
	ds_load_b64 v[38:39], v15
	s_waitcnt vmcnt(0) lgkmcnt(0)
	v_mul_f64 v[13:14], v[13:14], v[38:39]
	s_cbranch_execz .LBB60_382
	s_branch .LBB60_383
.LBB60_381:
                                        ; implicit-def: $vgpr13_vgpr14
.LBB60_382:
	ds_load_b64 v[13:14], v15
.LBB60_383:
	s_and_saveexec_b32 s4, s0
	s_cbranch_execz .LBB60_387
; %bb.384:
	v_subrev_nc_u32_e32 v38, 22, v0
	s_movk_i32 s5, 0x2a0
	s_mov_b32 s0, 0
.LBB60_385:                             ; =>This Inner Loop Header: Depth=1
	scratch_load_b64 v[39:40], v37, off
	v_dual_mov_b32 v41, s5 :: v_dual_add_nc_u32 v38, -1, v38
	v_add_nc_u32_e32 v37, 8, v37
	s_add_i32 s5, s5, 8
	ds_load_b64 v[41:42], v41
	v_cmp_eq_u32_e32 vcc_lo, 0, v38
	s_or_b32 s0, vcc_lo, s0
	s_waitcnt vmcnt(0) lgkmcnt(0)
	v_fma_f64 v[13:14], v[39:40], v[41:42], v[13:14]
	s_and_not1_b32 exec_lo, exec_lo, s0
	s_cbranch_execnz .LBB60_385
; %bb.386:
	s_or_b32 exec_lo, exec_lo, s0
.LBB60_387:
	s_delay_alu instid0(SALU_CYCLE_1)
	s_or_b32 exec_lo, exec_lo, s4
	v_mov_b32_e32 v37, 0
	ds_load_b64 v[37:38], v37 offset:168
	s_waitcnt lgkmcnt(0)
	v_mul_f64 v[13:14], v[13:14], v[37:38]
	scratch_store_b64 off, v[13:14], off offset:168
.LBB60_388:
	s_or_b32 exec_lo, exec_lo, s2
	scratch_load_b64 v[13:14], off, off offset:160
	v_cmp_lt_u32_e64 s0, 20, v0
	s_waitcnt vmcnt(0)
	ds_store_b64 v15, v[13:14]
	s_waitcnt lgkmcnt(0)
	s_waitcnt_vscnt null, 0x0
	s_barrier
	buffer_gl0_inv
	s_and_saveexec_b32 s2, s0
	s_cbranch_execz .LBB60_398
; %bb.389:
	s_and_not1_b32 vcc_lo, exec_lo, s3
	s_cbranch_vccnz .LBB60_391
; %bb.390:
	scratch_load_b64 v[13:14], v16, off
	ds_load_b64 v[37:38], v15
	s_waitcnt vmcnt(0) lgkmcnt(0)
	v_mul_f64 v[13:14], v[13:14], v[37:38]
	s_cbranch_execz .LBB60_392
	s_branch .LBB60_393
.LBB60_391:
                                        ; implicit-def: $vgpr13_vgpr14
.LBB60_392:
	ds_load_b64 v[13:14], v15
.LBB60_393:
	s_and_saveexec_b32 s4, s1
	s_cbranch_execz .LBB60_397
; %bb.394:
	v_mov_b32_e32 v37, 0
	v_subrev_nc_u32_e32 v38, 21, v0
	s_movk_i32 s5, 0x298
	s_mov_b32 s1, 0
	s_delay_alu instid0(VALU_DEP_2)
	v_add_nc_u32_e32 v37, 0xa8, v37
.LBB60_395:                             ; =>This Inner Loop Header: Depth=1
	scratch_load_b64 v[39:40], v37, off
	v_dual_mov_b32 v41, s5 :: v_dual_add_nc_u32 v38, -1, v38
	v_add_nc_u32_e32 v37, 8, v37
	s_add_i32 s5, s5, 8
	ds_load_b64 v[41:42], v41
	v_cmp_eq_u32_e32 vcc_lo, 0, v38
	s_or_b32 s1, vcc_lo, s1
	s_waitcnt vmcnt(0) lgkmcnt(0)
	v_fma_f64 v[13:14], v[39:40], v[41:42], v[13:14]
	s_and_not1_b32 exec_lo, exec_lo, s1
	s_cbranch_execnz .LBB60_395
; %bb.396:
	s_or_b32 exec_lo, exec_lo, s1
.LBB60_397:
	s_delay_alu instid0(SALU_CYCLE_1)
	s_or_b32 exec_lo, exec_lo, s4
	v_mov_b32_e32 v37, 0
	ds_load_b64 v[37:38], v37 offset:160
	s_waitcnt lgkmcnt(0)
	v_mul_f64 v[13:14], v[13:14], v[37:38]
	scratch_store_b64 off, v[13:14], off offset:160
.LBB60_398:
	s_or_b32 exec_lo, exec_lo, s2
	scratch_load_b64 v[13:14], off, off offset:152
	v_cmp_lt_u32_e64 s1, 19, v0
	s_waitcnt vmcnt(0)
	ds_store_b64 v15, v[13:14]
	s_waitcnt lgkmcnt(0)
	s_waitcnt_vscnt null, 0x0
	s_barrier
	buffer_gl0_inv
	s_and_saveexec_b32 s2, s1
	s_cbranch_execz .LBB60_408
; %bb.399:
	s_and_not1_b32 vcc_lo, exec_lo, s3
	s_cbranch_vccnz .LBB60_401
; %bb.400:
	scratch_load_b64 v[13:14], v16, off
	ds_load_b64 v[37:38], v15
	s_waitcnt vmcnt(0) lgkmcnt(0)
	v_mul_f64 v[13:14], v[13:14], v[37:38]
	s_cbranch_execz .LBB60_402
	s_branch .LBB60_403
.LBB60_401:
                                        ; implicit-def: $vgpr13_vgpr14
.LBB60_402:
	ds_load_b64 v[13:14], v15
.LBB60_403:
	s_and_saveexec_b32 s4, s0
	s_cbranch_execz .LBB60_407
; %bb.404:
	v_subrev_nc_u32_e32 v37, 20, v0
	s_movk_i32 s5, 0x290
	s_mov_b32 s0, 0
.LBB60_405:                             ; =>This Inner Loop Header: Depth=1
	scratch_load_b64 v[38:39], v36, off
	v_dual_mov_b32 v40, s5 :: v_dual_add_nc_u32 v37, -1, v37
	v_add_nc_u32_e32 v36, 8, v36
	s_add_i32 s5, s5, 8
	ds_load_b64 v[40:41], v40
	v_cmp_eq_u32_e32 vcc_lo, 0, v37
	s_or_b32 s0, vcc_lo, s0
	s_waitcnt vmcnt(0) lgkmcnt(0)
	v_fma_f64 v[13:14], v[38:39], v[40:41], v[13:14]
	s_and_not1_b32 exec_lo, exec_lo, s0
	s_cbranch_execnz .LBB60_405
; %bb.406:
	s_or_b32 exec_lo, exec_lo, s0
.LBB60_407:
	s_delay_alu instid0(SALU_CYCLE_1)
	s_or_b32 exec_lo, exec_lo, s4
	v_mov_b32_e32 v36, 0
	ds_load_b64 v[36:37], v36 offset:152
	s_waitcnt lgkmcnt(0)
	v_mul_f64 v[13:14], v[13:14], v[36:37]
	scratch_store_b64 off, v[13:14], off offset:152
.LBB60_408:
	s_or_b32 exec_lo, exec_lo, s2
	scratch_load_b64 v[13:14], off, off offset:144
	v_cmp_lt_u32_e64 s0, 18, v0
	s_waitcnt vmcnt(0)
	ds_store_b64 v15, v[13:14]
	s_waitcnt lgkmcnt(0)
	s_waitcnt_vscnt null, 0x0
	s_barrier
	buffer_gl0_inv
	s_and_saveexec_b32 s2, s0
	s_cbranch_execz .LBB60_418
; %bb.409:
	s_and_not1_b32 vcc_lo, exec_lo, s3
	s_cbranch_vccnz .LBB60_411
; %bb.410:
	scratch_load_b64 v[13:14], v16, off
	ds_load_b64 v[36:37], v15
	s_waitcnt vmcnt(0) lgkmcnt(0)
	v_mul_f64 v[13:14], v[13:14], v[36:37]
	s_cbranch_execz .LBB60_412
	s_branch .LBB60_413
.LBB60_411:
                                        ; implicit-def: $vgpr13_vgpr14
.LBB60_412:
	ds_load_b64 v[13:14], v15
.LBB60_413:
	s_and_saveexec_b32 s4, s1
	s_cbranch_execz .LBB60_417
; %bb.414:
	v_mov_b32_e32 v36, 0
	v_subrev_nc_u32_e32 v37, 19, v0
	s_movk_i32 s5, 0x288
	s_mov_b32 s1, 0
	s_delay_alu instid0(VALU_DEP_2)
	v_add_nc_u32_e32 v36, 0x98, v36
.LBB60_415:                             ; =>This Inner Loop Header: Depth=1
	scratch_load_b64 v[38:39], v36, off
	v_dual_mov_b32 v40, s5 :: v_dual_add_nc_u32 v37, -1, v37
	v_add_nc_u32_e32 v36, 8, v36
	s_add_i32 s5, s5, 8
	ds_load_b64 v[40:41], v40
	v_cmp_eq_u32_e32 vcc_lo, 0, v37
	s_or_b32 s1, vcc_lo, s1
	s_waitcnt vmcnt(0) lgkmcnt(0)
	v_fma_f64 v[13:14], v[38:39], v[40:41], v[13:14]
	s_and_not1_b32 exec_lo, exec_lo, s1
	s_cbranch_execnz .LBB60_415
; %bb.416:
	s_or_b32 exec_lo, exec_lo, s1
.LBB60_417:
	s_delay_alu instid0(SALU_CYCLE_1)
	s_or_b32 exec_lo, exec_lo, s4
	v_mov_b32_e32 v36, 0
	ds_load_b64 v[36:37], v36 offset:144
	s_waitcnt lgkmcnt(0)
	v_mul_f64 v[13:14], v[13:14], v[36:37]
	scratch_store_b64 off, v[13:14], off offset:144
.LBB60_418:
	s_or_b32 exec_lo, exec_lo, s2
	scratch_load_b64 v[13:14], off, off offset:136
	v_cmp_lt_u32_e64 s1, 17, v0
	s_waitcnt vmcnt(0)
	ds_store_b64 v15, v[13:14]
	s_waitcnt lgkmcnt(0)
	s_waitcnt_vscnt null, 0x0
	s_barrier
	buffer_gl0_inv
	s_and_saveexec_b32 s2, s1
	s_cbranch_execz .LBB60_428
; %bb.419:
	s_and_not1_b32 vcc_lo, exec_lo, s3
	s_cbranch_vccnz .LBB60_421
; %bb.420:
	scratch_load_b64 v[13:14], v16, off
	ds_load_b64 v[36:37], v15
	s_waitcnt vmcnt(0) lgkmcnt(0)
	v_mul_f64 v[13:14], v[13:14], v[36:37]
	s_cbranch_execz .LBB60_422
	s_branch .LBB60_423
.LBB60_421:
                                        ; implicit-def: $vgpr13_vgpr14
.LBB60_422:
	ds_load_b64 v[13:14], v15
.LBB60_423:
	s_and_saveexec_b32 s4, s0
	s_cbranch_execz .LBB60_427
; %bb.424:
	v_subrev_nc_u32_e32 v36, 18, v0
	s_movk_i32 s5, 0x280
	s_mov_b32 s0, 0
.LBB60_425:                             ; =>This Inner Loop Header: Depth=1
	scratch_load_b64 v[37:38], v35, off
	v_dual_mov_b32 v39, s5 :: v_dual_add_nc_u32 v36, -1, v36
	v_add_nc_u32_e32 v35, 8, v35
	s_add_i32 s5, s5, 8
	ds_load_b64 v[39:40], v39
	v_cmp_eq_u32_e32 vcc_lo, 0, v36
	s_or_b32 s0, vcc_lo, s0
	s_waitcnt vmcnt(0) lgkmcnt(0)
	v_fma_f64 v[13:14], v[37:38], v[39:40], v[13:14]
	s_and_not1_b32 exec_lo, exec_lo, s0
	s_cbranch_execnz .LBB60_425
; %bb.426:
	s_or_b32 exec_lo, exec_lo, s0
.LBB60_427:
	s_delay_alu instid0(SALU_CYCLE_1)
	s_or_b32 exec_lo, exec_lo, s4
	v_mov_b32_e32 v35, 0
	ds_load_b64 v[35:36], v35 offset:136
	s_waitcnt lgkmcnt(0)
	v_mul_f64 v[13:14], v[13:14], v[35:36]
	scratch_store_b64 off, v[13:14], off offset:136
.LBB60_428:
	s_or_b32 exec_lo, exec_lo, s2
	scratch_load_b64 v[13:14], off, off offset:128
	v_cmp_lt_u32_e64 s0, 16, v0
	s_waitcnt vmcnt(0)
	ds_store_b64 v15, v[13:14]
	s_waitcnt lgkmcnt(0)
	s_waitcnt_vscnt null, 0x0
	s_barrier
	buffer_gl0_inv
	s_and_saveexec_b32 s2, s0
	s_cbranch_execz .LBB60_438
; %bb.429:
	s_and_not1_b32 vcc_lo, exec_lo, s3
	s_cbranch_vccnz .LBB60_431
; %bb.430:
	scratch_load_b64 v[13:14], v16, off
	ds_load_b64 v[35:36], v15
	s_waitcnt vmcnt(0) lgkmcnt(0)
	v_mul_f64 v[13:14], v[13:14], v[35:36]
	s_cbranch_execz .LBB60_432
	s_branch .LBB60_433
.LBB60_431:
                                        ; implicit-def: $vgpr13_vgpr14
.LBB60_432:
	ds_load_b64 v[13:14], v15
.LBB60_433:
	s_and_saveexec_b32 s4, s1
	s_cbranch_execz .LBB60_437
; %bb.434:
	v_mov_b32_e32 v35, 0
	v_subrev_nc_u32_e32 v36, 17, v0
	s_movk_i32 s5, 0x278
	s_mov_b32 s1, 0
	s_delay_alu instid0(VALU_DEP_2)
	v_add_nc_u32_e32 v35, 0x88, v35
.LBB60_435:                             ; =>This Inner Loop Header: Depth=1
	scratch_load_b64 v[37:38], v35, off
	v_dual_mov_b32 v39, s5 :: v_dual_add_nc_u32 v36, -1, v36
	v_add_nc_u32_e32 v35, 8, v35
	s_add_i32 s5, s5, 8
	ds_load_b64 v[39:40], v39
	v_cmp_eq_u32_e32 vcc_lo, 0, v36
	s_or_b32 s1, vcc_lo, s1
	s_waitcnt vmcnt(0) lgkmcnt(0)
	v_fma_f64 v[13:14], v[37:38], v[39:40], v[13:14]
	s_and_not1_b32 exec_lo, exec_lo, s1
	s_cbranch_execnz .LBB60_435
; %bb.436:
	s_or_b32 exec_lo, exec_lo, s1
.LBB60_437:
	s_delay_alu instid0(SALU_CYCLE_1)
	s_or_b32 exec_lo, exec_lo, s4
	v_mov_b32_e32 v35, 0
	ds_load_b64 v[35:36], v35 offset:128
	s_waitcnt lgkmcnt(0)
	v_mul_f64 v[13:14], v[13:14], v[35:36]
	scratch_store_b64 off, v[13:14], off offset:128
.LBB60_438:
	s_or_b32 exec_lo, exec_lo, s2
	scratch_load_b64 v[13:14], off, off offset:120
	v_cmp_lt_u32_e64 s1, 15, v0
	s_waitcnt vmcnt(0)
	ds_store_b64 v15, v[13:14]
	s_waitcnt lgkmcnt(0)
	s_waitcnt_vscnt null, 0x0
	s_barrier
	buffer_gl0_inv
	s_and_saveexec_b32 s2, s1
	s_cbranch_execz .LBB60_448
; %bb.439:
	s_and_not1_b32 vcc_lo, exec_lo, s3
	s_cbranch_vccnz .LBB60_441
; %bb.440:
	scratch_load_b64 v[13:14], v16, off
	ds_load_b64 v[35:36], v15
	s_waitcnt vmcnt(0) lgkmcnt(0)
	v_mul_f64 v[13:14], v[13:14], v[35:36]
	s_cbranch_execz .LBB60_442
	s_branch .LBB60_443
.LBB60_441:
                                        ; implicit-def: $vgpr13_vgpr14
.LBB60_442:
	ds_load_b64 v[13:14], v15
.LBB60_443:
	s_and_saveexec_b32 s4, s0
	s_cbranch_execz .LBB60_447
; %bb.444:
	v_add_nc_u32_e32 v35, -16, v0
	s_movk_i32 s5, 0x270
	s_mov_b32 s0, 0
.LBB60_445:                             ; =>This Inner Loop Header: Depth=1
	scratch_load_b64 v[36:37], v34, off
	v_dual_mov_b32 v38, s5 :: v_dual_add_nc_u32 v35, -1, v35
	v_add_nc_u32_e32 v34, 8, v34
	s_add_i32 s5, s5, 8
	ds_load_b64 v[38:39], v38
	v_cmp_eq_u32_e32 vcc_lo, 0, v35
	s_or_b32 s0, vcc_lo, s0
	s_waitcnt vmcnt(0) lgkmcnt(0)
	v_fma_f64 v[13:14], v[36:37], v[38:39], v[13:14]
	s_and_not1_b32 exec_lo, exec_lo, s0
	s_cbranch_execnz .LBB60_445
; %bb.446:
	s_or_b32 exec_lo, exec_lo, s0
.LBB60_447:
	s_delay_alu instid0(SALU_CYCLE_1)
	s_or_b32 exec_lo, exec_lo, s4
	v_mov_b32_e32 v34, 0
	ds_load_b64 v[34:35], v34 offset:120
	s_waitcnt lgkmcnt(0)
	v_mul_f64 v[13:14], v[13:14], v[34:35]
	scratch_store_b64 off, v[13:14], off offset:120
.LBB60_448:
	s_or_b32 exec_lo, exec_lo, s2
	scratch_load_b64 v[13:14], off, off offset:112
	v_cmp_lt_u32_e64 s0, 14, v0
	s_waitcnt vmcnt(0)
	ds_store_b64 v15, v[13:14]
	s_waitcnt lgkmcnt(0)
	s_waitcnt_vscnt null, 0x0
	s_barrier
	buffer_gl0_inv
	s_and_saveexec_b32 s2, s0
	s_cbranch_execz .LBB60_458
; %bb.449:
	s_and_not1_b32 vcc_lo, exec_lo, s3
	s_cbranch_vccnz .LBB60_451
; %bb.450:
	scratch_load_b64 v[13:14], v16, off
	ds_load_b64 v[34:35], v15
	s_waitcnt vmcnt(0) lgkmcnt(0)
	v_mul_f64 v[13:14], v[13:14], v[34:35]
	s_cbranch_execz .LBB60_452
	s_branch .LBB60_453
.LBB60_451:
                                        ; implicit-def: $vgpr13_vgpr14
.LBB60_452:
	ds_load_b64 v[13:14], v15
.LBB60_453:
	s_and_saveexec_b32 s4, s1
	s_cbranch_execz .LBB60_457
; %bb.454:
	v_dual_mov_b32 v34, 0 :: v_dual_add_nc_u32 v35, -15, v0
	s_movk_i32 s5, 0x268
	s_mov_b32 s1, 0
	s_delay_alu instid0(VALU_DEP_1)
	v_add_nc_u32_e32 v34, 0x78, v34
.LBB60_455:                             ; =>This Inner Loop Header: Depth=1
	scratch_load_b64 v[36:37], v34, off
	v_dual_mov_b32 v38, s5 :: v_dual_add_nc_u32 v35, -1, v35
	v_add_nc_u32_e32 v34, 8, v34
	s_add_i32 s5, s5, 8
	ds_load_b64 v[38:39], v38
	v_cmp_eq_u32_e32 vcc_lo, 0, v35
	s_or_b32 s1, vcc_lo, s1
	s_waitcnt vmcnt(0) lgkmcnt(0)
	v_fma_f64 v[13:14], v[36:37], v[38:39], v[13:14]
	s_and_not1_b32 exec_lo, exec_lo, s1
	s_cbranch_execnz .LBB60_455
; %bb.456:
	s_or_b32 exec_lo, exec_lo, s1
.LBB60_457:
	s_delay_alu instid0(SALU_CYCLE_1)
	s_or_b32 exec_lo, exec_lo, s4
	v_mov_b32_e32 v34, 0
	ds_load_b64 v[34:35], v34 offset:112
	s_waitcnt lgkmcnt(0)
	v_mul_f64 v[13:14], v[13:14], v[34:35]
	scratch_store_b64 off, v[13:14], off offset:112
.LBB60_458:
	s_or_b32 exec_lo, exec_lo, s2
	scratch_load_b64 v[13:14], off, off offset:104
	v_cmp_lt_u32_e64 s1, 13, v0
	s_waitcnt vmcnt(0)
	ds_store_b64 v15, v[13:14]
	s_waitcnt lgkmcnt(0)
	s_waitcnt_vscnt null, 0x0
	s_barrier
	buffer_gl0_inv
	s_and_saveexec_b32 s2, s1
	s_cbranch_execz .LBB60_468
; %bb.459:
	s_and_not1_b32 vcc_lo, exec_lo, s3
	s_cbranch_vccnz .LBB60_461
; %bb.460:
	scratch_load_b64 v[13:14], v16, off
	ds_load_b64 v[34:35], v15
	s_waitcnt vmcnt(0) lgkmcnt(0)
	v_mul_f64 v[13:14], v[13:14], v[34:35]
	s_cbranch_execz .LBB60_462
	s_branch .LBB60_463
.LBB60_461:
                                        ; implicit-def: $vgpr13_vgpr14
.LBB60_462:
	ds_load_b64 v[13:14], v15
.LBB60_463:
	s_and_saveexec_b32 s4, s0
	s_cbranch_execz .LBB60_467
; %bb.464:
	v_add_nc_u32_e32 v34, -14, v0
	s_movk_i32 s5, 0x260
	s_mov_b32 s0, 0
.LBB60_465:                             ; =>This Inner Loop Header: Depth=1
	scratch_load_b64 v[35:36], v33, off
	v_dual_mov_b32 v37, s5 :: v_dual_add_nc_u32 v34, -1, v34
	v_add_nc_u32_e32 v33, 8, v33
	s_add_i32 s5, s5, 8
	ds_load_b64 v[37:38], v37
	v_cmp_eq_u32_e32 vcc_lo, 0, v34
	s_or_b32 s0, vcc_lo, s0
	s_waitcnt vmcnt(0) lgkmcnt(0)
	v_fma_f64 v[13:14], v[35:36], v[37:38], v[13:14]
	s_and_not1_b32 exec_lo, exec_lo, s0
	s_cbranch_execnz .LBB60_465
; %bb.466:
	s_or_b32 exec_lo, exec_lo, s0
.LBB60_467:
	s_delay_alu instid0(SALU_CYCLE_1)
	s_or_b32 exec_lo, exec_lo, s4
	v_mov_b32_e32 v33, 0
	ds_load_b64 v[33:34], v33 offset:104
	s_waitcnt lgkmcnt(0)
	v_mul_f64 v[13:14], v[13:14], v[33:34]
	scratch_store_b64 off, v[13:14], off offset:104
.LBB60_468:
	s_or_b32 exec_lo, exec_lo, s2
	scratch_load_b64 v[13:14], off, off offset:96
	v_cmp_lt_u32_e64 s0, 12, v0
	s_waitcnt vmcnt(0)
	ds_store_b64 v15, v[13:14]
	s_waitcnt lgkmcnt(0)
	s_waitcnt_vscnt null, 0x0
	s_barrier
	buffer_gl0_inv
	s_and_saveexec_b32 s2, s0
	s_cbranch_execz .LBB60_478
; %bb.469:
	s_and_not1_b32 vcc_lo, exec_lo, s3
	s_cbranch_vccnz .LBB60_471
; %bb.470:
	scratch_load_b64 v[13:14], v16, off
	ds_load_b64 v[33:34], v15
	s_waitcnt vmcnt(0) lgkmcnt(0)
	v_mul_f64 v[13:14], v[13:14], v[33:34]
	s_cbranch_execz .LBB60_472
	s_branch .LBB60_473
.LBB60_471:
                                        ; implicit-def: $vgpr13_vgpr14
.LBB60_472:
	ds_load_b64 v[13:14], v15
.LBB60_473:
	s_and_saveexec_b32 s4, s1
	s_cbranch_execz .LBB60_477
; %bb.474:
	v_dual_mov_b32 v33, 0 :: v_dual_add_nc_u32 v34, -13, v0
	s_movk_i32 s5, 0x258
	s_mov_b32 s1, 0
	s_delay_alu instid0(VALU_DEP_1)
	v_add_nc_u32_e32 v33, 0x68, v33
.LBB60_475:                             ; =>This Inner Loop Header: Depth=1
	scratch_load_b64 v[35:36], v33, off
	v_dual_mov_b32 v37, s5 :: v_dual_add_nc_u32 v34, -1, v34
	v_add_nc_u32_e32 v33, 8, v33
	s_add_i32 s5, s5, 8
	ds_load_b64 v[37:38], v37
	v_cmp_eq_u32_e32 vcc_lo, 0, v34
	s_or_b32 s1, vcc_lo, s1
	s_waitcnt vmcnt(0) lgkmcnt(0)
	v_fma_f64 v[13:14], v[35:36], v[37:38], v[13:14]
	s_and_not1_b32 exec_lo, exec_lo, s1
	s_cbranch_execnz .LBB60_475
; %bb.476:
	s_or_b32 exec_lo, exec_lo, s1
.LBB60_477:
	s_delay_alu instid0(SALU_CYCLE_1)
	s_or_b32 exec_lo, exec_lo, s4
	v_mov_b32_e32 v33, 0
	ds_load_b64 v[33:34], v33 offset:96
	s_waitcnt lgkmcnt(0)
	v_mul_f64 v[13:14], v[13:14], v[33:34]
	scratch_store_b64 off, v[13:14], off offset:96
.LBB60_478:
	s_or_b32 exec_lo, exec_lo, s2
	scratch_load_b64 v[13:14], off, off offset:88
	v_cmp_lt_u32_e64 s1, 11, v0
	s_waitcnt vmcnt(0)
	ds_store_b64 v15, v[13:14]
	s_waitcnt lgkmcnt(0)
	s_waitcnt_vscnt null, 0x0
	s_barrier
	buffer_gl0_inv
	s_and_saveexec_b32 s2, s1
	s_cbranch_execz .LBB60_488
; %bb.479:
	s_and_not1_b32 vcc_lo, exec_lo, s3
	s_cbranch_vccnz .LBB60_481
; %bb.480:
	scratch_load_b64 v[13:14], v16, off
	ds_load_b64 v[33:34], v15
	s_waitcnt vmcnt(0) lgkmcnt(0)
	v_mul_f64 v[13:14], v[13:14], v[33:34]
	s_cbranch_execz .LBB60_482
	s_branch .LBB60_483
.LBB60_481:
                                        ; implicit-def: $vgpr13_vgpr14
.LBB60_482:
	ds_load_b64 v[13:14], v15
.LBB60_483:
	s_and_saveexec_b32 s4, s0
	s_cbranch_execz .LBB60_487
; %bb.484:
	v_add_nc_u32_e32 v33, -12, v0
	s_movk_i32 s5, 0x250
	s_mov_b32 s0, 0
.LBB60_485:                             ; =>This Inner Loop Header: Depth=1
	scratch_load_b64 v[34:35], v32, off
	v_dual_mov_b32 v36, s5 :: v_dual_add_nc_u32 v33, -1, v33
	v_add_nc_u32_e32 v32, 8, v32
	s_add_i32 s5, s5, 8
	ds_load_b64 v[36:37], v36
	v_cmp_eq_u32_e32 vcc_lo, 0, v33
	s_or_b32 s0, vcc_lo, s0
	s_waitcnt vmcnt(0) lgkmcnt(0)
	v_fma_f64 v[13:14], v[34:35], v[36:37], v[13:14]
	s_and_not1_b32 exec_lo, exec_lo, s0
	s_cbranch_execnz .LBB60_485
; %bb.486:
	s_or_b32 exec_lo, exec_lo, s0
.LBB60_487:
	s_delay_alu instid0(SALU_CYCLE_1)
	s_or_b32 exec_lo, exec_lo, s4
	v_mov_b32_e32 v32, 0
	ds_load_b64 v[32:33], v32 offset:88
	s_waitcnt lgkmcnt(0)
	v_mul_f64 v[13:14], v[13:14], v[32:33]
	scratch_store_b64 off, v[13:14], off offset:88
.LBB60_488:
	s_or_b32 exec_lo, exec_lo, s2
	scratch_load_b64 v[13:14], off, off offset:80
	v_cmp_lt_u32_e64 s0, 10, v0
	s_waitcnt vmcnt(0)
	ds_store_b64 v15, v[13:14]
	s_waitcnt lgkmcnt(0)
	s_waitcnt_vscnt null, 0x0
	s_barrier
	buffer_gl0_inv
	s_and_saveexec_b32 s2, s0
	s_cbranch_execz .LBB60_498
; %bb.489:
	s_and_not1_b32 vcc_lo, exec_lo, s3
	s_cbranch_vccnz .LBB60_491
; %bb.490:
	scratch_load_b64 v[13:14], v16, off
	ds_load_b64 v[32:33], v15
	s_waitcnt vmcnt(0) lgkmcnt(0)
	v_mul_f64 v[13:14], v[13:14], v[32:33]
	s_cbranch_execz .LBB60_492
	s_branch .LBB60_493
.LBB60_491:
                                        ; implicit-def: $vgpr13_vgpr14
.LBB60_492:
	ds_load_b64 v[13:14], v15
.LBB60_493:
	s_and_saveexec_b32 s4, s1
	s_cbranch_execz .LBB60_497
; %bb.494:
	v_dual_mov_b32 v32, 0 :: v_dual_add_nc_u32 v33, -11, v0
	s_movk_i32 s5, 0x248
	s_mov_b32 s1, 0
	s_delay_alu instid0(VALU_DEP_1)
	v_add_nc_u32_e32 v32, 0x58, v32
.LBB60_495:                             ; =>This Inner Loop Header: Depth=1
	scratch_load_b64 v[34:35], v32, off
	v_dual_mov_b32 v36, s5 :: v_dual_add_nc_u32 v33, -1, v33
	v_add_nc_u32_e32 v32, 8, v32
	s_add_i32 s5, s5, 8
	ds_load_b64 v[36:37], v36
	v_cmp_eq_u32_e32 vcc_lo, 0, v33
	s_or_b32 s1, vcc_lo, s1
	s_waitcnt vmcnt(0) lgkmcnt(0)
	v_fma_f64 v[13:14], v[34:35], v[36:37], v[13:14]
	s_and_not1_b32 exec_lo, exec_lo, s1
	s_cbranch_execnz .LBB60_495
; %bb.496:
	s_or_b32 exec_lo, exec_lo, s1
.LBB60_497:
	s_delay_alu instid0(SALU_CYCLE_1)
	s_or_b32 exec_lo, exec_lo, s4
	v_mov_b32_e32 v32, 0
	ds_load_b64 v[32:33], v32 offset:80
	s_waitcnt lgkmcnt(0)
	v_mul_f64 v[13:14], v[13:14], v[32:33]
	scratch_store_b64 off, v[13:14], off offset:80
.LBB60_498:
	s_or_b32 exec_lo, exec_lo, s2
	scratch_load_b64 v[13:14], off, off offset:72
	v_cmp_lt_u32_e64 s1, 9, v0
	s_waitcnt vmcnt(0)
	ds_store_b64 v15, v[13:14]
	s_waitcnt lgkmcnt(0)
	s_waitcnt_vscnt null, 0x0
	s_barrier
	buffer_gl0_inv
	s_and_saveexec_b32 s2, s1
	s_cbranch_execz .LBB60_508
; %bb.499:
	s_and_not1_b32 vcc_lo, exec_lo, s3
	s_cbranch_vccnz .LBB60_501
; %bb.500:
	scratch_load_b64 v[13:14], v16, off
	ds_load_b64 v[32:33], v15
	s_waitcnt vmcnt(0) lgkmcnt(0)
	v_mul_f64 v[13:14], v[13:14], v[32:33]
	s_cbranch_execz .LBB60_502
	s_branch .LBB60_503
.LBB60_501:
                                        ; implicit-def: $vgpr13_vgpr14
.LBB60_502:
	ds_load_b64 v[13:14], v15
.LBB60_503:
	s_and_saveexec_b32 s4, s0
	s_cbranch_execz .LBB60_507
; %bb.504:
	v_add_nc_u32_e32 v32, -10, v0
	s_movk_i32 s5, 0x240
	s_mov_b32 s0, 0
.LBB60_505:                             ; =>This Inner Loop Header: Depth=1
	scratch_load_b64 v[33:34], v31, off
	v_dual_mov_b32 v35, s5 :: v_dual_add_nc_u32 v32, -1, v32
	v_add_nc_u32_e32 v31, 8, v31
	s_add_i32 s5, s5, 8
	ds_load_b64 v[35:36], v35
	v_cmp_eq_u32_e32 vcc_lo, 0, v32
	s_or_b32 s0, vcc_lo, s0
	s_waitcnt vmcnt(0) lgkmcnt(0)
	v_fma_f64 v[13:14], v[33:34], v[35:36], v[13:14]
	s_and_not1_b32 exec_lo, exec_lo, s0
	s_cbranch_execnz .LBB60_505
; %bb.506:
	s_or_b32 exec_lo, exec_lo, s0
.LBB60_507:
	s_delay_alu instid0(SALU_CYCLE_1)
	s_or_b32 exec_lo, exec_lo, s4
	v_mov_b32_e32 v31, 0
	ds_load_b64 v[31:32], v31 offset:72
	s_waitcnt lgkmcnt(0)
	v_mul_f64 v[13:14], v[13:14], v[31:32]
	scratch_store_b64 off, v[13:14], off offset:72
.LBB60_508:
	s_or_b32 exec_lo, exec_lo, s2
	scratch_load_b64 v[13:14], off, off offset:64
	v_cmp_lt_u32_e64 s0, 8, v0
	s_waitcnt vmcnt(0)
	ds_store_b64 v15, v[13:14]
	s_waitcnt lgkmcnt(0)
	s_waitcnt_vscnt null, 0x0
	s_barrier
	buffer_gl0_inv
	s_and_saveexec_b32 s2, s0
	s_cbranch_execz .LBB60_518
; %bb.509:
	s_and_not1_b32 vcc_lo, exec_lo, s3
	s_cbranch_vccnz .LBB60_511
; %bb.510:
	scratch_load_b64 v[13:14], v16, off
	ds_load_b64 v[31:32], v15
	s_waitcnt vmcnt(0) lgkmcnt(0)
	v_mul_f64 v[13:14], v[13:14], v[31:32]
	s_cbranch_execz .LBB60_512
	s_branch .LBB60_513
.LBB60_511:
                                        ; implicit-def: $vgpr13_vgpr14
.LBB60_512:
	ds_load_b64 v[13:14], v15
.LBB60_513:
	s_and_saveexec_b32 s4, s1
	s_cbranch_execz .LBB60_517
; %bb.514:
	v_dual_mov_b32 v31, 0 :: v_dual_add_nc_u32 v32, -9, v0
	s_movk_i32 s5, 0x238
	s_mov_b32 s1, 0
	s_delay_alu instid0(VALU_DEP_1)
	v_add_nc_u32_e32 v31, 0x48, v31
.LBB60_515:                             ; =>This Inner Loop Header: Depth=1
	scratch_load_b64 v[33:34], v31, off
	v_dual_mov_b32 v35, s5 :: v_dual_add_nc_u32 v32, -1, v32
	v_add_nc_u32_e32 v31, 8, v31
	s_add_i32 s5, s5, 8
	ds_load_b64 v[35:36], v35
	v_cmp_eq_u32_e32 vcc_lo, 0, v32
	s_or_b32 s1, vcc_lo, s1
	s_waitcnt vmcnt(0) lgkmcnt(0)
	v_fma_f64 v[13:14], v[33:34], v[35:36], v[13:14]
	s_and_not1_b32 exec_lo, exec_lo, s1
	s_cbranch_execnz .LBB60_515
; %bb.516:
	s_or_b32 exec_lo, exec_lo, s1
.LBB60_517:
	s_delay_alu instid0(SALU_CYCLE_1)
	s_or_b32 exec_lo, exec_lo, s4
	v_mov_b32_e32 v31, 0
	ds_load_b64 v[31:32], v31 offset:64
	s_waitcnt lgkmcnt(0)
	v_mul_f64 v[13:14], v[13:14], v[31:32]
	scratch_store_b64 off, v[13:14], off offset:64
.LBB60_518:
	s_or_b32 exec_lo, exec_lo, s2
	scratch_load_b64 v[13:14], off, off offset:56
	v_cmp_lt_u32_e64 s1, 7, v0
	s_waitcnt vmcnt(0)
	ds_store_b64 v15, v[13:14]
	s_waitcnt lgkmcnt(0)
	s_waitcnt_vscnt null, 0x0
	s_barrier
	buffer_gl0_inv
	s_and_saveexec_b32 s2, s1
	s_cbranch_execz .LBB60_528
; %bb.519:
	s_and_not1_b32 vcc_lo, exec_lo, s3
	s_cbranch_vccnz .LBB60_521
; %bb.520:
	scratch_load_b64 v[13:14], v16, off
	ds_load_b64 v[31:32], v15
	s_waitcnt vmcnt(0) lgkmcnt(0)
	v_mul_f64 v[13:14], v[13:14], v[31:32]
	s_cbranch_execz .LBB60_522
	s_branch .LBB60_523
.LBB60_521:
                                        ; implicit-def: $vgpr13_vgpr14
.LBB60_522:
	ds_load_b64 v[13:14], v15
.LBB60_523:
	s_and_saveexec_b32 s4, s0
	s_cbranch_execz .LBB60_527
; %bb.524:
	v_add_nc_u32_e32 v31, -8, v0
	s_movk_i32 s5, 0x230
	s_mov_b32 s0, 0
.LBB60_525:                             ; =>This Inner Loop Header: Depth=1
	scratch_load_b64 v[32:33], v20, off
	v_dual_mov_b32 v34, s5 :: v_dual_add_nc_u32 v31, -1, v31
	v_add_nc_u32_e32 v20, 8, v20
	s_add_i32 s5, s5, 8
	ds_load_b64 v[34:35], v34
	v_cmp_eq_u32_e32 vcc_lo, 0, v31
	s_or_b32 s0, vcc_lo, s0
	s_waitcnt vmcnt(0) lgkmcnt(0)
	v_fma_f64 v[13:14], v[32:33], v[34:35], v[13:14]
	s_and_not1_b32 exec_lo, exec_lo, s0
	s_cbranch_execnz .LBB60_525
; %bb.526:
	s_or_b32 exec_lo, exec_lo, s0
.LBB60_527:
	s_delay_alu instid0(SALU_CYCLE_1)
	s_or_b32 exec_lo, exec_lo, s4
	v_mov_b32_e32 v20, 0
	ds_load_b64 v[31:32], v20 offset:56
	s_waitcnt lgkmcnt(0)
	v_mul_f64 v[13:14], v[13:14], v[31:32]
	scratch_store_b64 off, v[13:14], off offset:56
.LBB60_528:
	s_or_b32 exec_lo, exec_lo, s2
	scratch_load_b64 v[13:14], off, off offset:48
	v_cmp_lt_u32_e64 s0, 6, v0
	s_waitcnt vmcnt(0)
	ds_store_b64 v15, v[13:14]
	s_waitcnt lgkmcnt(0)
	s_waitcnt_vscnt null, 0x0
	s_barrier
	buffer_gl0_inv
	s_and_saveexec_b32 s2, s0
	s_cbranch_execz .LBB60_538
; %bb.529:
	s_and_not1_b32 vcc_lo, exec_lo, s3
	s_cbranch_vccnz .LBB60_531
; %bb.530:
	scratch_load_b64 v[13:14], v16, off
	ds_load_b64 v[31:32], v15
	s_waitcnt vmcnt(0) lgkmcnt(0)
	v_mul_f64 v[13:14], v[13:14], v[31:32]
	s_cbranch_execz .LBB60_532
	s_branch .LBB60_533
.LBB60_531:
                                        ; implicit-def: $vgpr13_vgpr14
.LBB60_532:
	ds_load_b64 v[13:14], v15
.LBB60_533:
	s_and_saveexec_b32 s4, s1
	s_cbranch_execz .LBB60_537
; %bb.534:
	v_add_nc_u32_e64 v20, 0, 56
	v_add_nc_u32_e32 v31, -7, v0
	s_movk_i32 s5, 0x228
	s_mov_b32 s1, 0
.LBB60_535:                             ; =>This Inner Loop Header: Depth=1
	scratch_load_b64 v[32:33], v20, off
	v_dual_mov_b32 v34, s5 :: v_dual_add_nc_u32 v31, -1, v31
	v_add_nc_u32_e32 v20, 8, v20
	s_add_i32 s5, s5, 8
	ds_load_b64 v[34:35], v34
	v_cmp_eq_u32_e32 vcc_lo, 0, v31
	s_or_b32 s1, vcc_lo, s1
	s_waitcnt vmcnt(0) lgkmcnt(0)
	v_fma_f64 v[13:14], v[32:33], v[34:35], v[13:14]
	s_and_not1_b32 exec_lo, exec_lo, s1
	s_cbranch_execnz .LBB60_535
; %bb.536:
	s_or_b32 exec_lo, exec_lo, s1
.LBB60_537:
	s_delay_alu instid0(SALU_CYCLE_1)
	s_or_b32 exec_lo, exec_lo, s4
	v_mov_b32_e32 v20, 0
	ds_load_b64 v[31:32], v20 offset:48
	s_waitcnt lgkmcnt(0)
	v_mul_f64 v[13:14], v[13:14], v[31:32]
	scratch_store_b64 off, v[13:14], off offset:48
.LBB60_538:
	s_or_b32 exec_lo, exec_lo, s2
	scratch_load_b64 v[13:14], off, off offset:40
	v_cmp_lt_u32_e64 s1, 5, v0
	s_waitcnt vmcnt(0)
	ds_store_b64 v15, v[13:14]
	s_waitcnt lgkmcnt(0)
	s_waitcnt_vscnt null, 0x0
	s_barrier
	buffer_gl0_inv
	s_and_saveexec_b32 s2, s1
	s_cbranch_execz .LBB60_548
; %bb.539:
	s_and_not1_b32 vcc_lo, exec_lo, s3
	s_cbranch_vccnz .LBB60_541
; %bb.540:
	scratch_load_b64 v[13:14], v16, off
	ds_load_b64 v[31:32], v15
	s_waitcnt vmcnt(0) lgkmcnt(0)
	v_mul_f64 v[13:14], v[13:14], v[31:32]
	s_cbranch_execz .LBB60_542
	s_branch .LBB60_543
.LBB60_541:
                                        ; implicit-def: $vgpr13_vgpr14
.LBB60_542:
	ds_load_b64 v[13:14], v15
.LBB60_543:
	s_and_saveexec_b32 s4, s0
	s_cbranch_execz .LBB60_547
; %bb.544:
	v_add_nc_u32_e32 v20, -6, v0
	s_movk_i32 s5, 0x220
	s_mov_b32 s0, 0
.LBB60_545:                             ; =>This Inner Loop Header: Depth=1
	scratch_load_b64 v[31:32], v19, off
	v_dual_mov_b32 v33, s5 :: v_dual_add_nc_u32 v20, -1, v20
	v_add_nc_u32_e32 v19, 8, v19
	s_add_i32 s5, s5, 8
	ds_load_b64 v[33:34], v33
	v_cmp_eq_u32_e32 vcc_lo, 0, v20
	s_or_b32 s0, vcc_lo, s0
	s_waitcnt vmcnt(0) lgkmcnt(0)
	v_fma_f64 v[13:14], v[31:32], v[33:34], v[13:14]
	s_and_not1_b32 exec_lo, exec_lo, s0
	s_cbranch_execnz .LBB60_545
; %bb.546:
	s_or_b32 exec_lo, exec_lo, s0
.LBB60_547:
	s_delay_alu instid0(SALU_CYCLE_1)
	s_or_b32 exec_lo, exec_lo, s4
	v_mov_b32_e32 v19, 0
	ds_load_b64 v[19:20], v19 offset:40
	s_waitcnt lgkmcnt(0)
	v_mul_f64 v[13:14], v[13:14], v[19:20]
	scratch_store_b64 off, v[13:14], off offset:40
.LBB60_548:
	s_or_b32 exec_lo, exec_lo, s2
	scratch_load_b64 v[13:14], off, off offset:32
	v_cmp_lt_u32_e64 s0, 4, v0
	s_waitcnt vmcnt(0)
	ds_store_b64 v15, v[13:14]
	s_waitcnt lgkmcnt(0)
	s_waitcnt_vscnt null, 0x0
	s_barrier
	buffer_gl0_inv
	s_and_saveexec_b32 s2, s0
	s_cbranch_execz .LBB60_558
; %bb.549:
	s_and_not1_b32 vcc_lo, exec_lo, s3
	s_cbranch_vccnz .LBB60_551
; %bb.550:
	scratch_load_b64 v[13:14], v16, off
	ds_load_b64 v[19:20], v15
	s_waitcnt vmcnt(0) lgkmcnt(0)
	v_mul_f64 v[13:14], v[13:14], v[19:20]
	s_cbranch_execz .LBB60_552
	s_branch .LBB60_553
.LBB60_551:
                                        ; implicit-def: $vgpr13_vgpr14
.LBB60_552:
	ds_load_b64 v[13:14], v15
.LBB60_553:
	s_and_saveexec_b32 s4, s1
	s_cbranch_execz .LBB60_557
; %bb.554:
	v_add_nc_u32_e64 v19, 0, 40
	v_add_nc_u32_e32 v20, -5, v0
	s_movk_i32 s5, 0x218
	s_mov_b32 s1, 0
.LBB60_555:                             ; =>This Inner Loop Header: Depth=1
	scratch_load_b64 v[31:32], v19, off
	v_dual_mov_b32 v33, s5 :: v_dual_add_nc_u32 v20, -1, v20
	v_add_nc_u32_e32 v19, 8, v19
	s_add_i32 s5, s5, 8
	ds_load_b64 v[33:34], v33
	v_cmp_eq_u32_e32 vcc_lo, 0, v20
	s_or_b32 s1, vcc_lo, s1
	s_waitcnt vmcnt(0) lgkmcnt(0)
	v_fma_f64 v[13:14], v[31:32], v[33:34], v[13:14]
	s_and_not1_b32 exec_lo, exec_lo, s1
	s_cbranch_execnz .LBB60_555
; %bb.556:
	s_or_b32 exec_lo, exec_lo, s1
.LBB60_557:
	s_delay_alu instid0(SALU_CYCLE_1)
	s_or_b32 exec_lo, exec_lo, s4
	v_mov_b32_e32 v19, 0
	ds_load_b64 v[19:20], v19 offset:32
	s_waitcnt lgkmcnt(0)
	v_mul_f64 v[13:14], v[13:14], v[19:20]
	scratch_store_b64 off, v[13:14], off offset:32
.LBB60_558:
	s_or_b32 exec_lo, exec_lo, s2
	scratch_load_b64 v[13:14], off, off offset:24
	v_cmp_lt_u32_e64 s1, 3, v0
	s_waitcnt vmcnt(0)
	ds_store_b64 v15, v[13:14]
	s_waitcnt lgkmcnt(0)
	s_waitcnt_vscnt null, 0x0
	s_barrier
	buffer_gl0_inv
	s_and_saveexec_b32 s2, s1
	s_cbranch_execz .LBB60_568
; %bb.559:
	s_and_not1_b32 vcc_lo, exec_lo, s3
	s_cbranch_vccnz .LBB60_561
; %bb.560:
	scratch_load_b64 v[13:14], v16, off
	ds_load_b64 v[19:20], v15
	s_waitcnt vmcnt(0) lgkmcnt(0)
	v_mul_f64 v[13:14], v[13:14], v[19:20]
	s_cbranch_execz .LBB60_562
	s_branch .LBB60_563
.LBB60_561:
                                        ; implicit-def: $vgpr13_vgpr14
.LBB60_562:
	ds_load_b64 v[13:14], v15
.LBB60_563:
	s_and_saveexec_b32 s4, s0
	s_cbranch_execz .LBB60_567
; %bb.564:
	v_add_nc_u32_e32 v19, -4, v0
	s_movk_i32 s5, 0x210
	s_mov_b32 s0, 0
.LBB60_565:                             ; =>This Inner Loop Header: Depth=1
	scratch_load_b64 v[31:32], v18, off
	v_dual_mov_b32 v20, s5 :: v_dual_add_nc_u32 v19, -1, v19
	v_add_nc_u32_e32 v18, 8, v18
	s_add_i32 s5, s5, 8
	ds_load_b64 v[33:34], v20
	v_cmp_eq_u32_e32 vcc_lo, 0, v19
	s_or_b32 s0, vcc_lo, s0
	s_waitcnt vmcnt(0) lgkmcnt(0)
	v_fma_f64 v[13:14], v[31:32], v[33:34], v[13:14]
	s_and_not1_b32 exec_lo, exec_lo, s0
	s_cbranch_execnz .LBB60_565
; %bb.566:
	s_or_b32 exec_lo, exec_lo, s0
.LBB60_567:
	s_delay_alu instid0(SALU_CYCLE_1)
	s_or_b32 exec_lo, exec_lo, s4
	v_mov_b32_e32 v18, 0
	ds_load_b64 v[18:19], v18 offset:24
	s_waitcnt lgkmcnt(0)
	v_mul_f64 v[13:14], v[13:14], v[18:19]
	scratch_store_b64 off, v[13:14], off offset:24
.LBB60_568:
	s_or_b32 exec_lo, exec_lo, s2
	scratch_load_b64 v[13:14], off, off offset:16
	v_cmp_lt_u32_e64 s0, 2, v0
	s_waitcnt vmcnt(0)
	ds_store_b64 v15, v[13:14]
	s_waitcnt lgkmcnt(0)
	s_waitcnt_vscnt null, 0x0
	s_barrier
	buffer_gl0_inv
	s_and_saveexec_b32 s2, s0
	s_cbranch_execz .LBB60_578
; %bb.569:
	s_and_not1_b32 vcc_lo, exec_lo, s3
	s_cbranch_vccnz .LBB60_571
; %bb.570:
	scratch_load_b64 v[13:14], v16, off
	ds_load_b64 v[18:19], v15
	s_waitcnt vmcnt(0) lgkmcnt(0)
	v_mul_f64 v[13:14], v[13:14], v[18:19]
	s_cbranch_execz .LBB60_572
	s_branch .LBB60_573
.LBB60_571:
                                        ; implicit-def: $vgpr13_vgpr14
.LBB60_572:
	ds_load_b64 v[13:14], v15
.LBB60_573:
	s_and_saveexec_b32 s4, s1
	s_cbranch_execz .LBB60_577
; %bb.574:
	v_add_nc_u32_e64 v18, 0, 24
	v_add_nc_u32_e32 v19, -3, v0
	s_movk_i32 s5, 0x208
	s_mov_b32 s1, 0
.LBB60_575:                             ; =>This Inner Loop Header: Depth=1
	scratch_load_b64 v[31:32], v18, off
	v_dual_mov_b32 v20, s5 :: v_dual_add_nc_u32 v19, -1, v19
	v_add_nc_u32_e32 v18, 8, v18
	s_add_i32 s5, s5, 8
	ds_load_b64 v[33:34], v20
	v_cmp_eq_u32_e32 vcc_lo, 0, v19
	s_or_b32 s1, vcc_lo, s1
	s_waitcnt vmcnt(0) lgkmcnt(0)
	v_fma_f64 v[13:14], v[31:32], v[33:34], v[13:14]
	s_and_not1_b32 exec_lo, exec_lo, s1
	s_cbranch_execnz .LBB60_575
; %bb.576:
	s_or_b32 exec_lo, exec_lo, s1
.LBB60_577:
	s_delay_alu instid0(SALU_CYCLE_1)
	s_or_b32 exec_lo, exec_lo, s4
	v_mov_b32_e32 v18, 0
	ds_load_b64 v[18:19], v18 offset:16
	s_waitcnt lgkmcnt(0)
	v_mul_f64 v[13:14], v[13:14], v[18:19]
	scratch_store_b64 off, v[13:14], off offset:16
.LBB60_578:
	s_or_b32 exec_lo, exec_lo, s2
	scratch_load_b64 v[13:14], off, off offset:8
	v_cmp_lt_u32_e64 s1, 1, v0
	s_waitcnt vmcnt(0)
	ds_store_b64 v15, v[13:14]
	s_waitcnt lgkmcnt(0)
	s_waitcnt_vscnt null, 0x0
	s_barrier
	buffer_gl0_inv
	s_and_saveexec_b32 s2, s1
	s_cbranch_execz .LBB60_588
; %bb.579:
	s_and_not1_b32 vcc_lo, exec_lo, s3
	s_cbranch_vccnz .LBB60_581
; %bb.580:
	scratch_load_b64 v[13:14], v16, off
	ds_load_b64 v[18:19], v15
	s_waitcnt vmcnt(0) lgkmcnt(0)
	v_mul_f64 v[13:14], v[13:14], v[18:19]
	s_cbranch_execz .LBB60_582
	s_branch .LBB60_583
.LBB60_581:
                                        ; implicit-def: $vgpr13_vgpr14
.LBB60_582:
	ds_load_b64 v[13:14], v15
.LBB60_583:
	s_and_saveexec_b32 s4, s0
	s_cbranch_execz .LBB60_587
; %bb.584:
	v_add_nc_u32_e32 v18, -2, v0
	s_movk_i32 s5, 0x200
	s_mov_b32 s0, 0
.LBB60_585:                             ; =>This Inner Loop Header: Depth=1
	scratch_load_b64 v[19:20], v17, off
	v_dual_mov_b32 v31, s5 :: v_dual_add_nc_u32 v18, -1, v18
	v_add_nc_u32_e32 v17, 8, v17
	s_add_i32 s5, s5, 8
	ds_load_b64 v[31:32], v31
	v_cmp_eq_u32_e32 vcc_lo, 0, v18
	s_or_b32 s0, vcc_lo, s0
	s_waitcnt vmcnt(0) lgkmcnt(0)
	v_fma_f64 v[13:14], v[19:20], v[31:32], v[13:14]
	s_and_not1_b32 exec_lo, exec_lo, s0
	s_cbranch_execnz .LBB60_585
; %bb.586:
	s_or_b32 exec_lo, exec_lo, s0
.LBB60_587:
	s_delay_alu instid0(SALU_CYCLE_1)
	s_or_b32 exec_lo, exec_lo, s4
	v_mov_b32_e32 v17, 0
	ds_load_b64 v[17:18], v17 offset:8
	s_waitcnt lgkmcnt(0)
	v_mul_f64 v[13:14], v[13:14], v[17:18]
	scratch_store_b64 off, v[13:14], off offset:8
.LBB60_588:
	s_or_b32 exec_lo, exec_lo, s2
	scratch_load_b64 v[13:14], off, off
	s_mov_b32 s0, 0
	s_mov_b32 s2, exec_lo
	s_waitcnt vmcnt(0)
	ds_store_b64 v15, v[13:14]
	s_waitcnt lgkmcnt(0)
	s_waitcnt_vscnt null, 0x0
	s_barrier
	buffer_gl0_inv
	v_cmpx_ne_u32_e32 0, v0
	s_cbranch_execz .LBB60_598
; %bb.589:
	s_and_not1_b32 vcc_lo, exec_lo, s3
	s_cbranch_vccnz .LBB60_591
; %bb.590:
	scratch_load_b64 v[13:14], v16, off
	ds_load_b64 v[17:18], v15
	s_waitcnt vmcnt(0) lgkmcnt(0)
	v_mul_f64 v[13:14], v[13:14], v[17:18]
	s_cbranch_execz .LBB60_592
	s_branch .LBB60_593
.LBB60_591:
                                        ; implicit-def: $vgpr13_vgpr14
.LBB60_592:
	ds_load_b64 v[13:14], v15
.LBB60_593:
	s_and_saveexec_b32 s4, s1
	s_cbranch_execz .LBB60_597
; %bb.594:
	v_or_b32_e64 v17, 0, 8
	v_add_nc_u32_e32 v18, -1, v0
	s_movk_i32 s5, 0x1f8
	s_mov_b32 s1, 0
.LBB60_595:                             ; =>This Inner Loop Header: Depth=1
	scratch_load_b64 v[19:20], v17, off
	v_dual_mov_b32 v31, s5 :: v_dual_add_nc_u32 v18, -1, v18
	v_add_nc_u32_e32 v17, 8, v17
	s_add_i32 s5, s5, 8
	ds_load_b64 v[31:32], v31
	v_cmp_eq_u32_e32 vcc_lo, 0, v18
	s_or_b32 s1, vcc_lo, s1
	s_waitcnt vmcnt(0) lgkmcnt(0)
	v_fma_f64 v[13:14], v[19:20], v[31:32], v[13:14]
	s_and_not1_b32 exec_lo, exec_lo, s1
	s_cbranch_execnz .LBB60_595
; %bb.596:
	s_or_b32 exec_lo, exec_lo, s1
.LBB60_597:
	s_delay_alu instid0(SALU_CYCLE_1)
	s_or_b32 exec_lo, exec_lo, s4
	v_mov_b32_e32 v17, 0
	ds_load_b64 v[17:18], v17
	s_waitcnt lgkmcnt(0)
	v_mul_f64 v[13:14], v[13:14], v[17:18]
	scratch_store_b64 off, v[13:14], off
.LBB60_598:
	s_or_b32 exec_lo, exec_lo, s2
.LBB60_599:
	s_delay_alu instid0(SALU_CYCLE_1)
	s_and_b32 vcc_lo, exec_lo, s0
	s_cbranch_vccz .LBB60_1195
; %bb.600:
	scratch_load_b64 v[13:14], off, off offset:8
	v_cmp_eq_u32_e64 s0, 0, v0
	s_waitcnt vmcnt(0)
	ds_store_b64 v15, v[13:14]
	s_waitcnt lgkmcnt(0)
	s_waitcnt_vscnt null, 0x0
	s_barrier
	buffer_gl0_inv
	s_and_saveexec_b32 s1, s0
	s_cbranch_execz .LBB60_606
; %bb.601:
	s_and_b32 vcc_lo, exec_lo, s3
	s_cbranch_vccz .LBB60_603
; %bb.602:
	scratch_load_b64 v[13:14], v16, off
	ds_load_b64 v[17:18], v15
	s_waitcnt vmcnt(0) lgkmcnt(0)
	v_mul_f64 v[13:14], v[13:14], v[17:18]
	s_cbranch_execz .LBB60_604
	s_branch .LBB60_605
.LBB60_603:
                                        ; implicit-def: $vgpr13_vgpr14
.LBB60_604:
	ds_load_b64 v[13:14], v15
.LBB60_605:
	v_mov_b32_e32 v17, 0
	ds_load_b64 v[17:18], v17 offset:8
	s_waitcnt lgkmcnt(0)
	v_mul_f64 v[13:14], v[13:14], v[17:18]
	scratch_store_b64 off, v[13:14], off offset:8
.LBB60_606:
	s_or_b32 exec_lo, exec_lo, s1
	scratch_load_b64 v[13:14], off, off offset:16
	v_cndmask_b32_e64 v17, 0, 1, s3
	s_mov_b32 s1, exec_lo
	s_waitcnt vmcnt(0)
	ds_store_b64 v15, v[13:14]
	s_waitcnt lgkmcnt(0)
	s_waitcnt_vscnt null, 0x0
	s_barrier
	buffer_gl0_inv
	v_cmpx_gt_u32_e32 2, v0
	s_cbranch_execz .LBB60_614
; %bb.607:
	s_and_not1_b32 vcc_lo, exec_lo, s3
	s_cbranch_vccnz .LBB60_609
; %bb.608:
	scratch_load_b64 v[13:14], v16, off
	ds_load_b64 v[18:19], v15
	s_waitcnt vmcnt(0) lgkmcnt(0)
	v_mul_f64 v[13:14], v[13:14], v[18:19]
	s_cbranch_execz .LBB60_610
	s_branch .LBB60_611
.LBB60_609:
                                        ; implicit-def: $vgpr13_vgpr14
.LBB60_610:
	ds_load_b64 v[13:14], v15
.LBB60_611:
	s_and_saveexec_b32 s2, s0
	s_cbranch_execz .LBB60_613
; %bb.612:
	scratch_load_b64 v[18:19], v16, off offset:8
	ds_load_b64 v[31:32], v15 offset:8
	s_waitcnt vmcnt(0) lgkmcnt(0)
	v_fma_f64 v[13:14], v[18:19], v[31:32], v[13:14]
.LBB60_613:
	s_or_b32 exec_lo, exec_lo, s2
	v_mov_b32_e32 v18, 0
	ds_load_b64 v[18:19], v18 offset:16
	s_waitcnt lgkmcnt(0)
	v_mul_f64 v[13:14], v[13:14], v[18:19]
	scratch_store_b64 off, v[13:14], off offset:16
.LBB60_614:
	s_or_b32 exec_lo, exec_lo, s1
	scratch_load_b64 v[13:14], off, off offset:24
	s_mov_b32 s1, exec_lo
	s_waitcnt vmcnt(0)
	ds_store_b64 v15, v[13:14]
	s_waitcnt lgkmcnt(0)
	s_waitcnt_vscnt null, 0x0
	s_barrier
	buffer_gl0_inv
	v_cmpx_gt_u32_e32 3, v0
	s_cbranch_execz .LBB60_624
; %bb.615:
	v_cmp_ne_u32_e32 vcc_lo, 1, v17
	s_cbranch_vccnz .LBB60_617
; %bb.616:
	scratch_load_b64 v[13:14], v16, off
	ds_load_b64 v[18:19], v15
	s_waitcnt vmcnt(0) lgkmcnt(0)
	v_mul_f64 v[13:14], v[13:14], v[18:19]
	s_cbranch_execz .LBB60_618
	s_branch .LBB60_619
.LBB60_617:
                                        ; implicit-def: $vgpr13_vgpr14
.LBB60_618:
	ds_load_b64 v[13:14], v15
.LBB60_619:
	s_mov_b32 s2, exec_lo
	v_cmpx_ne_u32_e32 2, v0
	s_cbranch_execz .LBB60_623
; %bb.620:
	scratch_load_b64 v[18:19], v16, off offset:8
	ds_load_b64 v[31:32], v15 offset:8
	s_waitcnt vmcnt(0) lgkmcnt(0)
	v_fma_f64 v[13:14], v[18:19], v[31:32], v[13:14]
	s_and_saveexec_b32 s3, s0
	s_cbranch_execz .LBB60_622
; %bb.621:
	scratch_load_b64 v[18:19], off, off offset:16
	v_mov_b32_e32 v20, 0
	ds_load_b64 v[31:32], v20 offset:512
	s_waitcnt vmcnt(0) lgkmcnt(0)
	v_fma_f64 v[13:14], v[18:19], v[31:32], v[13:14]
.LBB60_622:
	s_or_b32 exec_lo, exec_lo, s3
.LBB60_623:
	s_delay_alu instid0(SALU_CYCLE_1)
	s_or_b32 exec_lo, exec_lo, s2
	v_mov_b32_e32 v18, 0
	ds_load_b64 v[18:19], v18 offset:24
	s_waitcnt lgkmcnt(0)
	v_mul_f64 v[13:14], v[13:14], v[18:19]
	scratch_store_b64 off, v[13:14], off offset:24
.LBB60_624:
	s_or_b32 exec_lo, exec_lo, s1
	scratch_load_b64 v[13:14], off, off offset:32
	s_mov_b32 s0, exec_lo
	s_waitcnt vmcnt(0)
	ds_store_b64 v15, v[13:14]
	s_waitcnt lgkmcnt(0)
	s_waitcnt_vscnt null, 0x0
	s_barrier
	buffer_gl0_inv
	v_cmpx_gt_u32_e32 4, v0
	s_cbranch_execz .LBB60_634
; %bb.625:
	v_cmp_ne_u32_e32 vcc_lo, 1, v17
	s_cbranch_vccnz .LBB60_627
; %bb.626:
	scratch_load_b64 v[13:14], v16, off
	ds_load_b64 v[18:19], v15
	s_waitcnt vmcnt(0) lgkmcnt(0)
	v_mul_f64 v[13:14], v[13:14], v[18:19]
	s_cbranch_execz .LBB60_628
	s_branch .LBB60_629
.LBB60_627:
                                        ; implicit-def: $vgpr13_vgpr14
.LBB60_628:
	ds_load_b64 v[13:14], v15
.LBB60_629:
	s_mov_b32 s1, exec_lo
	v_cmpx_ne_u32_e32 3, v0
	s_cbranch_execz .LBB60_633
; %bb.630:
	v_add_nc_u32_e32 v18, 0x1f8, v145
	v_add3_u32 v19, 0, v145, 8
	v_mov_b32_e32 v20, v0
	s_mov_b32 s2, 0
.LBB60_631:                             ; =>This Inner Loop Header: Depth=1
	scratch_load_b64 v[31:32], v19, off
	ds_load_b64 v[33:34], v18
	v_add_nc_u32_e32 v20, 1, v20
	v_add_nc_u32_e32 v18, 8, v18
	v_add_nc_u32_e32 v19, 8, v19
	s_delay_alu instid0(VALU_DEP_3)
	v_cmp_lt_u32_e32 vcc_lo, 2, v20
	s_or_b32 s2, vcc_lo, s2
	s_waitcnt vmcnt(0) lgkmcnt(0)
	v_fma_f64 v[13:14], v[31:32], v[33:34], v[13:14]
	s_and_not1_b32 exec_lo, exec_lo, s2
	s_cbranch_execnz .LBB60_631
; %bb.632:
	s_or_b32 exec_lo, exec_lo, s2
.LBB60_633:
	s_delay_alu instid0(SALU_CYCLE_1)
	s_or_b32 exec_lo, exec_lo, s1
	v_mov_b32_e32 v18, 0
	ds_load_b64 v[18:19], v18 offset:32
	s_waitcnt lgkmcnt(0)
	v_mul_f64 v[13:14], v[13:14], v[18:19]
	scratch_store_b64 off, v[13:14], off offset:32
.LBB60_634:
	s_or_b32 exec_lo, exec_lo, s0
	scratch_load_b64 v[13:14], off, off offset:40
	s_mov_b32 s0, exec_lo
	s_waitcnt vmcnt(0)
	ds_store_b64 v15, v[13:14]
	s_waitcnt lgkmcnt(0)
	s_waitcnt_vscnt null, 0x0
	s_barrier
	buffer_gl0_inv
	v_cmpx_gt_u32_e32 5, v0
	s_cbranch_execz .LBB60_644
; %bb.635:
	v_cmp_ne_u32_e32 vcc_lo, 1, v17
	s_cbranch_vccnz .LBB60_637
; %bb.636:
	scratch_load_b64 v[13:14], v16, off
	ds_load_b64 v[18:19], v15
	s_waitcnt vmcnt(0) lgkmcnt(0)
	v_mul_f64 v[13:14], v[13:14], v[18:19]
	s_cbranch_execz .LBB60_638
	s_branch .LBB60_639
.LBB60_637:
                                        ; implicit-def: $vgpr13_vgpr14
.LBB60_638:
	ds_load_b64 v[13:14], v15
.LBB60_639:
	s_mov_b32 s1, exec_lo
	v_cmpx_ne_u32_e32 4, v0
	s_cbranch_execz .LBB60_643
; %bb.640:
	v_add_nc_u32_e32 v18, 0x1f8, v145
	v_add3_u32 v19, 0, v145, 8
	v_mov_b32_e32 v20, v0
	s_mov_b32 s2, 0
.LBB60_641:                             ; =>This Inner Loop Header: Depth=1
	scratch_load_b64 v[31:32], v19, off
	ds_load_b64 v[33:34], v18
	v_add_nc_u32_e32 v20, 1, v20
	v_add_nc_u32_e32 v18, 8, v18
	v_add_nc_u32_e32 v19, 8, v19
	s_delay_alu instid0(VALU_DEP_3)
	v_cmp_lt_u32_e32 vcc_lo, 3, v20
	s_or_b32 s2, vcc_lo, s2
	s_waitcnt vmcnt(0) lgkmcnt(0)
	v_fma_f64 v[13:14], v[31:32], v[33:34], v[13:14]
	s_and_not1_b32 exec_lo, exec_lo, s2
	s_cbranch_execnz .LBB60_641
; %bb.642:
	s_or_b32 exec_lo, exec_lo, s2
.LBB60_643:
	s_delay_alu instid0(SALU_CYCLE_1)
	s_or_b32 exec_lo, exec_lo, s1
	v_mov_b32_e32 v18, 0
	ds_load_b64 v[18:19], v18 offset:40
	s_waitcnt lgkmcnt(0)
	v_mul_f64 v[13:14], v[13:14], v[18:19]
	scratch_store_b64 off, v[13:14], off offset:40
.LBB60_644:
	;; [unrolled: 58-line block ×37, first 2 shown]
	s_or_b32 exec_lo, exec_lo, s0
	scratch_load_b64 v[13:14], off, off offset:328
	s_mov_b32 s0, exec_lo
	s_waitcnt vmcnt(0)
	ds_store_b64 v15, v[13:14]
	s_waitcnt lgkmcnt(0)
	s_waitcnt_vscnt null, 0x0
	s_barrier
	buffer_gl0_inv
	v_cmpx_gt_u32_e32 41, v0
	s_cbranch_execz .LBB60_1004
; %bb.995:
	v_cmp_ne_u32_e32 vcc_lo, 1, v17
	s_cbranch_vccnz .LBB60_997
; %bb.996:
	scratch_load_b64 v[13:14], v16, off
	ds_load_b64 v[18:19], v15
	s_waitcnt vmcnt(0) lgkmcnt(0)
	v_mul_f64 v[13:14], v[13:14], v[18:19]
	s_cbranch_execz .LBB60_998
	s_branch .LBB60_999
.LBB60_997:
                                        ; implicit-def: $vgpr13_vgpr14
.LBB60_998:
	ds_load_b64 v[13:14], v15
.LBB60_999:
	s_mov_b32 s1, exec_lo
	v_cmpx_ne_u32_e32 40, v0
	s_cbranch_execz .LBB60_1003
; %bb.1000:
	v_add_nc_u32_e32 v18, 0x1f8, v145
	v_add3_u32 v19, 0, v145, 8
	v_mov_b32_e32 v20, v0
	s_mov_b32 s2, 0
.LBB60_1001:                            ; =>This Inner Loop Header: Depth=1
	scratch_load_b64 v[31:32], v19, off
	ds_load_b64 v[33:34], v18
	v_add_nc_u32_e32 v20, 1, v20
	v_add_nc_u32_e32 v18, 8, v18
	v_add_nc_u32_e32 v19, 8, v19
	s_delay_alu instid0(VALU_DEP_3)
	v_cmp_lt_u32_e32 vcc_lo, 39, v20
	s_or_b32 s2, vcc_lo, s2
	s_waitcnt vmcnt(0) lgkmcnt(0)
	v_fma_f64 v[13:14], v[31:32], v[33:34], v[13:14]
	s_and_not1_b32 exec_lo, exec_lo, s2
	s_cbranch_execnz .LBB60_1001
; %bb.1002:
	s_or_b32 exec_lo, exec_lo, s2
.LBB60_1003:
	s_delay_alu instid0(SALU_CYCLE_1)
	s_or_b32 exec_lo, exec_lo, s1
	v_mov_b32_e32 v18, 0
	ds_load_b64 v[18:19], v18 offset:328
	s_waitcnt lgkmcnt(0)
	v_mul_f64 v[13:14], v[13:14], v[18:19]
	scratch_store_b64 off, v[13:14], off offset:328
.LBB60_1004:
	s_or_b32 exec_lo, exec_lo, s0
	scratch_load_b64 v[13:14], off, off offset:336
	s_mov_b32 s0, exec_lo
	s_waitcnt vmcnt(0)
	ds_store_b64 v15, v[13:14]
	s_waitcnt lgkmcnt(0)
	s_waitcnt_vscnt null, 0x0
	s_barrier
	buffer_gl0_inv
	v_cmpx_gt_u32_e32 42, v0
	s_cbranch_execz .LBB60_1014
; %bb.1005:
	v_cmp_ne_u32_e32 vcc_lo, 1, v17
	s_cbranch_vccnz .LBB60_1007
; %bb.1006:
	scratch_load_b64 v[13:14], v16, off
	ds_load_b64 v[18:19], v15
	s_waitcnt vmcnt(0) lgkmcnt(0)
	v_mul_f64 v[13:14], v[13:14], v[18:19]
	s_cbranch_execz .LBB60_1008
	s_branch .LBB60_1009
.LBB60_1007:
                                        ; implicit-def: $vgpr13_vgpr14
.LBB60_1008:
	ds_load_b64 v[13:14], v15
.LBB60_1009:
	s_mov_b32 s1, exec_lo
	v_cmpx_ne_u32_e32 41, v0
	s_cbranch_execz .LBB60_1013
; %bb.1010:
	v_add_nc_u32_e32 v18, 0x1f8, v145
	v_add3_u32 v19, 0, v145, 8
	v_mov_b32_e32 v20, v0
	s_mov_b32 s2, 0
.LBB60_1011:                            ; =>This Inner Loop Header: Depth=1
	scratch_load_b64 v[31:32], v19, off
	ds_load_b64 v[33:34], v18
	v_add_nc_u32_e32 v20, 1, v20
	v_add_nc_u32_e32 v18, 8, v18
	v_add_nc_u32_e32 v19, 8, v19
	s_delay_alu instid0(VALU_DEP_3)
	v_cmp_lt_u32_e32 vcc_lo, 40, v20
	s_or_b32 s2, vcc_lo, s2
	s_waitcnt vmcnt(0) lgkmcnt(0)
	v_fma_f64 v[13:14], v[31:32], v[33:34], v[13:14]
	s_and_not1_b32 exec_lo, exec_lo, s2
	s_cbranch_execnz .LBB60_1011
; %bb.1012:
	s_or_b32 exec_lo, exec_lo, s2
.LBB60_1013:
	s_delay_alu instid0(SALU_CYCLE_1)
	s_or_b32 exec_lo, exec_lo, s1
	v_mov_b32_e32 v18, 0
	ds_load_b64 v[18:19], v18 offset:336
	s_waitcnt lgkmcnt(0)
	v_mul_f64 v[13:14], v[13:14], v[18:19]
	scratch_store_b64 off, v[13:14], off offset:336
.LBB60_1014:
	;; [unrolled: 58-line block ×18, first 2 shown]
	s_or_b32 exec_lo, exec_lo, s0
	scratch_load_b64 v[13:14], off, off offset:472
	v_cmp_gt_u32_e64 s0, 59, v0
	s_waitcnt vmcnt(0)
	ds_store_b64 v15, v[13:14]
	s_waitcnt lgkmcnt(0)
	s_waitcnt_vscnt null, 0x0
	s_barrier
	buffer_gl0_inv
	s_and_saveexec_b32 s1, s0
	s_cbranch_execz .LBB60_1184
; %bb.1175:
	v_cmp_ne_u32_e32 vcc_lo, 1, v17
	s_cbranch_vccnz .LBB60_1177
; %bb.1176:
	scratch_load_b64 v[13:14], v16, off
	ds_load_b64 v[18:19], v15
	s_waitcnt vmcnt(0) lgkmcnt(0)
	v_mul_f64 v[13:14], v[13:14], v[18:19]
	s_cbranch_execz .LBB60_1178
	s_branch .LBB60_1179
.LBB60_1177:
                                        ; implicit-def: $vgpr13_vgpr14
.LBB60_1178:
	ds_load_b64 v[13:14], v15
.LBB60_1179:
	s_mov_b32 s2, exec_lo
	v_cmpx_ne_u32_e32 58, v0
	s_cbranch_execz .LBB60_1183
; %bb.1180:
	v_add_nc_u32_e32 v18, 0x1f8, v145
	v_add3_u32 v19, 0, v145, 8
	v_mov_b32_e32 v20, v0
	s_mov_b32 s3, 0
.LBB60_1181:                            ; =>This Inner Loop Header: Depth=1
	scratch_load_b64 v[31:32], v19, off
	ds_load_b64 v[33:34], v18
	v_add_nc_u32_e32 v20, 1, v20
	v_add_nc_u32_e32 v18, 8, v18
	;; [unrolled: 1-line block ×3, first 2 shown]
	s_delay_alu instid0(VALU_DEP_3)
	v_cmp_lt_u32_e32 vcc_lo, 57, v20
	s_or_b32 s3, vcc_lo, s3
	s_waitcnt vmcnt(0) lgkmcnt(0)
	v_fma_f64 v[13:14], v[31:32], v[33:34], v[13:14]
	s_and_not1_b32 exec_lo, exec_lo, s3
	s_cbranch_execnz .LBB60_1181
; %bb.1182:
	s_or_b32 exec_lo, exec_lo, s3
.LBB60_1183:
	s_delay_alu instid0(SALU_CYCLE_1)
	s_or_b32 exec_lo, exec_lo, s2
	v_mov_b32_e32 v18, 0
	ds_load_b64 v[18:19], v18 offset:472
	s_waitcnt lgkmcnt(0)
	v_mul_f64 v[13:14], v[13:14], v[18:19]
	scratch_store_b64 off, v[13:14], off offset:472
.LBB60_1184:
	s_or_b32 exec_lo, exec_lo, s1
	scratch_load_b64 v[13:14], off, off offset:480
	s_mov_b32 s1, exec_lo
	s_waitcnt vmcnt(0)
	ds_store_b64 v15, v[13:14]
	s_waitcnt lgkmcnt(0)
	s_waitcnt_vscnt null, 0x0
	s_barrier
	buffer_gl0_inv
	v_cmpx_ne_u32_e32 60, v0
	s_cbranch_execz .LBB60_1194
; %bb.1185:
	v_cmp_ne_u32_e32 vcc_lo, 1, v17
	s_cbranch_vccnz .LBB60_1187
; %bb.1186:
	scratch_load_b64 v[13:14], v16, off
	ds_load_b64 v[16:17], v15
	s_waitcnt vmcnt(0) lgkmcnt(0)
	v_mul_f64 v[13:14], v[13:14], v[16:17]
	s_cbranch_execz .LBB60_1188
	s_branch .LBB60_1189
.LBB60_1187:
                                        ; implicit-def: $vgpr13_vgpr14
.LBB60_1188:
	ds_load_b64 v[13:14], v15
.LBB60_1189:
	s_and_saveexec_b32 s2, s0
	s_cbranch_execz .LBB60_1193
; %bb.1190:
	v_add_nc_u32_e32 v15, 0x1f8, v145
	v_add3_u32 v16, 0, v145, 8
	s_mov_b32 s0, 0
.LBB60_1191:                            ; =>This Inner Loop Header: Depth=1
	scratch_load_b64 v[17:18], v16, off
	ds_load_b64 v[19:20], v15
	v_add_nc_u32_e32 v0, 1, v0
	v_add_nc_u32_e32 v15, 8, v15
	;; [unrolled: 1-line block ×3, first 2 shown]
	s_delay_alu instid0(VALU_DEP_3)
	v_cmp_lt_u32_e32 vcc_lo, 58, v0
	s_or_b32 s0, vcc_lo, s0
	s_waitcnt vmcnt(0) lgkmcnt(0)
	v_fma_f64 v[13:14], v[17:18], v[19:20], v[13:14]
	s_and_not1_b32 exec_lo, exec_lo, s0
	s_cbranch_execnz .LBB60_1191
; %bb.1192:
	s_or_b32 exec_lo, exec_lo, s0
.LBB60_1193:
	s_delay_alu instid0(SALU_CYCLE_1)
	s_or_b32 exec_lo, exec_lo, s2
	v_mov_b32_e32 v0, 0
	ds_load_b64 v[15:16], v0 offset:480
	s_waitcnt lgkmcnt(0)
	v_mul_f64 v[13:14], v[13:14], v[15:16]
	scratch_store_b64 off, v[13:14], off offset:480
.LBB60_1194:
	s_or_b32 exec_lo, exec_lo, s1
.LBB60_1195:
	s_clause 0xa
	scratch_load_b128 v[13:16], off, off
	scratch_load_b128 v[17:20], off, off offset:16
	scratch_load_b128 v[31:34], off, off offset:32
	;; [unrolled: 1-line block ×10, first 2 shown]
	s_waitcnt vmcnt(10)
	s_clause 0x1
	global_store_b64 v[47:48], v[13:14], off
	global_store_b64 v[51:52], v[15:16], off
	scratch_load_b128 v[13:16], off, off offset:176
	s_waitcnt vmcnt(10)
	s_clause 0x1
	global_store_b64 v[45:46], v[17:18], off
	global_store_b64 v[49:50], v[19:20], off
	s_waitcnt vmcnt(9)
	s_clause 0x1
	global_store_b64 v[53:54], v[31:32], off
	global_store_b64 v[55:56], v[33:34], off
	;; [unrolled: 4-line block ×9, first 2 shown]
	s_clause 0x12
	scratch_load_b128 v[43:46], off, off offset:192
	scratch_load_b128 v[17:20], off, off offset:208
	;; [unrolled: 1-line block ×18, first 2 shown]
	scratch_load_b64 v[89:90], off, off offset:480
	s_waitcnt vmcnt(20)
	s_clause 0x1
	global_store_b64 v[79:80], v[165:166], off
	global_store_b64 v[81:82], v[167:168], off
	s_waitcnt vmcnt(19)
	s_clause 0x1
	global_store_b64 v[87:88], v[13:14], off
	global_store_b64 v[91:92], v[15:16], off
	;; [unrolled: 4-line block ×20, first 2 shown]
	s_waitcnt vmcnt(0)
	global_store_b64 v[29:30], v[89:90], off
.LBB60_1196:
	s_endpgm
	.section	.rodata,"a",@progbits
	.p2align	6, 0x0
	.amdhsa_kernel _ZN9rocsolver6v33100L18trti2_kernel_smallILi61EdPdEEv13rocblas_fill_17rocblas_diagonal_T1_iil
		.amdhsa_group_segment_fixed_size 984
		.amdhsa_private_segment_fixed_size 496
		.amdhsa_kernarg_size 32
		.amdhsa_user_sgpr_count 15
		.amdhsa_user_sgpr_dispatch_ptr 0
		.amdhsa_user_sgpr_queue_ptr 0
		.amdhsa_user_sgpr_kernarg_segment_ptr 1
		.amdhsa_user_sgpr_dispatch_id 0
		.amdhsa_user_sgpr_private_segment_size 0
		.amdhsa_wavefront_size32 1
		.amdhsa_uses_dynamic_stack 0
		.amdhsa_enable_private_segment 1
		.amdhsa_system_sgpr_workgroup_id_x 1
		.amdhsa_system_sgpr_workgroup_id_y 0
		.amdhsa_system_sgpr_workgroup_id_z 0
		.amdhsa_system_sgpr_workgroup_info 0
		.amdhsa_system_vgpr_workitem_id 0
		.amdhsa_next_free_vgpr 169
		.amdhsa_next_free_sgpr 28
		.amdhsa_reserve_vcc 1
		.amdhsa_float_round_mode_32 0
		.amdhsa_float_round_mode_16_64 0
		.amdhsa_float_denorm_mode_32 3
		.amdhsa_float_denorm_mode_16_64 3
		.amdhsa_dx10_clamp 1
		.amdhsa_ieee_mode 1
		.amdhsa_fp16_overflow 0
		.amdhsa_workgroup_processor_mode 1
		.amdhsa_memory_ordered 1
		.amdhsa_forward_progress 0
		.amdhsa_shared_vgpr_count 0
		.amdhsa_exception_fp_ieee_invalid_op 0
		.amdhsa_exception_fp_denorm_src 0
		.amdhsa_exception_fp_ieee_div_zero 0
		.amdhsa_exception_fp_ieee_overflow 0
		.amdhsa_exception_fp_ieee_underflow 0
		.amdhsa_exception_fp_ieee_inexact 0
		.amdhsa_exception_int_div_zero 0
	.end_amdhsa_kernel
	.section	.text._ZN9rocsolver6v33100L18trti2_kernel_smallILi61EdPdEEv13rocblas_fill_17rocblas_diagonal_T1_iil,"axG",@progbits,_ZN9rocsolver6v33100L18trti2_kernel_smallILi61EdPdEEv13rocblas_fill_17rocblas_diagonal_T1_iil,comdat
.Lfunc_end60:
	.size	_ZN9rocsolver6v33100L18trti2_kernel_smallILi61EdPdEEv13rocblas_fill_17rocblas_diagonal_T1_iil, .Lfunc_end60-_ZN9rocsolver6v33100L18trti2_kernel_smallILi61EdPdEEv13rocblas_fill_17rocblas_diagonal_T1_iil
                                        ; -- End function
	.section	.AMDGPU.csdata,"",@progbits
; Kernel info:
; codeLenInByte = 33472
; NumSgprs: 30
; NumVgprs: 169
; ScratchSize: 496
; MemoryBound: 0
; FloatMode: 240
; IeeeMode: 1
; LDSByteSize: 984 bytes/workgroup (compile time only)
; SGPRBlocks: 3
; VGPRBlocks: 21
; NumSGPRsForWavesPerEU: 30
; NumVGPRsForWavesPerEU: 169
; Occupancy: 8
; WaveLimiterHint : 0
; COMPUTE_PGM_RSRC2:SCRATCH_EN: 1
; COMPUTE_PGM_RSRC2:USER_SGPR: 15
; COMPUTE_PGM_RSRC2:TRAP_HANDLER: 0
; COMPUTE_PGM_RSRC2:TGID_X_EN: 1
; COMPUTE_PGM_RSRC2:TGID_Y_EN: 0
; COMPUTE_PGM_RSRC2:TGID_Z_EN: 0
; COMPUTE_PGM_RSRC2:TIDIG_COMP_CNT: 0
	.section	.text._ZN9rocsolver6v33100L18trti2_kernel_smallILi62EdPdEEv13rocblas_fill_17rocblas_diagonal_T1_iil,"axG",@progbits,_ZN9rocsolver6v33100L18trti2_kernel_smallILi62EdPdEEv13rocblas_fill_17rocblas_diagonal_T1_iil,comdat
	.globl	_ZN9rocsolver6v33100L18trti2_kernel_smallILi62EdPdEEv13rocblas_fill_17rocblas_diagonal_T1_iil ; -- Begin function _ZN9rocsolver6v33100L18trti2_kernel_smallILi62EdPdEEv13rocblas_fill_17rocblas_diagonal_T1_iil
	.p2align	8
	.type	_ZN9rocsolver6v33100L18trti2_kernel_smallILi62EdPdEEv13rocblas_fill_17rocblas_diagonal_T1_iil,@function
_ZN9rocsolver6v33100L18trti2_kernel_smallILi62EdPdEEv13rocblas_fill_17rocblas_diagonal_T1_iil: ; @_ZN9rocsolver6v33100L18trti2_kernel_smallILi62EdPdEEv13rocblas_fill_17rocblas_diagonal_T1_iil
; %bb.0:
	s_mov_b32 s2, exec_lo
	v_cmpx_gt_u32_e32 62, v0
	s_cbranch_execz .LBB61_1216
; %bb.1:
	s_load_b256 s[0:7], s[0:1], 0x0
	s_ashr_i32 s8, s15, 31
	v_lshlrev_b32_e32 v127, 3, v0
	s_waitcnt lgkmcnt(0)
	v_add3_u32 v1, s5, s5, v0
	s_mul_i32 s7, s15, s7
	s_mul_hi_u32 s10, s15, s6
	s_ashr_i32 s9, s4, 31
	s_mul_i32 s11, s8, s6
	v_add_nc_u32_e32 v3, s5, v1
	s_mov_b32 s8, s4
	s_add_i32 s4, s10, s7
	s_mul_i32 s6, s15, s6
	s_add_i32 s7, s4, s11
	v_add_nc_u32_e32 v5, s5, v3
	s_lshl_b64 s[6:7], s[6:7], 3
	v_ashrrev_i32_e32 v2, 31, v1
	s_add_u32 s4, s2, s6
	s_addc_u32 s6, s3, s7
	v_add_nc_u32_e32 v7, s5, v5
	s_lshl_b64 s[2:3], s[8:9], 3
	s_mov_b32 s10, s5
	s_add_u32 s2, s4, s2
	s_addc_u32 s3, s6, s3
	v_add_co_u32 v25, s4, s2, v127
	v_add_nc_u32_e32 v9, s5, v7
	s_ashr_i32 s11, s5, 31
	v_ashrrev_i32_e32 v4, 31, v3
	v_lshlrev_b64 v[1:2], 3, v[1:2]
	v_add_co_ci_u32_e64 v26, null, s3, 0, s4
	s_lshl_b64 s[6:7], s[10:11], 3
	v_ashrrev_i32_e32 v6, 31, v5
	v_add_co_u32 v33, vcc_lo, v25, s6
	v_add_nc_u32_e32 v13, s5, v9
	v_add_co_ci_u32_e32 v34, vcc_lo, s7, v26, vcc_lo
	v_lshlrev_b64 v[3:4], 3, v[3:4]
	v_add_co_u32 v15, vcc_lo, s2, v1
	v_add_co_ci_u32_e32 v16, vcc_lo, s3, v2, vcc_lo
	v_lshlrev_b64 v[1:2], 3, v[5:6]
	v_ashrrev_i32_e32 v8, 31, v7
	v_add_nc_u32_e32 v5, s5, v13
	v_add_co_u32 v27, vcc_lo, s2, v3
	v_ashrrev_i32_e32 v10, 31, v9
	v_add_co_ci_u32_e32 v28, vcc_lo, s3, v4, vcc_lo
	v_lshlrev_b64 v[3:4], 3, v[7:8]
	v_add_nc_u32_e32 v7, s5, v5
	v_add_co_u32 v11, vcc_lo, s2, v1
	s_clause 0x1
	global_load_b64 v[45:46], v127, s[2:3]
	global_load_b64 v[47:48], v[33:34], off
	v_add_co_ci_u32_e32 v12, vcc_lo, s3, v2, vcc_lo
	v_lshlrev_b64 v[1:2], 3, v[9:10]
	v_ashrrev_i32_e32 v14, 31, v13
	v_add_nc_u32_e32 v9, s5, v7
	v_add_co_u32 v17, vcc_lo, s2, v3
	v_ashrrev_i32_e32 v6, 31, v5
	v_add_co_ci_u32_e32 v18, vcc_lo, s3, v4, vcc_lo
	v_lshlrev_b64 v[3:4], 3, v[13:14]
	v_add_co_u32 v13, vcc_lo, s2, v1
	v_ashrrev_i32_e32 v8, 31, v7
	v_add_nc_u32_e32 v19, s5, v9
	v_add_co_ci_u32_e32 v14, vcc_lo, s3, v2, vcc_lo
	v_lshlrev_b64 v[1:2], 3, v[5:6]
	v_ashrrev_i32_e32 v10, 31, v9
	v_add_co_u32 v21, vcc_lo, s2, v3
	v_lshlrev_b64 v[5:6], 3, v[7:8]
	s_clause 0x3
	global_load_b64 v[55:56], v[15:16], off
	global_load_b64 v[57:58], v[27:28], off
	;; [unrolled: 1-line block ×4, first 2 shown]
	v_ashrrev_i32_e32 v20, 31, v19
	v_add_co_ci_u32_e32 v22, vcc_lo, s3, v4, vcc_lo
	v_add_co_u32 v3, vcc_lo, s2, v1
	v_lshlrev_b64 v[7:8], 3, v[9:10]
	v_add_co_ci_u32_e32 v4, vcc_lo, s3, v2, vcc_lo
	v_add_co_u32 v5, vcc_lo, s2, v5
	v_lshlrev_b64 v[9:10], 3, v[19:20]
	v_add_co_ci_u32_e32 v6, vcc_lo, s3, v6, vcc_lo
	v_add_co_u32 v7, vcc_lo, s2, v7
	v_add_co_ci_u32_e32 v8, vcc_lo, s3, v8, vcc_lo
	s_delay_alu instid0(VALU_DEP_4)
	v_add_co_u32 v9, vcc_lo, s2, v9
	v_add_co_ci_u32_e32 v10, vcc_lo, s3, v10, vcc_lo
	s_clause 0x5
	global_load_b64 v[63:64], v[13:14], off
	global_load_b64 v[65:66], v[21:22], off
	;; [unrolled: 1-line block ×6, first 2 shown]
	v_add_nc_u32_e32 v23, s5, v19
	s_cmpk_lg_i32 s1, 0x84
	s_delay_alu instid0(VALU_DEP_1) | instskip(SKIP_1) | instid1(VALU_DEP_2)
	v_add_nc_u32_e32 v29, s5, v23
	v_ashrrev_i32_e32 v24, 31, v23
	v_add_nc_u32_e32 v31, s5, v29
	s_delay_alu instid0(VALU_DEP_2) | instskip(SKIP_1) | instid1(VALU_DEP_3)
	v_lshlrev_b64 v[23:24], 3, v[23:24]
	v_ashrrev_i32_e32 v30, 31, v29
	v_add_nc_u32_e32 v1, s5, v31
	v_ashrrev_i32_e32 v32, 31, v31
	s_delay_alu instid0(VALU_DEP_4) | instskip(SKIP_1) | instid1(VALU_DEP_4)
	v_add_co_u32 v43, vcc_lo, s2, v23
	v_add_co_ci_u32_e32 v44, vcc_lo, s3, v24, vcc_lo
	v_add_nc_u32_e32 v37, s5, v1
	v_lshlrev_b64 v[23:24], 3, v[29:30]
	v_ashrrev_i32_e32 v2, 31, v1
	v_lshlrev_b64 v[29:30], 3, v[31:32]
	global_load_b64 v[75:76], v[43:44], off
	v_add_nc_u32_e32 v39, s5, v37
	v_ashrrev_i32_e32 v38, 31, v37
	v_add_co_u32 v53, vcc_lo, s2, v23
	v_lshlrev_b64 v[1:2], 3, v[1:2]
	s_delay_alu instid0(VALU_DEP_4) | instskip(SKIP_2) | instid1(VALU_DEP_3)
	v_add_nc_u32_e32 v41, s5, v39
	v_add_co_ci_u32_e32 v54, vcc_lo, s3, v24, vcc_lo
	v_add_co_u32 v35, vcc_lo, s2, v29
	v_add_nc_u32_e32 v19, s5, v41
	global_load_b64 v[77:78], v[53:54], off
	v_add_co_ci_u32_e32 v36, vcc_lo, s3, v30, vcc_lo
	v_lshlrev_b64 v[29:30], 3, v[37:38]
	v_add_nc_u32_e32 v49, s5, v19
	v_ashrrev_i32_e32 v40, 31, v39
	v_add_co_u32 v51, vcc_lo, s2, v1
	v_add_co_ci_u32_e32 v52, vcc_lo, s3, v2, vcc_lo
	s_delay_alu instid0(VALU_DEP_4) | instskip(SKIP_3) | instid1(VALU_DEP_4)
	v_add_nc_u32_e32 v87, s5, v49
	v_ashrrev_i32_e32 v42, 31, v41
	v_lshlrev_b64 v[31:32], 3, v[39:40]
	v_add_co_u32 v29, vcc_lo, s2, v29
	v_add_nc_u32_e32 v95, s5, v87
	v_add_co_ci_u32_e32 v30, vcc_lo, s3, v30, vcc_lo
	v_ashrrev_i32_e32 v20, 31, v19
	v_ashrrev_i32_e32 v50, 31, v49
	s_delay_alu instid0(VALU_DEP_4) | instskip(SKIP_3) | instid1(VALU_DEP_4)
	v_add_nc_u32_e32 v97, s5, v95
	v_ashrrev_i32_e32 v88, 31, v87
	v_ashrrev_i32_e32 v96, 31, v95
	v_lshlrev_b64 v[19:20], 3, v[19:20]
	v_add_nc_u32_e32 v99, s5, v97
	s_delay_alu instid0(VALU_DEP_4) | instskip(SKIP_1) | instid1(VALU_DEP_3)
	v_lshlrev_b64 v[37:38], 3, v[87:88]
	v_ashrrev_i32_e32 v98, 31, v97
	v_add_nc_u32_e32 v101, s5, v99
	v_ashrrev_i32_e32 v100, 31, v99
	s_delay_alu instid0(VALU_DEP_2) | instskip(SKIP_1) | instid1(VALU_DEP_2)
	v_add_nc_u32_e32 v103, s5, v101
	v_ashrrev_i32_e32 v102, 31, v101
	v_add_nc_u32_e32 v105, s5, v103
	v_ashrrev_i32_e32 v104, 31, v103
	s_delay_alu instid0(VALU_DEP_2) | instskip(SKIP_1) | instid1(VALU_DEP_2)
	v_add_nc_u32_e32 v107, s5, v105
	;; [unrolled: 5-line block ×18, first 2 shown]
	v_ashrrev_i32_e32 v175, 31, v174
	v_add_nc_u32_e32 v23, s5, v176
	v_ashrrev_i32_e32 v177, 31, v176
	s_delay_alu instid0(VALU_DEP_2) | instskip(NEXT) | instid1(VALU_DEP_1)
	v_ashrrev_i32_e32 v24, 31, v23
	v_lshlrev_b64 v[1:2], 3, v[23:24]
	v_lshlrev_b64 v[23:24], 3, v[41:42]
	s_delay_alu instid0(VALU_DEP_2) | instskip(NEXT) | instid1(VALU_DEP_3)
	v_add_co_u32 v1, vcc_lo, s2, v1
	v_add_co_ci_u32_e32 v2, vcc_lo, s3, v2, vcc_lo
	v_add_co_u32 v39, vcc_lo, s2, v31
	v_add_co_ci_u32_e32 v40, vcc_lo, s3, v32, vcc_lo
	;; [unrolled: 2-line block ×3, first 2 shown]
	v_lshlrev_b64 v[23:24], 3, v[49:50]
	v_add_co_u32 v41, vcc_lo, s2, v19
	v_add_co_ci_u32_e32 v42, vcc_lo, s3, v20, vcc_lo
	s_waitcnt vmcnt(12)
	scratch_store_b128 off, v[45:48], off
	v_add_co_u32 v19, vcc_lo, s2, v23
	v_add_co_ci_u32_e32 v20, vcc_lo, s3, v24, vcc_lo
	s_clause 0x4
	global_load_b64 v[130:131], v[1:2], off
	global_load_b64 v[79:80], v[35:36], off
	;; [unrolled: 1-line block ×5, first 2 shown]
	v_add_co_u32 v23, vcc_lo, s2, v37
	v_add_co_ci_u32_e32 v24, vcc_lo, s3, v38, vcc_lo
	v_lshlrev_b64 v[37:38], 3, v[95:96]
	v_lshlrev_b64 v[45:46], 3, v[97:98]
	v_lshlrev_b64 v[47:48], 3, v[99:100]
	s_waitcnt vmcnt(15)
	scratch_store_b128 off, v[55:58], off offset:16
	s_waitcnt vmcnt(13)
	scratch_store_b128 off, v[59:62], off offset:32
	v_lshlrev_b64 v[49:50], 3, v[101:102]
	v_add_co_u32 v37, vcc_lo, s2, v37
	v_add_co_ci_u32_e32 v38, vcc_lo, s3, v38, vcc_lo
	v_add_co_u32 v45, vcc_lo, s2, v45
	s_clause 0x3
	global_load_b64 v[87:88], v[31:32], off
	global_load_b64 v[89:90], v[41:42], off
	;; [unrolled: 1-line block ×4, first 2 shown]
	v_add_co_ci_u32_e32 v46, vcc_lo, s3, v46, vcc_lo
	v_add_co_u32 v47, vcc_lo, s2, v47
	v_lshlrev_b64 v[55:56], 3, v[103:104]
	v_add_co_ci_u32_e32 v48, vcc_lo, s3, v48, vcc_lo
	v_add_co_u32 v49, vcc_lo, s2, v49
	v_lshlrev_b64 v[57:58], 3, v[105:106]
	v_add_co_ci_u32_e32 v50, vcc_lo, s3, v50, vcc_lo
	v_add_co_u32 v55, vcc_lo, s2, v55
	v_add_co_ci_u32_e32 v56, vcc_lo, s3, v56, vcc_lo
	s_delay_alu instid0(VALU_DEP_4)
	v_add_co_u32 v57, vcc_lo, s2, v57
	v_add_co_ci_u32_e32 v58, vcc_lo, s3, v58, vcc_lo
	s_waitcnt vmcnt(15)
	scratch_store_b128 off, v[63:66], off offset:48
	s_waitcnt vmcnt(13)
	scratch_store_b128 off, v[67:70], off offset:64
	s_clause 0x3
	global_load_b64 v[95:96], v[37:38], off
	global_load_b64 v[97:98], v[45:46], off
	;; [unrolled: 1-line block ×4, first 2 shown]
	s_waitcnt vmcnt(15)
	scratch_store_b128 off, v[71:74], off offset:80
	s_clause 0x1
	global_load_b64 v[103:104], v[55:56], off
	global_load_b64 v[105:106], v[57:58], off
	v_lshlrev_b64 v[59:60], 3, v[107:108]
	v_lshlrev_b64 v[61:62], 3, v[109:110]
	;; [unrolled: 1-line block ×6, first 2 shown]
	v_add_co_u32 v59, vcc_lo, s2, v59
	v_add_co_ci_u32_e32 v60, vcc_lo, s3, v60, vcc_lo
	v_add_co_u32 v61, vcc_lo, s2, v61
	v_add_co_ci_u32_e32 v62, vcc_lo, s3, v62, vcc_lo
	;; [unrolled: 2-line block ×4, first 2 shown]
	v_add_co_u32 v67, vcc_lo, s2, v67
	v_lshlrev_b64 v[71:72], 3, v[119:120]
	v_add_co_ci_u32_e32 v68, vcc_lo, s3, v68, vcc_lo
	v_add_co_u32 v69, vcc_lo, s2, v69
	v_lshlrev_b64 v[73:74], 3, v[121:122]
	s_clause 0x1
	global_load_b64 v[107:108], v[59:60], off
	global_load_b64 v[109:110], v[61:62], off
	v_add_co_ci_u32_e32 v70, vcc_lo, s3, v70, vcc_lo
	s_waitcnt vmcnt(17)
	scratch_store_b128 off, v[75:78], off offset:96
	v_add_co_u32 v71, vcc_lo, s2, v71
	v_lshlrev_b64 v[75:76], 3, v[123:124]
	v_add_co_ci_u32_e32 v72, vcc_lo, s3, v72, vcc_lo
	v_add_co_u32 v73, vcc_lo, s2, v73
	v_lshlrev_b64 v[77:78], 3, v[125:126]
	v_add_co_ci_u32_e32 v74, vcc_lo, s3, v74, vcc_lo
	v_add_co_u32 v75, vcc_lo, s2, v75
	v_add_co_ci_u32_e32 v76, vcc_lo, s3, v76, vcc_lo
	s_delay_alu instid0(VALU_DEP_4)
	v_add_co_u32 v77, vcc_lo, s2, v77
	v_add_co_ci_u32_e32 v78, vcc_lo, s3, v78, vcc_lo
	s_waitcnt vmcnt(14)
	scratch_store_b128 off, v[79:82], off offset:112
	s_waitcnt vmcnt(12)
	scratch_store_b128 off, v[83:86], off offset:128
	s_clause 0x3
	global_load_b64 v[111:112], v[63:64], off
	global_load_b64 v[113:114], v[65:66], off
	global_load_b64 v[115:116], v[67:68], off
	global_load_b64 v[117:118], v[69:70], off
	v_lshlrev_b64 v[79:80], 3, v[128:129]
	v_lshlrev_b64 v[81:82], 3, v[132:133]
	v_lshlrev_b64 v[83:84], 3, v[134:135]
	s_waitcnt vmcnt(14)
	scratch_store_b128 off, v[87:90], off offset:144
	s_waitcnt vmcnt(12)
	scratch_store_b128 off, v[91:94], off offset:160
	v_add_co_u32 v79, vcc_lo, s2, v79
	v_add_co_ci_u32_e32 v80, vcc_lo, s3, v80, vcc_lo
	v_add_co_u32 v81, vcc_lo, s2, v81
	v_lshlrev_b64 v[85:86], 3, v[136:137]
	s_clause 0x3
	global_load_b64 v[119:120], v[71:72], off
	global_load_b64 v[121:122], v[73:74], off
	;; [unrolled: 1-line block ×4, first 2 shown]
	v_add_co_ci_u32_e32 v82, vcc_lo, s3, v82, vcc_lo
	v_add_co_u32 v83, vcc_lo, s2, v83
	v_lshlrev_b64 v[87:88], 3, v[140:141]
	v_add_co_ci_u32_e32 v84, vcc_lo, s3, v84, vcc_lo
	v_add_co_u32 v85, vcc_lo, s2, v85
	v_lshlrev_b64 v[89:90], 3, v[142:143]
	v_add_co_ci_u32_e32 v86, vcc_lo, s3, v86, vcc_lo
	v_add_co_u32 v87, vcc_lo, s2, v87
	v_add_co_ci_u32_e32 v88, vcc_lo, s3, v88, vcc_lo
	s_delay_alu instid0(VALU_DEP_4)
	v_add_co_u32 v89, vcc_lo, s2, v89
	v_add_co_ci_u32_e32 v90, vcc_lo, s3, v90, vcc_lo
	s_waitcnt vmcnt(14)
	scratch_store_b128 off, v[95:98], off offset:176
	s_waitcnt vmcnt(12)
	scratch_store_b128 off, v[99:102], off offset:192
	s_clause 0x3
	global_load_b64 v[132:133], v[79:80], off
	global_load_b64 v[134:135], v[81:82], off
	;; [unrolled: 1-line block ×4, first 2 shown]
	s_waitcnt vmcnt(14)
	scratch_store_b128 off, v[103:106], off offset:208
	s_clause 0x1
	global_load_b64 v[140:141], v[87:88], off
	global_load_b64 v[142:143], v[89:90], off
	v_lshlrev_b64 v[91:92], 3, v[144:145]
	v_lshlrev_b64 v[93:94], 3, v[146:147]
	;; [unrolled: 1-line block ×6, first 2 shown]
	v_add_co_u32 v91, vcc_lo, s2, v91
	v_add_co_ci_u32_e32 v92, vcc_lo, s3, v92, vcc_lo
	v_add_co_u32 v93, vcc_lo, s2, v93
	v_add_co_ci_u32_e32 v94, vcc_lo, s3, v94, vcc_lo
	;; [unrolled: 2-line block ×4, first 2 shown]
	v_add_co_u32 v99, vcc_lo, s2, v99
	v_lshlrev_b64 v[103:104], 3, v[156:157]
	v_add_co_ci_u32_e32 v100, vcc_lo, s3, v100, vcc_lo
	v_add_co_u32 v101, vcc_lo, s2, v101
	v_lshlrev_b64 v[105:106], 3, v[158:159]
	v_add_co_ci_u32_e32 v102, vcc_lo, s3, v102, vcc_lo
	s_waitcnt vmcnt(14)
	scratch_store_b128 off, v[107:110], off offset:224
	v_add_co_u32 v103, vcc_lo, s2, v103
	v_lshlrev_b64 v[107:108], 3, v[160:161]
	v_add_co_ci_u32_e32 v104, vcc_lo, s3, v104, vcc_lo
	v_add_co_u32 v105, vcc_lo, s2, v105
	v_lshlrev_b64 v[109:110], 3, v[162:163]
	v_add_co_ci_u32_e32 v106, vcc_lo, s3, v106, vcc_lo
	global_load_b64 v[144:145], v[91:92], off
	v_add_co_u32 v107, vcc_lo, s2, v107
	v_add_co_ci_u32_e32 v108, vcc_lo, s3, v108, vcc_lo
	v_add_co_u32 v109, vcc_lo, s2, v109
	v_add_co_ci_u32_e32 v110, vcc_lo, s3, v110, vcc_lo
	s_waitcnt vmcnt(13)
	scratch_store_b128 off, v[111:114], off offset:240
	s_waitcnt vmcnt(11)
	scratch_store_b128 off, v[115:118], off offset:256
	v_lshlrev_b64 v[111:112], 3, v[164:165]
	v_lshlrev_b64 v[113:114], 3, v[166:167]
	;; [unrolled: 1-line block ×4, first 2 shown]
	s_clause 0x3
	global_load_b64 v[146:147], v[93:94], off
	global_load_b64 v[148:149], v[95:96], off
	;; [unrolled: 1-line block ×4, first 2 shown]
	s_waitcnt vmcnt(13)
	scratch_store_b128 off, v[119:122], off offset:272
	s_waitcnt vmcnt(11)
	scratch_store_b128 off, v[123:126], off offset:288
	v_add_co_u32 v111, vcc_lo, s2, v111
	v_add_co_ci_u32_e32 v112, vcc_lo, s3, v112, vcc_lo
	v_add_co_u32 v113, vcc_lo, s2, v113
	v_add_co_ci_u32_e32 v114, vcc_lo, s3, v114, vcc_lo
	v_add_co_u32 v115, vcc_lo, s2, v115
	v_lshlrev_b64 v[119:120], 3, v[172:173]
	v_add_co_ci_u32_e32 v116, vcc_lo, s3, v116, vcc_lo
	v_add_co_u32 v117, vcc_lo, s2, v117
	v_add_co_ci_u32_e32 v118, vcc_lo, s3, v118, vcc_lo
	v_lshlrev_b64 v[123:124], 3, v[174:175]
	v_add_co_u32 v121, vcc_lo, s2, v119
	v_add_co_ci_u32_e32 v122, vcc_lo, s3, v120, vcc_lo
	v_lshlrev_b64 v[119:120], 3, v[176:177]
	s_delay_alu instid0(VALU_DEP_4)
	v_add_co_u32 v123, vcc_lo, s2, v123
	v_add_co_ci_u32_e32 v124, vcc_lo, s3, v124, vcc_lo
	s_clause 0x3
	global_load_b64 v[154:155], v[101:102], off
	global_load_b64 v[156:157], v[103:104], off
	;; [unrolled: 1-line block ×4, first 2 shown]
	v_add_co_u32 v119, vcc_lo, s2, v119
	s_waitcnt vmcnt(13)
	scratch_store_b128 off, v[132:135], off offset:304
	s_waitcnt vmcnt(11)
	scratch_store_b128 off, v[136:139], off offset:320
	v_add_co_ci_u32_e32 v120, vcc_lo, s3, v120, vcc_lo
	s_clause 0x3
	global_load_b64 v[162:163], v[109:110], off
	global_load_b64 v[132:133], v[111:112], off
	;; [unrolled: 1-line block ×4, first 2 shown]
	s_waitcnt vmcnt(13)
	scratch_store_b128 off, v[140:143], off offset:336
	s_clause 0x3
	global_load_b64 v[138:139], v[117:118], off
	global_load_b64 v[140:141], v[121:122], off
	;; [unrolled: 1-line block ×4, first 2 shown]
	v_mov_b32_e32 v125, 0
	v_mov_b32_e32 v126, 0xbff00000
	s_cselect_b32 s2, -1, 0
	s_cmpk_eq_i32 s1, 0x84
	s_waitcnt vmcnt(15)
	scratch_store_b128 off, v[144:147], off offset:352
	s_waitcnt vmcnt(13)
	scratch_store_b128 off, v[148:151], off offset:368
	;; [unrolled: 2-line block ×9, first 2 shown]
	s_cbranch_scc1 .LBB61_3
; %bb.2:
	scratch_load_b64 v[125:126], v127, off
	s_waitcnt vmcnt(0)
	v_div_scale_f64 v[128:129], null, v[125:126], v[125:126], 1.0
	v_div_scale_f64 v[134:135], vcc_lo, 1.0, v[125:126], 1.0
	s_delay_alu instid0(VALU_DEP_2) | instskip(SKIP_2) | instid1(VALU_DEP_1)
	v_rcp_f64_e32 v[130:131], v[128:129]
	s_waitcnt_depctr 0xfff
	v_fma_f64 v[132:133], -v[128:129], v[130:131], 1.0
	v_fma_f64 v[130:131], v[130:131], v[132:133], v[130:131]
	s_delay_alu instid0(VALU_DEP_1) | instskip(NEXT) | instid1(VALU_DEP_1)
	v_fma_f64 v[132:133], -v[128:129], v[130:131], 1.0
	v_fma_f64 v[130:131], v[130:131], v[132:133], v[130:131]
	s_delay_alu instid0(VALU_DEP_1) | instskip(NEXT) | instid1(VALU_DEP_1)
	v_mul_f64 v[132:133], v[134:135], v[130:131]
	v_fma_f64 v[128:129], -v[128:129], v[132:133], v[134:135]
	s_delay_alu instid0(VALU_DEP_1) | instskip(NEXT) | instid1(VALU_DEP_1)
	v_div_fmas_f64 v[128:129], v[128:129], v[130:131], v[132:133]
	v_div_fixup_f64 v[125:126], v[128:129], v[125:126], 1.0
	scratch_store_b64 v127, v[125:126], off
	v_xor_b32_e32 v126, 0x80000000, v126
.LBB61_3:
	v_add_nc_u32_e32 v128, 0x1f0, v127
	v_add_nc_u32_e32 v129, 0, v127
	s_cmpk_eq_i32 s0, 0x79
	s_mov_b32 s0, -1
	ds_store_b64 v127, v[125:126]
	s_cbranch_scc1 .LBB61_609
; %bb.4:
	scratch_load_b64 v[125:126], off, off offset:480
	v_cmp_eq_u32_e64 s0, 61, v0
	s_movk_i32 s1, 0x50
	s_movk_i32 s3, 0x60
	;; [unrolled: 1-line block ×25, first 2 shown]
	s_waitcnt vmcnt(0)
	ds_store_b64 v128, v[125:126]
	s_waitcnt lgkmcnt(0)
	s_waitcnt_vscnt null, 0x0
	s_barrier
	buffer_gl0_inv
	s_and_saveexec_b32 s27, s0
	s_cbranch_execz .LBB61_10
; %bb.5:
	s_and_b32 vcc_lo, exec_lo, s2
	s_cbranch_vccz .LBB61_7
; %bb.6:
	scratch_load_b64 v[125:126], v129, off
	ds_load_b64 v[130:131], v128
	s_waitcnt vmcnt(0) lgkmcnt(0)
	v_mul_f64 v[125:126], v[125:126], v[130:131]
	s_cbranch_execz .LBB61_8
	s_branch .LBB61_9
.LBB61_7:
                                        ; implicit-def: $vgpr125_vgpr126
.LBB61_8:
	ds_load_b64 v[125:126], v128
.LBB61_9:
	v_mov_b32_e32 v130, 0
	ds_load_b64 v[130:131], v130 offset:480
	s_waitcnt lgkmcnt(0)
	v_mul_f64 v[125:126], v[125:126], v[130:131]
	scratch_store_b64 off, v[125:126], off offset:480
.LBB61_10:
	s_or_b32 exec_lo, exec_lo, s27
	scratch_load_b64 v[125:126], off, off offset:472
	v_add_nc_u32_e64 v130, 0, 16
	v_add_nc_u32_e64 v131, 0, 32
	;; [unrolled: 1-line block ×29, first 2 shown]
	v_cmp_lt_u32_e64 s1, 59, v0
	s_waitcnt vmcnt(0)
	ds_store_b64 v128, v[125:126]
	s_waitcnt lgkmcnt(0)
	s_waitcnt_vscnt null, 0x0
	s_barrier
	buffer_gl0_inv
	s_and_saveexec_b32 s3, s1
	s_cbranch_execz .LBB61_18
; %bb.11:
	s_and_not1_b32 vcc_lo, exec_lo, s2
	s_cbranch_vccnz .LBB61_13
; %bb.12:
	scratch_load_b64 v[125:126], v129, off
	ds_load_b64 v[159:160], v128
	s_waitcnt vmcnt(0) lgkmcnt(0)
	v_mul_f64 v[125:126], v[125:126], v[159:160]
	s_cbranch_execz .LBB61_14
	s_branch .LBB61_15
.LBB61_13:
                                        ; implicit-def: $vgpr125_vgpr126
.LBB61_14:
	ds_load_b64 v[125:126], v128
.LBB61_15:
	s_and_saveexec_b32 s4, s0
	s_cbranch_execz .LBB61_17
; %bb.16:
	scratch_load_b64 v[159:160], off, off offset:480
	v_mov_b32_e32 v161, 0
	ds_load_b64 v[161:162], v161 offset:976
	s_waitcnt vmcnt(0) lgkmcnt(0)
	v_fma_f64 v[125:126], v[159:160], v[161:162], v[125:126]
.LBB61_17:
	s_or_b32 exec_lo, exec_lo, s4
	v_mov_b32_e32 v159, 0
	ds_load_b64 v[159:160], v159 offset:472
	s_waitcnt lgkmcnt(0)
	v_mul_f64 v[125:126], v[125:126], v[159:160]
	scratch_store_b64 off, v[125:126], off offset:472
.LBB61_18:
	s_or_b32 exec_lo, exec_lo, s3
	scratch_load_b64 v[125:126], off, off offset:464
	v_cmp_lt_u32_e64 s0, 58, v0
	s_waitcnt vmcnt(0)
	ds_store_b64 v128, v[125:126]
	s_waitcnt lgkmcnt(0)
	s_waitcnt_vscnt null, 0x0
	s_barrier
	buffer_gl0_inv
	s_and_saveexec_b32 s3, s0
	s_cbranch_execz .LBB61_28
; %bb.19:
	s_and_not1_b32 vcc_lo, exec_lo, s2
	s_cbranch_vccnz .LBB61_21
; %bb.20:
	scratch_load_b64 v[125:126], v129, off
	ds_load_b64 v[159:160], v128
	s_waitcnt vmcnt(0) lgkmcnt(0)
	v_mul_f64 v[125:126], v[125:126], v[159:160]
	s_cbranch_execz .LBB61_22
	s_branch .LBB61_23
.LBB61_21:
                                        ; implicit-def: $vgpr125_vgpr126
.LBB61_22:
	ds_load_b64 v[125:126], v128
.LBB61_23:
	s_and_saveexec_b32 s4, s1
	s_cbranch_execz .LBB61_27
; %bb.24:
	v_mov_b32_e32 v159, 0
	v_subrev_nc_u32_e32 v160, 59, v0
	s_movk_i32 s5, 0x3c8
	s_mov_b32 s1, 0
	s_delay_alu instid0(VALU_DEP_2)
	v_add_nc_u32_e32 v159, 0x1d8, v159
.LBB61_25:                              ; =>This Inner Loop Header: Depth=1
	scratch_load_b64 v[161:162], v159, off
	v_dual_mov_b32 v163, s5 :: v_dual_add_nc_u32 v160, -1, v160
	v_add_nc_u32_e32 v159, 8, v159
	s_add_i32 s5, s5, 8
	ds_load_b64 v[163:164], v163
	v_cmp_eq_u32_e32 vcc_lo, 0, v160
	s_or_b32 s1, vcc_lo, s1
	s_waitcnt vmcnt(0) lgkmcnt(0)
	v_fma_f64 v[125:126], v[161:162], v[163:164], v[125:126]
	s_and_not1_b32 exec_lo, exec_lo, s1
	s_cbranch_execnz .LBB61_25
; %bb.26:
	s_or_b32 exec_lo, exec_lo, s1
.LBB61_27:
	s_delay_alu instid0(SALU_CYCLE_1)
	s_or_b32 exec_lo, exec_lo, s4
	v_mov_b32_e32 v159, 0
	ds_load_b64 v[159:160], v159 offset:464
	s_waitcnt lgkmcnt(0)
	v_mul_f64 v[125:126], v[125:126], v[159:160]
	scratch_store_b64 off, v[125:126], off offset:464
.LBB61_28:
	s_or_b32 exec_lo, exec_lo, s3
	scratch_load_b64 v[125:126], off, off offset:456
	v_cmp_lt_u32_e64 s1, 57, v0
	s_waitcnt vmcnt(0)
	ds_store_b64 v128, v[125:126]
	s_waitcnt lgkmcnt(0)
	s_waitcnt_vscnt null, 0x0
	s_barrier
	buffer_gl0_inv
	s_and_saveexec_b32 s3, s1
	s_cbranch_execz .LBB61_38
; %bb.29:
	s_and_not1_b32 vcc_lo, exec_lo, s2
	s_cbranch_vccnz .LBB61_31
; %bb.30:
	scratch_load_b64 v[125:126], v129, off
	ds_load_b64 v[159:160], v128
	s_waitcnt vmcnt(0) lgkmcnt(0)
	v_mul_f64 v[125:126], v[125:126], v[159:160]
	s_cbranch_execz .LBB61_32
	s_branch .LBB61_33
.LBB61_31:
                                        ; implicit-def: $vgpr125_vgpr126
.LBB61_32:
	ds_load_b64 v[125:126], v128
.LBB61_33:
	s_and_saveexec_b32 s4, s0
	s_cbranch_execz .LBB61_37
; %bb.34:
	v_subrev_nc_u32_e32 v159, 58, v0
	s_movk_i32 s5, 0x3c0
	s_mov_b32 s0, 0
.LBB61_35:                              ; =>This Inner Loop Header: Depth=1
	scratch_load_b64 v[160:161], v158, off
	v_dual_mov_b32 v162, s5 :: v_dual_add_nc_u32 v159, -1, v159
	v_add_nc_u32_e32 v158, 8, v158
	s_add_i32 s5, s5, 8
	ds_load_b64 v[162:163], v162
	v_cmp_eq_u32_e32 vcc_lo, 0, v159
	s_or_b32 s0, vcc_lo, s0
	s_waitcnt vmcnt(0) lgkmcnt(0)
	v_fma_f64 v[125:126], v[160:161], v[162:163], v[125:126]
	s_and_not1_b32 exec_lo, exec_lo, s0
	s_cbranch_execnz .LBB61_35
; %bb.36:
	s_or_b32 exec_lo, exec_lo, s0
.LBB61_37:
	s_delay_alu instid0(SALU_CYCLE_1)
	s_or_b32 exec_lo, exec_lo, s4
	v_mov_b32_e32 v158, 0
	ds_load_b64 v[158:159], v158 offset:456
	s_waitcnt lgkmcnt(0)
	v_mul_f64 v[125:126], v[125:126], v[158:159]
	scratch_store_b64 off, v[125:126], off offset:456
.LBB61_38:
	s_or_b32 exec_lo, exec_lo, s3
	scratch_load_b64 v[125:126], off, off offset:448
	v_cmp_lt_u32_e64 s0, 56, v0
	s_waitcnt vmcnt(0)
	ds_store_b64 v128, v[125:126]
	s_waitcnt lgkmcnt(0)
	s_waitcnt_vscnt null, 0x0
	s_barrier
	buffer_gl0_inv
	s_and_saveexec_b32 s3, s0
	s_cbranch_execz .LBB61_48
; %bb.39:
	s_and_not1_b32 vcc_lo, exec_lo, s2
	s_cbranch_vccnz .LBB61_41
; %bb.40:
	scratch_load_b64 v[125:126], v129, off
	ds_load_b64 v[158:159], v128
	s_waitcnt vmcnt(0) lgkmcnt(0)
	v_mul_f64 v[125:126], v[125:126], v[158:159]
	s_cbranch_execz .LBB61_42
	s_branch .LBB61_43
.LBB61_41:
                                        ; implicit-def: $vgpr125_vgpr126
.LBB61_42:
	ds_load_b64 v[125:126], v128
.LBB61_43:
	s_and_saveexec_b32 s4, s1
	s_cbranch_execz .LBB61_47
; %bb.44:
	v_mov_b32_e32 v158, 0
	v_subrev_nc_u32_e32 v159, 57, v0
	s_movk_i32 s5, 0x3b8
	s_mov_b32 s1, 0
	s_delay_alu instid0(VALU_DEP_2)
	v_add_nc_u32_e32 v158, 0x1c8, v158
.LBB61_45:                              ; =>This Inner Loop Header: Depth=1
	scratch_load_b64 v[160:161], v158, off
	v_dual_mov_b32 v162, s5 :: v_dual_add_nc_u32 v159, -1, v159
	v_add_nc_u32_e32 v158, 8, v158
	s_add_i32 s5, s5, 8
	ds_load_b64 v[162:163], v162
	v_cmp_eq_u32_e32 vcc_lo, 0, v159
	s_or_b32 s1, vcc_lo, s1
	s_waitcnt vmcnt(0) lgkmcnt(0)
	v_fma_f64 v[125:126], v[160:161], v[162:163], v[125:126]
	s_and_not1_b32 exec_lo, exec_lo, s1
	s_cbranch_execnz .LBB61_45
; %bb.46:
	s_or_b32 exec_lo, exec_lo, s1
.LBB61_47:
	s_delay_alu instid0(SALU_CYCLE_1)
	s_or_b32 exec_lo, exec_lo, s4
	v_mov_b32_e32 v158, 0
	ds_load_b64 v[158:159], v158 offset:448
	s_waitcnt lgkmcnt(0)
	v_mul_f64 v[125:126], v[125:126], v[158:159]
	scratch_store_b64 off, v[125:126], off offset:448
.LBB61_48:
	s_or_b32 exec_lo, exec_lo, s3
	scratch_load_b64 v[125:126], off, off offset:440
	v_cmp_lt_u32_e64 s1, 55, v0
	s_waitcnt vmcnt(0)
	ds_store_b64 v128, v[125:126]
	s_waitcnt lgkmcnt(0)
	s_waitcnt_vscnt null, 0x0
	s_barrier
	buffer_gl0_inv
	s_and_saveexec_b32 s3, s1
	s_cbranch_execz .LBB61_58
; %bb.49:
	s_and_not1_b32 vcc_lo, exec_lo, s2
	s_cbranch_vccnz .LBB61_51
; %bb.50:
	scratch_load_b64 v[125:126], v129, off
	ds_load_b64 v[158:159], v128
	s_waitcnt vmcnt(0) lgkmcnt(0)
	v_mul_f64 v[125:126], v[125:126], v[158:159]
	s_cbranch_execz .LBB61_52
	s_branch .LBB61_53
.LBB61_51:
                                        ; implicit-def: $vgpr125_vgpr126
.LBB61_52:
	ds_load_b64 v[125:126], v128
.LBB61_53:
	s_and_saveexec_b32 s4, s0
	s_cbranch_execz .LBB61_57
; %bb.54:
	v_subrev_nc_u32_e32 v158, 56, v0
	s_movk_i32 s5, 0x3b0
	s_mov_b32 s0, 0
.LBB61_55:                              ; =>This Inner Loop Header: Depth=1
	scratch_load_b64 v[159:160], v157, off
	v_dual_mov_b32 v161, s5 :: v_dual_add_nc_u32 v158, -1, v158
	v_add_nc_u32_e32 v157, 8, v157
	s_add_i32 s5, s5, 8
	ds_load_b64 v[161:162], v161
	v_cmp_eq_u32_e32 vcc_lo, 0, v158
	s_or_b32 s0, vcc_lo, s0
	s_waitcnt vmcnt(0) lgkmcnt(0)
	v_fma_f64 v[125:126], v[159:160], v[161:162], v[125:126]
	s_and_not1_b32 exec_lo, exec_lo, s0
	s_cbranch_execnz .LBB61_55
; %bb.56:
	s_or_b32 exec_lo, exec_lo, s0
.LBB61_57:
	s_delay_alu instid0(SALU_CYCLE_1)
	s_or_b32 exec_lo, exec_lo, s4
	v_mov_b32_e32 v157, 0
	ds_load_b64 v[157:158], v157 offset:440
	s_waitcnt lgkmcnt(0)
	v_mul_f64 v[125:126], v[125:126], v[157:158]
	scratch_store_b64 off, v[125:126], off offset:440
.LBB61_58:
	s_or_b32 exec_lo, exec_lo, s3
	scratch_load_b64 v[125:126], off, off offset:432
	v_cmp_lt_u32_e64 s0, 54, v0
	s_waitcnt vmcnt(0)
	ds_store_b64 v128, v[125:126]
	s_waitcnt lgkmcnt(0)
	s_waitcnt_vscnt null, 0x0
	s_barrier
	buffer_gl0_inv
	s_and_saveexec_b32 s3, s0
	s_cbranch_execz .LBB61_68
; %bb.59:
	s_and_not1_b32 vcc_lo, exec_lo, s2
	s_cbranch_vccnz .LBB61_61
; %bb.60:
	scratch_load_b64 v[125:126], v129, off
	ds_load_b64 v[157:158], v128
	s_waitcnt vmcnt(0) lgkmcnt(0)
	v_mul_f64 v[125:126], v[125:126], v[157:158]
	s_cbranch_execz .LBB61_62
	s_branch .LBB61_63
.LBB61_61:
                                        ; implicit-def: $vgpr125_vgpr126
.LBB61_62:
	ds_load_b64 v[125:126], v128
.LBB61_63:
	s_and_saveexec_b32 s4, s1
	s_cbranch_execz .LBB61_67
; %bb.64:
	v_mov_b32_e32 v157, 0
	v_subrev_nc_u32_e32 v158, 55, v0
	s_movk_i32 s5, 0x3a8
	s_mov_b32 s1, 0
	s_delay_alu instid0(VALU_DEP_2)
	v_add_nc_u32_e32 v157, 0x1b8, v157
.LBB61_65:                              ; =>This Inner Loop Header: Depth=1
	scratch_load_b64 v[159:160], v157, off
	v_dual_mov_b32 v161, s5 :: v_dual_add_nc_u32 v158, -1, v158
	v_add_nc_u32_e32 v157, 8, v157
	s_add_i32 s5, s5, 8
	ds_load_b64 v[161:162], v161
	v_cmp_eq_u32_e32 vcc_lo, 0, v158
	s_or_b32 s1, vcc_lo, s1
	s_waitcnt vmcnt(0) lgkmcnt(0)
	v_fma_f64 v[125:126], v[159:160], v[161:162], v[125:126]
	s_and_not1_b32 exec_lo, exec_lo, s1
	s_cbranch_execnz .LBB61_65
; %bb.66:
	s_or_b32 exec_lo, exec_lo, s1
.LBB61_67:
	s_delay_alu instid0(SALU_CYCLE_1)
	s_or_b32 exec_lo, exec_lo, s4
	v_mov_b32_e32 v157, 0
	ds_load_b64 v[157:158], v157 offset:432
	s_waitcnt lgkmcnt(0)
	v_mul_f64 v[125:126], v[125:126], v[157:158]
	scratch_store_b64 off, v[125:126], off offset:432
.LBB61_68:
	s_or_b32 exec_lo, exec_lo, s3
	scratch_load_b64 v[125:126], off, off offset:424
	v_cmp_lt_u32_e64 s1, 53, v0
	s_waitcnt vmcnt(0)
	ds_store_b64 v128, v[125:126]
	s_waitcnt lgkmcnt(0)
	s_waitcnt_vscnt null, 0x0
	s_barrier
	buffer_gl0_inv
	s_and_saveexec_b32 s3, s1
	s_cbranch_execz .LBB61_78
; %bb.69:
	s_and_not1_b32 vcc_lo, exec_lo, s2
	s_cbranch_vccnz .LBB61_71
; %bb.70:
	scratch_load_b64 v[125:126], v129, off
	ds_load_b64 v[157:158], v128
	s_waitcnt vmcnt(0) lgkmcnt(0)
	v_mul_f64 v[125:126], v[125:126], v[157:158]
	s_cbranch_execz .LBB61_72
	s_branch .LBB61_73
.LBB61_71:
                                        ; implicit-def: $vgpr125_vgpr126
.LBB61_72:
	ds_load_b64 v[125:126], v128
.LBB61_73:
	s_and_saveexec_b32 s4, s0
	s_cbranch_execz .LBB61_77
; %bb.74:
	v_subrev_nc_u32_e32 v157, 54, v0
	s_movk_i32 s5, 0x3a0
	s_mov_b32 s0, 0
.LBB61_75:                              ; =>This Inner Loop Header: Depth=1
	scratch_load_b64 v[158:159], v156, off
	v_dual_mov_b32 v160, s5 :: v_dual_add_nc_u32 v157, -1, v157
	v_add_nc_u32_e32 v156, 8, v156
	s_add_i32 s5, s5, 8
	ds_load_b64 v[160:161], v160
	v_cmp_eq_u32_e32 vcc_lo, 0, v157
	s_or_b32 s0, vcc_lo, s0
	s_waitcnt vmcnt(0) lgkmcnt(0)
	v_fma_f64 v[125:126], v[158:159], v[160:161], v[125:126]
	s_and_not1_b32 exec_lo, exec_lo, s0
	s_cbranch_execnz .LBB61_75
; %bb.76:
	s_or_b32 exec_lo, exec_lo, s0
.LBB61_77:
	s_delay_alu instid0(SALU_CYCLE_1)
	s_or_b32 exec_lo, exec_lo, s4
	v_mov_b32_e32 v156, 0
	ds_load_b64 v[156:157], v156 offset:424
	s_waitcnt lgkmcnt(0)
	v_mul_f64 v[125:126], v[125:126], v[156:157]
	scratch_store_b64 off, v[125:126], off offset:424
.LBB61_78:
	s_or_b32 exec_lo, exec_lo, s3
	scratch_load_b64 v[125:126], off, off offset:416
	v_cmp_lt_u32_e64 s0, 52, v0
	s_waitcnt vmcnt(0)
	ds_store_b64 v128, v[125:126]
	s_waitcnt lgkmcnt(0)
	s_waitcnt_vscnt null, 0x0
	s_barrier
	buffer_gl0_inv
	s_and_saveexec_b32 s3, s0
	s_cbranch_execz .LBB61_88
; %bb.79:
	s_and_not1_b32 vcc_lo, exec_lo, s2
	s_cbranch_vccnz .LBB61_81
; %bb.80:
	scratch_load_b64 v[125:126], v129, off
	ds_load_b64 v[156:157], v128
	s_waitcnt vmcnt(0) lgkmcnt(0)
	v_mul_f64 v[125:126], v[125:126], v[156:157]
	s_cbranch_execz .LBB61_82
	s_branch .LBB61_83
.LBB61_81:
                                        ; implicit-def: $vgpr125_vgpr126
.LBB61_82:
	ds_load_b64 v[125:126], v128
.LBB61_83:
	s_and_saveexec_b32 s4, s1
	s_cbranch_execz .LBB61_87
; %bb.84:
	v_mov_b32_e32 v156, 0
	v_subrev_nc_u32_e32 v157, 53, v0
	s_movk_i32 s5, 0x398
	s_mov_b32 s1, 0
	s_delay_alu instid0(VALU_DEP_2)
	v_add_nc_u32_e32 v156, 0x1a8, v156
.LBB61_85:                              ; =>This Inner Loop Header: Depth=1
	scratch_load_b64 v[158:159], v156, off
	v_dual_mov_b32 v160, s5 :: v_dual_add_nc_u32 v157, -1, v157
	v_add_nc_u32_e32 v156, 8, v156
	s_add_i32 s5, s5, 8
	ds_load_b64 v[160:161], v160
	v_cmp_eq_u32_e32 vcc_lo, 0, v157
	s_or_b32 s1, vcc_lo, s1
	s_waitcnt vmcnt(0) lgkmcnt(0)
	v_fma_f64 v[125:126], v[158:159], v[160:161], v[125:126]
	s_and_not1_b32 exec_lo, exec_lo, s1
	s_cbranch_execnz .LBB61_85
; %bb.86:
	s_or_b32 exec_lo, exec_lo, s1
.LBB61_87:
	s_delay_alu instid0(SALU_CYCLE_1)
	s_or_b32 exec_lo, exec_lo, s4
	v_mov_b32_e32 v156, 0
	ds_load_b64 v[156:157], v156 offset:416
	s_waitcnt lgkmcnt(0)
	v_mul_f64 v[125:126], v[125:126], v[156:157]
	scratch_store_b64 off, v[125:126], off offset:416
.LBB61_88:
	s_or_b32 exec_lo, exec_lo, s3
	scratch_load_b64 v[125:126], off, off offset:408
	v_cmp_lt_u32_e64 s1, 51, v0
	s_waitcnt vmcnt(0)
	ds_store_b64 v128, v[125:126]
	s_waitcnt lgkmcnt(0)
	s_waitcnt_vscnt null, 0x0
	s_barrier
	buffer_gl0_inv
	s_and_saveexec_b32 s3, s1
	s_cbranch_execz .LBB61_98
; %bb.89:
	s_and_not1_b32 vcc_lo, exec_lo, s2
	s_cbranch_vccnz .LBB61_91
; %bb.90:
	scratch_load_b64 v[125:126], v129, off
	ds_load_b64 v[156:157], v128
	s_waitcnt vmcnt(0) lgkmcnt(0)
	v_mul_f64 v[125:126], v[125:126], v[156:157]
	s_cbranch_execz .LBB61_92
	s_branch .LBB61_93
.LBB61_91:
                                        ; implicit-def: $vgpr125_vgpr126
.LBB61_92:
	ds_load_b64 v[125:126], v128
.LBB61_93:
	s_and_saveexec_b32 s4, s0
	s_cbranch_execz .LBB61_97
; %bb.94:
	v_subrev_nc_u32_e32 v156, 52, v0
	s_movk_i32 s5, 0x390
	s_mov_b32 s0, 0
.LBB61_95:                              ; =>This Inner Loop Header: Depth=1
	scratch_load_b64 v[157:158], v155, off
	v_dual_mov_b32 v159, s5 :: v_dual_add_nc_u32 v156, -1, v156
	v_add_nc_u32_e32 v155, 8, v155
	s_add_i32 s5, s5, 8
	ds_load_b64 v[159:160], v159
	v_cmp_eq_u32_e32 vcc_lo, 0, v156
	s_or_b32 s0, vcc_lo, s0
	s_waitcnt vmcnt(0) lgkmcnt(0)
	v_fma_f64 v[125:126], v[157:158], v[159:160], v[125:126]
	s_and_not1_b32 exec_lo, exec_lo, s0
	s_cbranch_execnz .LBB61_95
; %bb.96:
	s_or_b32 exec_lo, exec_lo, s0
.LBB61_97:
	s_delay_alu instid0(SALU_CYCLE_1)
	s_or_b32 exec_lo, exec_lo, s4
	v_mov_b32_e32 v155, 0
	ds_load_b64 v[155:156], v155 offset:408
	s_waitcnt lgkmcnt(0)
	v_mul_f64 v[125:126], v[125:126], v[155:156]
	scratch_store_b64 off, v[125:126], off offset:408
.LBB61_98:
	s_or_b32 exec_lo, exec_lo, s3
	scratch_load_b64 v[125:126], off, off offset:400
	v_cmp_lt_u32_e64 s0, 50, v0
	s_waitcnt vmcnt(0)
	ds_store_b64 v128, v[125:126]
	s_waitcnt lgkmcnt(0)
	s_waitcnt_vscnt null, 0x0
	s_barrier
	buffer_gl0_inv
	s_and_saveexec_b32 s3, s0
	s_cbranch_execz .LBB61_108
; %bb.99:
	s_and_not1_b32 vcc_lo, exec_lo, s2
	s_cbranch_vccnz .LBB61_101
; %bb.100:
	scratch_load_b64 v[125:126], v129, off
	ds_load_b64 v[155:156], v128
	s_waitcnt vmcnt(0) lgkmcnt(0)
	v_mul_f64 v[125:126], v[125:126], v[155:156]
	s_cbranch_execz .LBB61_102
	s_branch .LBB61_103
.LBB61_101:
                                        ; implicit-def: $vgpr125_vgpr126
.LBB61_102:
	ds_load_b64 v[125:126], v128
.LBB61_103:
	s_and_saveexec_b32 s4, s1
	s_cbranch_execz .LBB61_107
; %bb.104:
	v_mov_b32_e32 v155, 0
	v_subrev_nc_u32_e32 v156, 51, v0
	s_movk_i32 s5, 0x388
	s_mov_b32 s1, 0
	s_delay_alu instid0(VALU_DEP_2)
	v_add_nc_u32_e32 v155, 0x198, v155
.LBB61_105:                             ; =>This Inner Loop Header: Depth=1
	scratch_load_b64 v[157:158], v155, off
	v_dual_mov_b32 v159, s5 :: v_dual_add_nc_u32 v156, -1, v156
	v_add_nc_u32_e32 v155, 8, v155
	s_add_i32 s5, s5, 8
	ds_load_b64 v[159:160], v159
	v_cmp_eq_u32_e32 vcc_lo, 0, v156
	s_or_b32 s1, vcc_lo, s1
	s_waitcnt vmcnt(0) lgkmcnt(0)
	v_fma_f64 v[125:126], v[157:158], v[159:160], v[125:126]
	s_and_not1_b32 exec_lo, exec_lo, s1
	s_cbranch_execnz .LBB61_105
; %bb.106:
	s_or_b32 exec_lo, exec_lo, s1
.LBB61_107:
	s_delay_alu instid0(SALU_CYCLE_1)
	s_or_b32 exec_lo, exec_lo, s4
	v_mov_b32_e32 v155, 0
	ds_load_b64 v[155:156], v155 offset:400
	s_waitcnt lgkmcnt(0)
	v_mul_f64 v[125:126], v[125:126], v[155:156]
	scratch_store_b64 off, v[125:126], off offset:400
.LBB61_108:
	s_or_b32 exec_lo, exec_lo, s3
	scratch_load_b64 v[125:126], off, off offset:392
	v_cmp_lt_u32_e64 s1, 49, v0
	s_waitcnt vmcnt(0)
	ds_store_b64 v128, v[125:126]
	s_waitcnt lgkmcnt(0)
	s_waitcnt_vscnt null, 0x0
	s_barrier
	buffer_gl0_inv
	s_and_saveexec_b32 s3, s1
	s_cbranch_execz .LBB61_118
; %bb.109:
	s_and_not1_b32 vcc_lo, exec_lo, s2
	s_cbranch_vccnz .LBB61_111
; %bb.110:
	scratch_load_b64 v[125:126], v129, off
	ds_load_b64 v[155:156], v128
	s_waitcnt vmcnt(0) lgkmcnt(0)
	v_mul_f64 v[125:126], v[125:126], v[155:156]
	s_cbranch_execz .LBB61_112
	s_branch .LBB61_113
.LBB61_111:
                                        ; implicit-def: $vgpr125_vgpr126
.LBB61_112:
	ds_load_b64 v[125:126], v128
.LBB61_113:
	s_and_saveexec_b32 s4, s0
	s_cbranch_execz .LBB61_117
; %bb.114:
	v_subrev_nc_u32_e32 v155, 50, v0
	s_movk_i32 s5, 0x380
	s_mov_b32 s0, 0
.LBB61_115:                             ; =>This Inner Loop Header: Depth=1
	scratch_load_b64 v[156:157], v154, off
	v_dual_mov_b32 v158, s5 :: v_dual_add_nc_u32 v155, -1, v155
	v_add_nc_u32_e32 v154, 8, v154
	s_add_i32 s5, s5, 8
	ds_load_b64 v[158:159], v158
	v_cmp_eq_u32_e32 vcc_lo, 0, v155
	s_or_b32 s0, vcc_lo, s0
	s_waitcnt vmcnt(0) lgkmcnt(0)
	v_fma_f64 v[125:126], v[156:157], v[158:159], v[125:126]
	s_and_not1_b32 exec_lo, exec_lo, s0
	s_cbranch_execnz .LBB61_115
; %bb.116:
	s_or_b32 exec_lo, exec_lo, s0
.LBB61_117:
	s_delay_alu instid0(SALU_CYCLE_1)
	s_or_b32 exec_lo, exec_lo, s4
	v_mov_b32_e32 v154, 0
	ds_load_b64 v[154:155], v154 offset:392
	s_waitcnt lgkmcnt(0)
	v_mul_f64 v[125:126], v[125:126], v[154:155]
	scratch_store_b64 off, v[125:126], off offset:392
.LBB61_118:
	s_or_b32 exec_lo, exec_lo, s3
	scratch_load_b64 v[125:126], off, off offset:384
	v_cmp_lt_u32_e64 s0, 48, v0
	s_waitcnt vmcnt(0)
	ds_store_b64 v128, v[125:126]
	s_waitcnt lgkmcnt(0)
	s_waitcnt_vscnt null, 0x0
	s_barrier
	buffer_gl0_inv
	s_and_saveexec_b32 s3, s0
	s_cbranch_execz .LBB61_128
; %bb.119:
	s_and_not1_b32 vcc_lo, exec_lo, s2
	s_cbranch_vccnz .LBB61_121
; %bb.120:
	scratch_load_b64 v[125:126], v129, off
	ds_load_b64 v[154:155], v128
	s_waitcnt vmcnt(0) lgkmcnt(0)
	v_mul_f64 v[125:126], v[125:126], v[154:155]
	s_cbranch_execz .LBB61_122
	s_branch .LBB61_123
.LBB61_121:
                                        ; implicit-def: $vgpr125_vgpr126
.LBB61_122:
	ds_load_b64 v[125:126], v128
.LBB61_123:
	s_and_saveexec_b32 s4, s1
	s_cbranch_execz .LBB61_127
; %bb.124:
	v_mov_b32_e32 v154, 0
	v_subrev_nc_u32_e32 v155, 49, v0
	s_movk_i32 s5, 0x378
	s_mov_b32 s1, 0
	s_delay_alu instid0(VALU_DEP_2)
	v_add_nc_u32_e32 v154, 0x188, v154
.LBB61_125:                             ; =>This Inner Loop Header: Depth=1
	scratch_load_b64 v[156:157], v154, off
	v_dual_mov_b32 v158, s5 :: v_dual_add_nc_u32 v155, -1, v155
	v_add_nc_u32_e32 v154, 8, v154
	s_add_i32 s5, s5, 8
	ds_load_b64 v[158:159], v158
	v_cmp_eq_u32_e32 vcc_lo, 0, v155
	s_or_b32 s1, vcc_lo, s1
	s_waitcnt vmcnt(0) lgkmcnt(0)
	v_fma_f64 v[125:126], v[156:157], v[158:159], v[125:126]
	s_and_not1_b32 exec_lo, exec_lo, s1
	s_cbranch_execnz .LBB61_125
; %bb.126:
	s_or_b32 exec_lo, exec_lo, s1
.LBB61_127:
	s_delay_alu instid0(SALU_CYCLE_1)
	s_or_b32 exec_lo, exec_lo, s4
	v_mov_b32_e32 v154, 0
	ds_load_b64 v[154:155], v154 offset:384
	s_waitcnt lgkmcnt(0)
	v_mul_f64 v[125:126], v[125:126], v[154:155]
	scratch_store_b64 off, v[125:126], off offset:384
.LBB61_128:
	s_or_b32 exec_lo, exec_lo, s3
	scratch_load_b64 v[125:126], off, off offset:376
	v_cmp_lt_u32_e64 s1, 47, v0
	s_waitcnt vmcnt(0)
	ds_store_b64 v128, v[125:126]
	s_waitcnt lgkmcnt(0)
	s_waitcnt_vscnt null, 0x0
	s_barrier
	buffer_gl0_inv
	s_and_saveexec_b32 s3, s1
	s_cbranch_execz .LBB61_138
; %bb.129:
	s_and_not1_b32 vcc_lo, exec_lo, s2
	s_cbranch_vccnz .LBB61_131
; %bb.130:
	scratch_load_b64 v[125:126], v129, off
	ds_load_b64 v[154:155], v128
	s_waitcnt vmcnt(0) lgkmcnt(0)
	v_mul_f64 v[125:126], v[125:126], v[154:155]
	s_cbranch_execz .LBB61_132
	s_branch .LBB61_133
.LBB61_131:
                                        ; implicit-def: $vgpr125_vgpr126
.LBB61_132:
	ds_load_b64 v[125:126], v128
.LBB61_133:
	s_and_saveexec_b32 s4, s0
	s_cbranch_execz .LBB61_137
; %bb.134:
	v_subrev_nc_u32_e32 v154, 48, v0
	s_movk_i32 s5, 0x370
	s_mov_b32 s0, 0
.LBB61_135:                             ; =>This Inner Loop Header: Depth=1
	scratch_load_b64 v[155:156], v153, off
	v_dual_mov_b32 v157, s5 :: v_dual_add_nc_u32 v154, -1, v154
	v_add_nc_u32_e32 v153, 8, v153
	s_add_i32 s5, s5, 8
	ds_load_b64 v[157:158], v157
	v_cmp_eq_u32_e32 vcc_lo, 0, v154
	s_or_b32 s0, vcc_lo, s0
	s_waitcnt vmcnt(0) lgkmcnt(0)
	v_fma_f64 v[125:126], v[155:156], v[157:158], v[125:126]
	s_and_not1_b32 exec_lo, exec_lo, s0
	s_cbranch_execnz .LBB61_135
; %bb.136:
	s_or_b32 exec_lo, exec_lo, s0
.LBB61_137:
	s_delay_alu instid0(SALU_CYCLE_1)
	s_or_b32 exec_lo, exec_lo, s4
	v_mov_b32_e32 v153, 0
	ds_load_b64 v[153:154], v153 offset:376
	s_waitcnt lgkmcnt(0)
	v_mul_f64 v[125:126], v[125:126], v[153:154]
	scratch_store_b64 off, v[125:126], off offset:376
.LBB61_138:
	s_or_b32 exec_lo, exec_lo, s3
	scratch_load_b64 v[125:126], off, off offset:368
	v_cmp_lt_u32_e64 s0, 46, v0
	s_waitcnt vmcnt(0)
	ds_store_b64 v128, v[125:126]
	s_waitcnt lgkmcnt(0)
	s_waitcnt_vscnt null, 0x0
	s_barrier
	buffer_gl0_inv
	s_and_saveexec_b32 s3, s0
	s_cbranch_execz .LBB61_148
; %bb.139:
	s_and_not1_b32 vcc_lo, exec_lo, s2
	s_cbranch_vccnz .LBB61_141
; %bb.140:
	scratch_load_b64 v[125:126], v129, off
	ds_load_b64 v[153:154], v128
	s_waitcnt vmcnt(0) lgkmcnt(0)
	v_mul_f64 v[125:126], v[125:126], v[153:154]
	s_cbranch_execz .LBB61_142
	s_branch .LBB61_143
.LBB61_141:
                                        ; implicit-def: $vgpr125_vgpr126
.LBB61_142:
	ds_load_b64 v[125:126], v128
.LBB61_143:
	s_and_saveexec_b32 s4, s1
	s_cbranch_execz .LBB61_147
; %bb.144:
	v_mov_b32_e32 v153, 0
	v_subrev_nc_u32_e32 v154, 47, v0
	s_movk_i32 s5, 0x368
	s_mov_b32 s1, 0
	s_delay_alu instid0(VALU_DEP_2)
	v_add_nc_u32_e32 v153, 0x178, v153
.LBB61_145:                             ; =>This Inner Loop Header: Depth=1
	scratch_load_b64 v[155:156], v153, off
	v_dual_mov_b32 v157, s5 :: v_dual_add_nc_u32 v154, -1, v154
	v_add_nc_u32_e32 v153, 8, v153
	s_add_i32 s5, s5, 8
	ds_load_b64 v[157:158], v157
	v_cmp_eq_u32_e32 vcc_lo, 0, v154
	s_or_b32 s1, vcc_lo, s1
	s_waitcnt vmcnt(0) lgkmcnt(0)
	v_fma_f64 v[125:126], v[155:156], v[157:158], v[125:126]
	s_and_not1_b32 exec_lo, exec_lo, s1
	s_cbranch_execnz .LBB61_145
; %bb.146:
	s_or_b32 exec_lo, exec_lo, s1
.LBB61_147:
	s_delay_alu instid0(SALU_CYCLE_1)
	s_or_b32 exec_lo, exec_lo, s4
	v_mov_b32_e32 v153, 0
	ds_load_b64 v[153:154], v153 offset:368
	s_waitcnt lgkmcnt(0)
	v_mul_f64 v[125:126], v[125:126], v[153:154]
	scratch_store_b64 off, v[125:126], off offset:368
.LBB61_148:
	s_or_b32 exec_lo, exec_lo, s3
	scratch_load_b64 v[125:126], off, off offset:360
	v_cmp_lt_u32_e64 s1, 45, v0
	s_waitcnt vmcnt(0)
	ds_store_b64 v128, v[125:126]
	s_waitcnt lgkmcnt(0)
	s_waitcnt_vscnt null, 0x0
	s_barrier
	buffer_gl0_inv
	s_and_saveexec_b32 s3, s1
	s_cbranch_execz .LBB61_158
; %bb.149:
	s_and_not1_b32 vcc_lo, exec_lo, s2
	s_cbranch_vccnz .LBB61_151
; %bb.150:
	scratch_load_b64 v[125:126], v129, off
	ds_load_b64 v[153:154], v128
	s_waitcnt vmcnt(0) lgkmcnt(0)
	v_mul_f64 v[125:126], v[125:126], v[153:154]
	s_cbranch_execz .LBB61_152
	s_branch .LBB61_153
.LBB61_151:
                                        ; implicit-def: $vgpr125_vgpr126
.LBB61_152:
	ds_load_b64 v[125:126], v128
.LBB61_153:
	s_and_saveexec_b32 s4, s0
	s_cbranch_execz .LBB61_157
; %bb.154:
	v_subrev_nc_u32_e32 v153, 46, v0
	s_movk_i32 s5, 0x360
	s_mov_b32 s0, 0
.LBB61_155:                             ; =>This Inner Loop Header: Depth=1
	scratch_load_b64 v[154:155], v152, off
	v_dual_mov_b32 v156, s5 :: v_dual_add_nc_u32 v153, -1, v153
	v_add_nc_u32_e32 v152, 8, v152
	s_add_i32 s5, s5, 8
	ds_load_b64 v[156:157], v156
	v_cmp_eq_u32_e32 vcc_lo, 0, v153
	s_or_b32 s0, vcc_lo, s0
	s_waitcnt vmcnt(0) lgkmcnt(0)
	v_fma_f64 v[125:126], v[154:155], v[156:157], v[125:126]
	s_and_not1_b32 exec_lo, exec_lo, s0
	s_cbranch_execnz .LBB61_155
; %bb.156:
	s_or_b32 exec_lo, exec_lo, s0
.LBB61_157:
	s_delay_alu instid0(SALU_CYCLE_1)
	s_or_b32 exec_lo, exec_lo, s4
	v_mov_b32_e32 v152, 0
	ds_load_b64 v[152:153], v152 offset:360
	s_waitcnt lgkmcnt(0)
	v_mul_f64 v[125:126], v[125:126], v[152:153]
	scratch_store_b64 off, v[125:126], off offset:360
.LBB61_158:
	s_or_b32 exec_lo, exec_lo, s3
	scratch_load_b64 v[125:126], off, off offset:352
	v_cmp_lt_u32_e64 s0, 44, v0
	s_waitcnt vmcnt(0)
	ds_store_b64 v128, v[125:126]
	s_waitcnt lgkmcnt(0)
	s_waitcnt_vscnt null, 0x0
	s_barrier
	buffer_gl0_inv
	s_and_saveexec_b32 s3, s0
	s_cbranch_execz .LBB61_168
; %bb.159:
	s_and_not1_b32 vcc_lo, exec_lo, s2
	s_cbranch_vccnz .LBB61_161
; %bb.160:
	scratch_load_b64 v[125:126], v129, off
	ds_load_b64 v[152:153], v128
	s_waitcnt vmcnt(0) lgkmcnt(0)
	v_mul_f64 v[125:126], v[125:126], v[152:153]
	s_cbranch_execz .LBB61_162
	s_branch .LBB61_163
.LBB61_161:
                                        ; implicit-def: $vgpr125_vgpr126
.LBB61_162:
	ds_load_b64 v[125:126], v128
.LBB61_163:
	s_and_saveexec_b32 s4, s1
	s_cbranch_execz .LBB61_167
; %bb.164:
	v_mov_b32_e32 v152, 0
	v_subrev_nc_u32_e32 v153, 45, v0
	s_movk_i32 s5, 0x358
	s_mov_b32 s1, 0
	s_delay_alu instid0(VALU_DEP_2)
	v_add_nc_u32_e32 v152, 0x168, v152
.LBB61_165:                             ; =>This Inner Loop Header: Depth=1
	scratch_load_b64 v[154:155], v152, off
	v_dual_mov_b32 v156, s5 :: v_dual_add_nc_u32 v153, -1, v153
	v_add_nc_u32_e32 v152, 8, v152
	s_add_i32 s5, s5, 8
	ds_load_b64 v[156:157], v156
	v_cmp_eq_u32_e32 vcc_lo, 0, v153
	s_or_b32 s1, vcc_lo, s1
	s_waitcnt vmcnt(0) lgkmcnt(0)
	v_fma_f64 v[125:126], v[154:155], v[156:157], v[125:126]
	s_and_not1_b32 exec_lo, exec_lo, s1
	s_cbranch_execnz .LBB61_165
; %bb.166:
	s_or_b32 exec_lo, exec_lo, s1
.LBB61_167:
	s_delay_alu instid0(SALU_CYCLE_1)
	s_or_b32 exec_lo, exec_lo, s4
	v_mov_b32_e32 v152, 0
	ds_load_b64 v[152:153], v152 offset:352
	s_waitcnt lgkmcnt(0)
	v_mul_f64 v[125:126], v[125:126], v[152:153]
	scratch_store_b64 off, v[125:126], off offset:352
.LBB61_168:
	s_or_b32 exec_lo, exec_lo, s3
	scratch_load_b64 v[125:126], off, off offset:344
	v_cmp_lt_u32_e64 s1, 43, v0
	s_waitcnt vmcnt(0)
	ds_store_b64 v128, v[125:126]
	s_waitcnt lgkmcnt(0)
	s_waitcnt_vscnt null, 0x0
	s_barrier
	buffer_gl0_inv
	s_and_saveexec_b32 s3, s1
	s_cbranch_execz .LBB61_178
; %bb.169:
	s_and_not1_b32 vcc_lo, exec_lo, s2
	s_cbranch_vccnz .LBB61_171
; %bb.170:
	scratch_load_b64 v[125:126], v129, off
	ds_load_b64 v[152:153], v128
	s_waitcnt vmcnt(0) lgkmcnt(0)
	v_mul_f64 v[125:126], v[125:126], v[152:153]
	s_cbranch_execz .LBB61_172
	s_branch .LBB61_173
.LBB61_171:
                                        ; implicit-def: $vgpr125_vgpr126
.LBB61_172:
	ds_load_b64 v[125:126], v128
.LBB61_173:
	s_and_saveexec_b32 s4, s0
	s_cbranch_execz .LBB61_177
; %bb.174:
	v_subrev_nc_u32_e32 v152, 44, v0
	s_movk_i32 s5, 0x350
	s_mov_b32 s0, 0
.LBB61_175:                             ; =>This Inner Loop Header: Depth=1
	scratch_load_b64 v[153:154], v151, off
	v_dual_mov_b32 v155, s5 :: v_dual_add_nc_u32 v152, -1, v152
	v_add_nc_u32_e32 v151, 8, v151
	s_add_i32 s5, s5, 8
	ds_load_b64 v[155:156], v155
	v_cmp_eq_u32_e32 vcc_lo, 0, v152
	s_or_b32 s0, vcc_lo, s0
	s_waitcnt vmcnt(0) lgkmcnt(0)
	v_fma_f64 v[125:126], v[153:154], v[155:156], v[125:126]
	s_and_not1_b32 exec_lo, exec_lo, s0
	s_cbranch_execnz .LBB61_175
; %bb.176:
	s_or_b32 exec_lo, exec_lo, s0
.LBB61_177:
	s_delay_alu instid0(SALU_CYCLE_1)
	s_or_b32 exec_lo, exec_lo, s4
	v_mov_b32_e32 v151, 0
	ds_load_b64 v[151:152], v151 offset:344
	s_waitcnt lgkmcnt(0)
	v_mul_f64 v[125:126], v[125:126], v[151:152]
	scratch_store_b64 off, v[125:126], off offset:344
.LBB61_178:
	s_or_b32 exec_lo, exec_lo, s3
	scratch_load_b64 v[125:126], off, off offset:336
	v_cmp_lt_u32_e64 s0, 42, v0
	s_waitcnt vmcnt(0)
	ds_store_b64 v128, v[125:126]
	s_waitcnt lgkmcnt(0)
	s_waitcnt_vscnt null, 0x0
	s_barrier
	buffer_gl0_inv
	s_and_saveexec_b32 s3, s0
	s_cbranch_execz .LBB61_188
; %bb.179:
	s_and_not1_b32 vcc_lo, exec_lo, s2
	s_cbranch_vccnz .LBB61_181
; %bb.180:
	scratch_load_b64 v[125:126], v129, off
	ds_load_b64 v[151:152], v128
	s_waitcnt vmcnt(0) lgkmcnt(0)
	v_mul_f64 v[125:126], v[125:126], v[151:152]
	s_cbranch_execz .LBB61_182
	s_branch .LBB61_183
.LBB61_181:
                                        ; implicit-def: $vgpr125_vgpr126
.LBB61_182:
	ds_load_b64 v[125:126], v128
.LBB61_183:
	s_and_saveexec_b32 s4, s1
	s_cbranch_execz .LBB61_187
; %bb.184:
	v_mov_b32_e32 v151, 0
	v_subrev_nc_u32_e32 v152, 43, v0
	s_movk_i32 s5, 0x348
	s_mov_b32 s1, 0
	s_delay_alu instid0(VALU_DEP_2)
	v_add_nc_u32_e32 v151, 0x158, v151
.LBB61_185:                             ; =>This Inner Loop Header: Depth=1
	scratch_load_b64 v[153:154], v151, off
	v_dual_mov_b32 v155, s5 :: v_dual_add_nc_u32 v152, -1, v152
	v_add_nc_u32_e32 v151, 8, v151
	s_add_i32 s5, s5, 8
	ds_load_b64 v[155:156], v155
	v_cmp_eq_u32_e32 vcc_lo, 0, v152
	s_or_b32 s1, vcc_lo, s1
	s_waitcnt vmcnt(0) lgkmcnt(0)
	v_fma_f64 v[125:126], v[153:154], v[155:156], v[125:126]
	s_and_not1_b32 exec_lo, exec_lo, s1
	s_cbranch_execnz .LBB61_185
; %bb.186:
	s_or_b32 exec_lo, exec_lo, s1
.LBB61_187:
	s_delay_alu instid0(SALU_CYCLE_1)
	s_or_b32 exec_lo, exec_lo, s4
	v_mov_b32_e32 v151, 0
	ds_load_b64 v[151:152], v151 offset:336
	s_waitcnt lgkmcnt(0)
	v_mul_f64 v[125:126], v[125:126], v[151:152]
	scratch_store_b64 off, v[125:126], off offset:336
.LBB61_188:
	s_or_b32 exec_lo, exec_lo, s3
	scratch_load_b64 v[125:126], off, off offset:328
	v_cmp_lt_u32_e64 s1, 41, v0
	s_waitcnt vmcnt(0)
	ds_store_b64 v128, v[125:126]
	s_waitcnt lgkmcnt(0)
	s_waitcnt_vscnt null, 0x0
	s_barrier
	buffer_gl0_inv
	s_and_saveexec_b32 s3, s1
	s_cbranch_execz .LBB61_198
; %bb.189:
	s_and_not1_b32 vcc_lo, exec_lo, s2
	s_cbranch_vccnz .LBB61_191
; %bb.190:
	scratch_load_b64 v[125:126], v129, off
	ds_load_b64 v[151:152], v128
	s_waitcnt vmcnt(0) lgkmcnt(0)
	v_mul_f64 v[125:126], v[125:126], v[151:152]
	s_cbranch_execz .LBB61_192
	s_branch .LBB61_193
.LBB61_191:
                                        ; implicit-def: $vgpr125_vgpr126
.LBB61_192:
	ds_load_b64 v[125:126], v128
.LBB61_193:
	s_and_saveexec_b32 s4, s0
	s_cbranch_execz .LBB61_197
; %bb.194:
	v_subrev_nc_u32_e32 v151, 42, v0
	s_movk_i32 s5, 0x340
	s_mov_b32 s0, 0
.LBB61_195:                             ; =>This Inner Loop Header: Depth=1
	scratch_load_b64 v[152:153], v150, off
	v_dual_mov_b32 v154, s5 :: v_dual_add_nc_u32 v151, -1, v151
	v_add_nc_u32_e32 v150, 8, v150
	s_add_i32 s5, s5, 8
	ds_load_b64 v[154:155], v154
	v_cmp_eq_u32_e32 vcc_lo, 0, v151
	s_or_b32 s0, vcc_lo, s0
	s_waitcnt vmcnt(0) lgkmcnt(0)
	v_fma_f64 v[125:126], v[152:153], v[154:155], v[125:126]
	s_and_not1_b32 exec_lo, exec_lo, s0
	s_cbranch_execnz .LBB61_195
; %bb.196:
	s_or_b32 exec_lo, exec_lo, s0
.LBB61_197:
	s_delay_alu instid0(SALU_CYCLE_1)
	s_or_b32 exec_lo, exec_lo, s4
	v_mov_b32_e32 v150, 0
	ds_load_b64 v[150:151], v150 offset:328
	s_waitcnt lgkmcnt(0)
	v_mul_f64 v[125:126], v[125:126], v[150:151]
	scratch_store_b64 off, v[125:126], off offset:328
.LBB61_198:
	s_or_b32 exec_lo, exec_lo, s3
	scratch_load_b64 v[125:126], off, off offset:320
	v_cmp_lt_u32_e64 s0, 40, v0
	s_waitcnt vmcnt(0)
	ds_store_b64 v128, v[125:126]
	s_waitcnt lgkmcnt(0)
	s_waitcnt_vscnt null, 0x0
	s_barrier
	buffer_gl0_inv
	s_and_saveexec_b32 s3, s0
	s_cbranch_execz .LBB61_208
; %bb.199:
	s_and_not1_b32 vcc_lo, exec_lo, s2
	s_cbranch_vccnz .LBB61_201
; %bb.200:
	scratch_load_b64 v[125:126], v129, off
	ds_load_b64 v[150:151], v128
	s_waitcnt vmcnt(0) lgkmcnt(0)
	v_mul_f64 v[125:126], v[125:126], v[150:151]
	s_cbranch_execz .LBB61_202
	s_branch .LBB61_203
.LBB61_201:
                                        ; implicit-def: $vgpr125_vgpr126
.LBB61_202:
	ds_load_b64 v[125:126], v128
.LBB61_203:
	s_and_saveexec_b32 s4, s1
	s_cbranch_execz .LBB61_207
; %bb.204:
	v_mov_b32_e32 v150, 0
	v_subrev_nc_u32_e32 v151, 41, v0
	s_movk_i32 s5, 0x338
	s_mov_b32 s1, 0
	s_delay_alu instid0(VALU_DEP_2)
	v_add_nc_u32_e32 v150, 0x148, v150
.LBB61_205:                             ; =>This Inner Loop Header: Depth=1
	scratch_load_b64 v[152:153], v150, off
	v_dual_mov_b32 v154, s5 :: v_dual_add_nc_u32 v151, -1, v151
	v_add_nc_u32_e32 v150, 8, v150
	s_add_i32 s5, s5, 8
	ds_load_b64 v[154:155], v154
	v_cmp_eq_u32_e32 vcc_lo, 0, v151
	s_or_b32 s1, vcc_lo, s1
	s_waitcnt vmcnt(0) lgkmcnt(0)
	v_fma_f64 v[125:126], v[152:153], v[154:155], v[125:126]
	s_and_not1_b32 exec_lo, exec_lo, s1
	s_cbranch_execnz .LBB61_205
; %bb.206:
	s_or_b32 exec_lo, exec_lo, s1
.LBB61_207:
	s_delay_alu instid0(SALU_CYCLE_1)
	s_or_b32 exec_lo, exec_lo, s4
	v_mov_b32_e32 v150, 0
	ds_load_b64 v[150:151], v150 offset:320
	s_waitcnt lgkmcnt(0)
	v_mul_f64 v[125:126], v[125:126], v[150:151]
	scratch_store_b64 off, v[125:126], off offset:320
.LBB61_208:
	s_or_b32 exec_lo, exec_lo, s3
	scratch_load_b64 v[125:126], off, off offset:312
	v_cmp_lt_u32_e64 s1, 39, v0
	s_waitcnt vmcnt(0)
	ds_store_b64 v128, v[125:126]
	s_waitcnt lgkmcnt(0)
	s_waitcnt_vscnt null, 0x0
	s_barrier
	buffer_gl0_inv
	s_and_saveexec_b32 s3, s1
	s_cbranch_execz .LBB61_218
; %bb.209:
	s_and_not1_b32 vcc_lo, exec_lo, s2
	s_cbranch_vccnz .LBB61_211
; %bb.210:
	scratch_load_b64 v[125:126], v129, off
	ds_load_b64 v[150:151], v128
	s_waitcnt vmcnt(0) lgkmcnt(0)
	v_mul_f64 v[125:126], v[125:126], v[150:151]
	s_cbranch_execz .LBB61_212
	s_branch .LBB61_213
.LBB61_211:
                                        ; implicit-def: $vgpr125_vgpr126
.LBB61_212:
	ds_load_b64 v[125:126], v128
.LBB61_213:
	s_and_saveexec_b32 s4, s0
	s_cbranch_execz .LBB61_217
; %bb.214:
	v_subrev_nc_u32_e32 v150, 40, v0
	s_movk_i32 s5, 0x330
	s_mov_b32 s0, 0
.LBB61_215:                             ; =>This Inner Loop Header: Depth=1
	scratch_load_b64 v[151:152], v149, off
	v_dual_mov_b32 v153, s5 :: v_dual_add_nc_u32 v150, -1, v150
	v_add_nc_u32_e32 v149, 8, v149
	s_add_i32 s5, s5, 8
	ds_load_b64 v[153:154], v153
	v_cmp_eq_u32_e32 vcc_lo, 0, v150
	s_or_b32 s0, vcc_lo, s0
	s_waitcnt vmcnt(0) lgkmcnt(0)
	v_fma_f64 v[125:126], v[151:152], v[153:154], v[125:126]
	s_and_not1_b32 exec_lo, exec_lo, s0
	s_cbranch_execnz .LBB61_215
; %bb.216:
	s_or_b32 exec_lo, exec_lo, s0
.LBB61_217:
	s_delay_alu instid0(SALU_CYCLE_1)
	s_or_b32 exec_lo, exec_lo, s4
	v_mov_b32_e32 v149, 0
	ds_load_b64 v[149:150], v149 offset:312
	s_waitcnt lgkmcnt(0)
	v_mul_f64 v[125:126], v[125:126], v[149:150]
	scratch_store_b64 off, v[125:126], off offset:312
.LBB61_218:
	s_or_b32 exec_lo, exec_lo, s3
	scratch_load_b64 v[125:126], off, off offset:304
	v_cmp_lt_u32_e64 s0, 38, v0
	s_waitcnt vmcnt(0)
	ds_store_b64 v128, v[125:126]
	s_waitcnt lgkmcnt(0)
	s_waitcnt_vscnt null, 0x0
	s_barrier
	buffer_gl0_inv
	s_and_saveexec_b32 s3, s0
	s_cbranch_execz .LBB61_228
; %bb.219:
	s_and_not1_b32 vcc_lo, exec_lo, s2
	s_cbranch_vccnz .LBB61_221
; %bb.220:
	scratch_load_b64 v[125:126], v129, off
	ds_load_b64 v[149:150], v128
	s_waitcnt vmcnt(0) lgkmcnt(0)
	v_mul_f64 v[125:126], v[125:126], v[149:150]
	s_cbranch_execz .LBB61_222
	s_branch .LBB61_223
.LBB61_221:
                                        ; implicit-def: $vgpr125_vgpr126
.LBB61_222:
	ds_load_b64 v[125:126], v128
.LBB61_223:
	s_and_saveexec_b32 s4, s1
	s_cbranch_execz .LBB61_227
; %bb.224:
	v_mov_b32_e32 v149, 0
	v_subrev_nc_u32_e32 v150, 39, v0
	s_movk_i32 s5, 0x328
	s_mov_b32 s1, 0
	s_delay_alu instid0(VALU_DEP_2)
	v_add_nc_u32_e32 v149, 0x138, v149
.LBB61_225:                             ; =>This Inner Loop Header: Depth=1
	scratch_load_b64 v[151:152], v149, off
	v_dual_mov_b32 v153, s5 :: v_dual_add_nc_u32 v150, -1, v150
	v_add_nc_u32_e32 v149, 8, v149
	s_add_i32 s5, s5, 8
	ds_load_b64 v[153:154], v153
	v_cmp_eq_u32_e32 vcc_lo, 0, v150
	s_or_b32 s1, vcc_lo, s1
	s_waitcnt vmcnt(0) lgkmcnt(0)
	v_fma_f64 v[125:126], v[151:152], v[153:154], v[125:126]
	s_and_not1_b32 exec_lo, exec_lo, s1
	s_cbranch_execnz .LBB61_225
; %bb.226:
	s_or_b32 exec_lo, exec_lo, s1
.LBB61_227:
	s_delay_alu instid0(SALU_CYCLE_1)
	s_or_b32 exec_lo, exec_lo, s4
	v_mov_b32_e32 v149, 0
	ds_load_b64 v[149:150], v149 offset:304
	s_waitcnt lgkmcnt(0)
	v_mul_f64 v[125:126], v[125:126], v[149:150]
	scratch_store_b64 off, v[125:126], off offset:304
.LBB61_228:
	s_or_b32 exec_lo, exec_lo, s3
	scratch_load_b64 v[125:126], off, off offset:296
	v_cmp_lt_u32_e64 s1, 37, v0
	s_waitcnt vmcnt(0)
	ds_store_b64 v128, v[125:126]
	s_waitcnt lgkmcnt(0)
	s_waitcnt_vscnt null, 0x0
	s_barrier
	buffer_gl0_inv
	s_and_saveexec_b32 s3, s1
	s_cbranch_execz .LBB61_238
; %bb.229:
	s_and_not1_b32 vcc_lo, exec_lo, s2
	s_cbranch_vccnz .LBB61_231
; %bb.230:
	scratch_load_b64 v[125:126], v129, off
	ds_load_b64 v[149:150], v128
	s_waitcnt vmcnt(0) lgkmcnt(0)
	v_mul_f64 v[125:126], v[125:126], v[149:150]
	s_cbranch_execz .LBB61_232
	s_branch .LBB61_233
.LBB61_231:
                                        ; implicit-def: $vgpr125_vgpr126
.LBB61_232:
	ds_load_b64 v[125:126], v128
.LBB61_233:
	s_and_saveexec_b32 s4, s0
	s_cbranch_execz .LBB61_237
; %bb.234:
	v_subrev_nc_u32_e32 v149, 38, v0
	s_movk_i32 s5, 0x320
	s_mov_b32 s0, 0
.LBB61_235:                             ; =>This Inner Loop Header: Depth=1
	scratch_load_b64 v[150:151], v148, off
	v_dual_mov_b32 v152, s5 :: v_dual_add_nc_u32 v149, -1, v149
	v_add_nc_u32_e32 v148, 8, v148
	s_add_i32 s5, s5, 8
	ds_load_b64 v[152:153], v152
	v_cmp_eq_u32_e32 vcc_lo, 0, v149
	s_or_b32 s0, vcc_lo, s0
	s_waitcnt vmcnt(0) lgkmcnt(0)
	v_fma_f64 v[125:126], v[150:151], v[152:153], v[125:126]
	s_and_not1_b32 exec_lo, exec_lo, s0
	s_cbranch_execnz .LBB61_235
; %bb.236:
	s_or_b32 exec_lo, exec_lo, s0
.LBB61_237:
	s_delay_alu instid0(SALU_CYCLE_1)
	s_or_b32 exec_lo, exec_lo, s4
	v_mov_b32_e32 v148, 0
	ds_load_b64 v[148:149], v148 offset:296
	s_waitcnt lgkmcnt(0)
	v_mul_f64 v[125:126], v[125:126], v[148:149]
	scratch_store_b64 off, v[125:126], off offset:296
.LBB61_238:
	s_or_b32 exec_lo, exec_lo, s3
	scratch_load_b64 v[125:126], off, off offset:288
	v_cmp_lt_u32_e64 s0, 36, v0
	s_waitcnt vmcnt(0)
	ds_store_b64 v128, v[125:126]
	s_waitcnt lgkmcnt(0)
	s_waitcnt_vscnt null, 0x0
	s_barrier
	buffer_gl0_inv
	s_and_saveexec_b32 s3, s0
	s_cbranch_execz .LBB61_248
; %bb.239:
	s_and_not1_b32 vcc_lo, exec_lo, s2
	s_cbranch_vccnz .LBB61_241
; %bb.240:
	scratch_load_b64 v[125:126], v129, off
	ds_load_b64 v[148:149], v128
	s_waitcnt vmcnt(0) lgkmcnt(0)
	v_mul_f64 v[125:126], v[125:126], v[148:149]
	s_cbranch_execz .LBB61_242
	s_branch .LBB61_243
.LBB61_241:
                                        ; implicit-def: $vgpr125_vgpr126
.LBB61_242:
	ds_load_b64 v[125:126], v128
.LBB61_243:
	s_and_saveexec_b32 s4, s1
	s_cbranch_execz .LBB61_247
; %bb.244:
	v_mov_b32_e32 v148, 0
	v_subrev_nc_u32_e32 v149, 37, v0
	s_movk_i32 s5, 0x318
	s_mov_b32 s1, 0
	s_delay_alu instid0(VALU_DEP_2)
	v_add_nc_u32_e32 v148, 0x128, v148
.LBB61_245:                             ; =>This Inner Loop Header: Depth=1
	scratch_load_b64 v[150:151], v148, off
	v_dual_mov_b32 v152, s5 :: v_dual_add_nc_u32 v149, -1, v149
	v_add_nc_u32_e32 v148, 8, v148
	s_add_i32 s5, s5, 8
	ds_load_b64 v[152:153], v152
	v_cmp_eq_u32_e32 vcc_lo, 0, v149
	s_or_b32 s1, vcc_lo, s1
	s_waitcnt vmcnt(0) lgkmcnt(0)
	v_fma_f64 v[125:126], v[150:151], v[152:153], v[125:126]
	s_and_not1_b32 exec_lo, exec_lo, s1
	s_cbranch_execnz .LBB61_245
; %bb.246:
	s_or_b32 exec_lo, exec_lo, s1
.LBB61_247:
	s_delay_alu instid0(SALU_CYCLE_1)
	s_or_b32 exec_lo, exec_lo, s4
	v_mov_b32_e32 v148, 0
	ds_load_b64 v[148:149], v148 offset:288
	s_waitcnt lgkmcnt(0)
	v_mul_f64 v[125:126], v[125:126], v[148:149]
	scratch_store_b64 off, v[125:126], off offset:288
.LBB61_248:
	s_or_b32 exec_lo, exec_lo, s3
	scratch_load_b64 v[125:126], off, off offset:280
	v_cmp_lt_u32_e64 s1, 35, v0
	s_waitcnt vmcnt(0)
	ds_store_b64 v128, v[125:126]
	s_waitcnt lgkmcnt(0)
	s_waitcnt_vscnt null, 0x0
	s_barrier
	buffer_gl0_inv
	s_and_saveexec_b32 s3, s1
	s_cbranch_execz .LBB61_258
; %bb.249:
	s_and_not1_b32 vcc_lo, exec_lo, s2
	s_cbranch_vccnz .LBB61_251
; %bb.250:
	scratch_load_b64 v[125:126], v129, off
	ds_load_b64 v[148:149], v128
	s_waitcnt vmcnt(0) lgkmcnt(0)
	v_mul_f64 v[125:126], v[125:126], v[148:149]
	s_cbranch_execz .LBB61_252
	s_branch .LBB61_253
.LBB61_251:
                                        ; implicit-def: $vgpr125_vgpr126
.LBB61_252:
	ds_load_b64 v[125:126], v128
.LBB61_253:
	s_and_saveexec_b32 s4, s0
	s_cbranch_execz .LBB61_257
; %bb.254:
	v_subrev_nc_u32_e32 v148, 36, v0
	s_movk_i32 s5, 0x310
	s_mov_b32 s0, 0
.LBB61_255:                             ; =>This Inner Loop Header: Depth=1
	scratch_load_b64 v[149:150], v147, off
	v_dual_mov_b32 v151, s5 :: v_dual_add_nc_u32 v148, -1, v148
	v_add_nc_u32_e32 v147, 8, v147
	s_add_i32 s5, s5, 8
	ds_load_b64 v[151:152], v151
	v_cmp_eq_u32_e32 vcc_lo, 0, v148
	s_or_b32 s0, vcc_lo, s0
	s_waitcnt vmcnt(0) lgkmcnt(0)
	v_fma_f64 v[125:126], v[149:150], v[151:152], v[125:126]
	s_and_not1_b32 exec_lo, exec_lo, s0
	s_cbranch_execnz .LBB61_255
; %bb.256:
	s_or_b32 exec_lo, exec_lo, s0
.LBB61_257:
	s_delay_alu instid0(SALU_CYCLE_1)
	s_or_b32 exec_lo, exec_lo, s4
	v_mov_b32_e32 v147, 0
	ds_load_b64 v[147:148], v147 offset:280
	s_waitcnt lgkmcnt(0)
	v_mul_f64 v[125:126], v[125:126], v[147:148]
	scratch_store_b64 off, v[125:126], off offset:280
.LBB61_258:
	s_or_b32 exec_lo, exec_lo, s3
	scratch_load_b64 v[125:126], off, off offset:272
	v_cmp_lt_u32_e64 s0, 34, v0
	s_waitcnt vmcnt(0)
	ds_store_b64 v128, v[125:126]
	s_waitcnt lgkmcnt(0)
	s_waitcnt_vscnt null, 0x0
	s_barrier
	buffer_gl0_inv
	s_and_saveexec_b32 s3, s0
	s_cbranch_execz .LBB61_268
; %bb.259:
	s_and_not1_b32 vcc_lo, exec_lo, s2
	s_cbranch_vccnz .LBB61_261
; %bb.260:
	scratch_load_b64 v[125:126], v129, off
	ds_load_b64 v[147:148], v128
	s_waitcnt vmcnt(0) lgkmcnt(0)
	v_mul_f64 v[125:126], v[125:126], v[147:148]
	s_cbranch_execz .LBB61_262
	s_branch .LBB61_263
.LBB61_261:
                                        ; implicit-def: $vgpr125_vgpr126
.LBB61_262:
	ds_load_b64 v[125:126], v128
.LBB61_263:
	s_and_saveexec_b32 s4, s1
	s_cbranch_execz .LBB61_267
; %bb.264:
	v_mov_b32_e32 v147, 0
	v_subrev_nc_u32_e32 v148, 35, v0
	s_movk_i32 s5, 0x308
	s_mov_b32 s1, 0
	s_delay_alu instid0(VALU_DEP_2)
	v_add_nc_u32_e32 v147, 0x118, v147
.LBB61_265:                             ; =>This Inner Loop Header: Depth=1
	scratch_load_b64 v[149:150], v147, off
	v_dual_mov_b32 v151, s5 :: v_dual_add_nc_u32 v148, -1, v148
	v_add_nc_u32_e32 v147, 8, v147
	s_add_i32 s5, s5, 8
	ds_load_b64 v[151:152], v151
	v_cmp_eq_u32_e32 vcc_lo, 0, v148
	s_or_b32 s1, vcc_lo, s1
	s_waitcnt vmcnt(0) lgkmcnt(0)
	v_fma_f64 v[125:126], v[149:150], v[151:152], v[125:126]
	s_and_not1_b32 exec_lo, exec_lo, s1
	s_cbranch_execnz .LBB61_265
; %bb.266:
	s_or_b32 exec_lo, exec_lo, s1
.LBB61_267:
	s_delay_alu instid0(SALU_CYCLE_1)
	s_or_b32 exec_lo, exec_lo, s4
	v_mov_b32_e32 v147, 0
	ds_load_b64 v[147:148], v147 offset:272
	s_waitcnt lgkmcnt(0)
	v_mul_f64 v[125:126], v[125:126], v[147:148]
	scratch_store_b64 off, v[125:126], off offset:272
.LBB61_268:
	s_or_b32 exec_lo, exec_lo, s3
	scratch_load_b64 v[125:126], off, off offset:264
	v_cmp_lt_u32_e64 s1, 33, v0
	s_waitcnt vmcnt(0)
	ds_store_b64 v128, v[125:126]
	s_waitcnt lgkmcnt(0)
	s_waitcnt_vscnt null, 0x0
	s_barrier
	buffer_gl0_inv
	s_and_saveexec_b32 s3, s1
	s_cbranch_execz .LBB61_278
; %bb.269:
	s_and_not1_b32 vcc_lo, exec_lo, s2
	s_cbranch_vccnz .LBB61_271
; %bb.270:
	scratch_load_b64 v[125:126], v129, off
	ds_load_b64 v[147:148], v128
	s_waitcnt vmcnt(0) lgkmcnt(0)
	v_mul_f64 v[125:126], v[125:126], v[147:148]
	s_cbranch_execz .LBB61_272
	s_branch .LBB61_273
.LBB61_271:
                                        ; implicit-def: $vgpr125_vgpr126
.LBB61_272:
	ds_load_b64 v[125:126], v128
.LBB61_273:
	s_and_saveexec_b32 s4, s0
	s_cbranch_execz .LBB61_277
; %bb.274:
	v_subrev_nc_u32_e32 v147, 34, v0
	s_movk_i32 s5, 0x300
	s_mov_b32 s0, 0
.LBB61_275:                             ; =>This Inner Loop Header: Depth=1
	scratch_load_b64 v[148:149], v146, off
	v_dual_mov_b32 v150, s5 :: v_dual_add_nc_u32 v147, -1, v147
	v_add_nc_u32_e32 v146, 8, v146
	s_add_i32 s5, s5, 8
	ds_load_b64 v[150:151], v150
	v_cmp_eq_u32_e32 vcc_lo, 0, v147
	s_or_b32 s0, vcc_lo, s0
	s_waitcnt vmcnt(0) lgkmcnt(0)
	v_fma_f64 v[125:126], v[148:149], v[150:151], v[125:126]
	s_and_not1_b32 exec_lo, exec_lo, s0
	s_cbranch_execnz .LBB61_275
; %bb.276:
	s_or_b32 exec_lo, exec_lo, s0
.LBB61_277:
	s_delay_alu instid0(SALU_CYCLE_1)
	s_or_b32 exec_lo, exec_lo, s4
	v_mov_b32_e32 v146, 0
	ds_load_b64 v[146:147], v146 offset:264
	s_waitcnt lgkmcnt(0)
	v_mul_f64 v[125:126], v[125:126], v[146:147]
	scratch_store_b64 off, v[125:126], off offset:264
.LBB61_278:
	s_or_b32 exec_lo, exec_lo, s3
	scratch_load_b64 v[125:126], off, off offset:256
	v_cmp_lt_u32_e64 s0, 32, v0
	s_waitcnt vmcnt(0)
	ds_store_b64 v128, v[125:126]
	s_waitcnt lgkmcnt(0)
	s_waitcnt_vscnt null, 0x0
	s_barrier
	buffer_gl0_inv
	s_and_saveexec_b32 s3, s0
	s_cbranch_execz .LBB61_288
; %bb.279:
	s_and_not1_b32 vcc_lo, exec_lo, s2
	s_cbranch_vccnz .LBB61_281
; %bb.280:
	scratch_load_b64 v[125:126], v129, off
	ds_load_b64 v[146:147], v128
	s_waitcnt vmcnt(0) lgkmcnt(0)
	v_mul_f64 v[125:126], v[125:126], v[146:147]
	s_cbranch_execz .LBB61_282
	s_branch .LBB61_283
.LBB61_281:
                                        ; implicit-def: $vgpr125_vgpr126
.LBB61_282:
	ds_load_b64 v[125:126], v128
.LBB61_283:
	s_and_saveexec_b32 s4, s1
	s_cbranch_execz .LBB61_287
; %bb.284:
	v_mov_b32_e32 v146, 0
	v_subrev_nc_u32_e32 v147, 33, v0
	s_movk_i32 s5, 0x2f8
	s_mov_b32 s1, 0
	s_delay_alu instid0(VALU_DEP_2)
	v_add_nc_u32_e32 v146, 0x108, v146
.LBB61_285:                             ; =>This Inner Loop Header: Depth=1
	scratch_load_b64 v[148:149], v146, off
	v_dual_mov_b32 v150, s5 :: v_dual_add_nc_u32 v147, -1, v147
	v_add_nc_u32_e32 v146, 8, v146
	s_add_i32 s5, s5, 8
	ds_load_b64 v[150:151], v150
	v_cmp_eq_u32_e32 vcc_lo, 0, v147
	s_or_b32 s1, vcc_lo, s1
	s_waitcnt vmcnt(0) lgkmcnt(0)
	v_fma_f64 v[125:126], v[148:149], v[150:151], v[125:126]
	s_and_not1_b32 exec_lo, exec_lo, s1
	s_cbranch_execnz .LBB61_285
; %bb.286:
	s_or_b32 exec_lo, exec_lo, s1
.LBB61_287:
	s_delay_alu instid0(SALU_CYCLE_1)
	s_or_b32 exec_lo, exec_lo, s4
	v_mov_b32_e32 v146, 0
	ds_load_b64 v[146:147], v146 offset:256
	s_waitcnt lgkmcnt(0)
	v_mul_f64 v[125:126], v[125:126], v[146:147]
	scratch_store_b64 off, v[125:126], off offset:256
.LBB61_288:
	s_or_b32 exec_lo, exec_lo, s3
	scratch_load_b64 v[125:126], off, off offset:248
	v_cmp_lt_u32_e64 s1, 31, v0
	s_waitcnt vmcnt(0)
	ds_store_b64 v128, v[125:126]
	s_waitcnt lgkmcnt(0)
	s_waitcnt_vscnt null, 0x0
	s_barrier
	buffer_gl0_inv
	s_and_saveexec_b32 s3, s1
	s_cbranch_execz .LBB61_298
; %bb.289:
	s_and_not1_b32 vcc_lo, exec_lo, s2
	s_cbranch_vccnz .LBB61_291
; %bb.290:
	scratch_load_b64 v[125:126], v129, off
	ds_load_b64 v[146:147], v128
	s_waitcnt vmcnt(0) lgkmcnt(0)
	v_mul_f64 v[125:126], v[125:126], v[146:147]
	s_cbranch_execz .LBB61_292
	s_branch .LBB61_293
.LBB61_291:
                                        ; implicit-def: $vgpr125_vgpr126
.LBB61_292:
	ds_load_b64 v[125:126], v128
.LBB61_293:
	s_and_saveexec_b32 s4, s0
	s_cbranch_execz .LBB61_297
; %bb.294:
	v_subrev_nc_u32_e32 v146, 32, v0
	s_movk_i32 s5, 0x2f0
	s_mov_b32 s0, 0
.LBB61_295:                             ; =>This Inner Loop Header: Depth=1
	scratch_load_b64 v[147:148], v145, off
	v_dual_mov_b32 v149, s5 :: v_dual_add_nc_u32 v146, -1, v146
	v_add_nc_u32_e32 v145, 8, v145
	s_add_i32 s5, s5, 8
	ds_load_b64 v[149:150], v149
	v_cmp_eq_u32_e32 vcc_lo, 0, v146
	s_or_b32 s0, vcc_lo, s0
	s_waitcnt vmcnt(0) lgkmcnt(0)
	v_fma_f64 v[125:126], v[147:148], v[149:150], v[125:126]
	s_and_not1_b32 exec_lo, exec_lo, s0
	s_cbranch_execnz .LBB61_295
; %bb.296:
	s_or_b32 exec_lo, exec_lo, s0
.LBB61_297:
	s_delay_alu instid0(SALU_CYCLE_1)
	s_or_b32 exec_lo, exec_lo, s4
	v_mov_b32_e32 v145, 0
	ds_load_b64 v[145:146], v145 offset:248
	s_waitcnt lgkmcnt(0)
	v_mul_f64 v[125:126], v[125:126], v[145:146]
	scratch_store_b64 off, v[125:126], off offset:248
.LBB61_298:
	s_or_b32 exec_lo, exec_lo, s3
	scratch_load_b64 v[125:126], off, off offset:240
	v_cmp_lt_u32_e64 s0, 30, v0
	s_waitcnt vmcnt(0)
	ds_store_b64 v128, v[125:126]
	s_waitcnt lgkmcnt(0)
	s_waitcnt_vscnt null, 0x0
	s_barrier
	buffer_gl0_inv
	s_and_saveexec_b32 s3, s0
	s_cbranch_execz .LBB61_308
; %bb.299:
	s_and_not1_b32 vcc_lo, exec_lo, s2
	s_cbranch_vccnz .LBB61_301
; %bb.300:
	scratch_load_b64 v[125:126], v129, off
	ds_load_b64 v[145:146], v128
	s_waitcnt vmcnt(0) lgkmcnt(0)
	v_mul_f64 v[125:126], v[125:126], v[145:146]
	s_cbranch_execz .LBB61_302
	s_branch .LBB61_303
.LBB61_301:
                                        ; implicit-def: $vgpr125_vgpr126
.LBB61_302:
	ds_load_b64 v[125:126], v128
.LBB61_303:
	s_and_saveexec_b32 s4, s1
	s_cbranch_execz .LBB61_307
; %bb.304:
	v_mov_b32_e32 v145, 0
	v_subrev_nc_u32_e32 v146, 31, v0
	s_movk_i32 s5, 0x2e8
	s_mov_b32 s1, 0
	s_delay_alu instid0(VALU_DEP_2)
	v_add_nc_u32_e32 v145, 0xf8, v145
.LBB61_305:                             ; =>This Inner Loop Header: Depth=1
	scratch_load_b64 v[147:148], v145, off
	v_dual_mov_b32 v149, s5 :: v_dual_add_nc_u32 v146, -1, v146
	v_add_nc_u32_e32 v145, 8, v145
	s_add_i32 s5, s5, 8
	ds_load_b64 v[149:150], v149
	v_cmp_eq_u32_e32 vcc_lo, 0, v146
	s_or_b32 s1, vcc_lo, s1
	s_waitcnt vmcnt(0) lgkmcnt(0)
	v_fma_f64 v[125:126], v[147:148], v[149:150], v[125:126]
	s_and_not1_b32 exec_lo, exec_lo, s1
	s_cbranch_execnz .LBB61_305
; %bb.306:
	s_or_b32 exec_lo, exec_lo, s1
.LBB61_307:
	s_delay_alu instid0(SALU_CYCLE_1)
	s_or_b32 exec_lo, exec_lo, s4
	v_mov_b32_e32 v145, 0
	ds_load_b64 v[145:146], v145 offset:240
	s_waitcnt lgkmcnt(0)
	v_mul_f64 v[125:126], v[125:126], v[145:146]
	scratch_store_b64 off, v[125:126], off offset:240
.LBB61_308:
	s_or_b32 exec_lo, exec_lo, s3
	scratch_load_b64 v[125:126], off, off offset:232
	v_cmp_lt_u32_e64 s1, 29, v0
	s_waitcnt vmcnt(0)
	ds_store_b64 v128, v[125:126]
	s_waitcnt lgkmcnt(0)
	s_waitcnt_vscnt null, 0x0
	s_barrier
	buffer_gl0_inv
	s_and_saveexec_b32 s3, s1
	s_cbranch_execz .LBB61_318
; %bb.309:
	s_and_not1_b32 vcc_lo, exec_lo, s2
	s_cbranch_vccnz .LBB61_311
; %bb.310:
	scratch_load_b64 v[125:126], v129, off
	ds_load_b64 v[145:146], v128
	s_waitcnt vmcnt(0) lgkmcnt(0)
	v_mul_f64 v[125:126], v[125:126], v[145:146]
	s_cbranch_execz .LBB61_312
	s_branch .LBB61_313
.LBB61_311:
                                        ; implicit-def: $vgpr125_vgpr126
.LBB61_312:
	ds_load_b64 v[125:126], v128
.LBB61_313:
	s_and_saveexec_b32 s4, s0
	s_cbranch_execz .LBB61_317
; %bb.314:
	v_subrev_nc_u32_e32 v145, 30, v0
	s_movk_i32 s5, 0x2e0
	s_mov_b32 s0, 0
.LBB61_315:                             ; =>This Inner Loop Header: Depth=1
	scratch_load_b64 v[146:147], v144, off
	v_dual_mov_b32 v148, s5 :: v_dual_add_nc_u32 v145, -1, v145
	v_add_nc_u32_e32 v144, 8, v144
	s_add_i32 s5, s5, 8
	ds_load_b64 v[148:149], v148
	v_cmp_eq_u32_e32 vcc_lo, 0, v145
	s_or_b32 s0, vcc_lo, s0
	s_waitcnt vmcnt(0) lgkmcnt(0)
	v_fma_f64 v[125:126], v[146:147], v[148:149], v[125:126]
	s_and_not1_b32 exec_lo, exec_lo, s0
	s_cbranch_execnz .LBB61_315
; %bb.316:
	s_or_b32 exec_lo, exec_lo, s0
.LBB61_317:
	s_delay_alu instid0(SALU_CYCLE_1)
	s_or_b32 exec_lo, exec_lo, s4
	v_mov_b32_e32 v144, 0
	ds_load_b64 v[144:145], v144 offset:232
	s_waitcnt lgkmcnt(0)
	v_mul_f64 v[125:126], v[125:126], v[144:145]
	scratch_store_b64 off, v[125:126], off offset:232
.LBB61_318:
	s_or_b32 exec_lo, exec_lo, s3
	scratch_load_b64 v[125:126], off, off offset:224
	v_cmp_lt_u32_e64 s0, 28, v0
	s_waitcnt vmcnt(0)
	ds_store_b64 v128, v[125:126]
	s_waitcnt lgkmcnt(0)
	s_waitcnt_vscnt null, 0x0
	s_barrier
	buffer_gl0_inv
	s_and_saveexec_b32 s3, s0
	s_cbranch_execz .LBB61_328
; %bb.319:
	s_and_not1_b32 vcc_lo, exec_lo, s2
	s_cbranch_vccnz .LBB61_321
; %bb.320:
	scratch_load_b64 v[125:126], v129, off
	ds_load_b64 v[144:145], v128
	s_waitcnt vmcnt(0) lgkmcnt(0)
	v_mul_f64 v[125:126], v[125:126], v[144:145]
	s_cbranch_execz .LBB61_322
	s_branch .LBB61_323
.LBB61_321:
                                        ; implicit-def: $vgpr125_vgpr126
.LBB61_322:
	ds_load_b64 v[125:126], v128
.LBB61_323:
	s_and_saveexec_b32 s4, s1
	s_cbranch_execz .LBB61_327
; %bb.324:
	v_mov_b32_e32 v144, 0
	v_subrev_nc_u32_e32 v145, 29, v0
	s_movk_i32 s5, 0x2d8
	s_mov_b32 s1, 0
	s_delay_alu instid0(VALU_DEP_2)
	v_add_nc_u32_e32 v144, 0xe8, v144
.LBB61_325:                             ; =>This Inner Loop Header: Depth=1
	scratch_load_b64 v[146:147], v144, off
	v_dual_mov_b32 v148, s5 :: v_dual_add_nc_u32 v145, -1, v145
	v_add_nc_u32_e32 v144, 8, v144
	s_add_i32 s5, s5, 8
	ds_load_b64 v[148:149], v148
	v_cmp_eq_u32_e32 vcc_lo, 0, v145
	s_or_b32 s1, vcc_lo, s1
	s_waitcnt vmcnt(0) lgkmcnt(0)
	v_fma_f64 v[125:126], v[146:147], v[148:149], v[125:126]
	s_and_not1_b32 exec_lo, exec_lo, s1
	s_cbranch_execnz .LBB61_325
; %bb.326:
	s_or_b32 exec_lo, exec_lo, s1
.LBB61_327:
	s_delay_alu instid0(SALU_CYCLE_1)
	s_or_b32 exec_lo, exec_lo, s4
	v_mov_b32_e32 v144, 0
	ds_load_b64 v[144:145], v144 offset:224
	s_waitcnt lgkmcnt(0)
	v_mul_f64 v[125:126], v[125:126], v[144:145]
	scratch_store_b64 off, v[125:126], off offset:224
.LBB61_328:
	s_or_b32 exec_lo, exec_lo, s3
	scratch_load_b64 v[125:126], off, off offset:216
	v_cmp_lt_u32_e64 s1, 27, v0
	s_waitcnt vmcnt(0)
	ds_store_b64 v128, v[125:126]
	s_waitcnt lgkmcnt(0)
	s_waitcnt_vscnt null, 0x0
	s_barrier
	buffer_gl0_inv
	s_and_saveexec_b32 s3, s1
	s_cbranch_execz .LBB61_338
; %bb.329:
	s_and_not1_b32 vcc_lo, exec_lo, s2
	s_cbranch_vccnz .LBB61_331
; %bb.330:
	scratch_load_b64 v[125:126], v129, off
	ds_load_b64 v[144:145], v128
	s_waitcnt vmcnt(0) lgkmcnt(0)
	v_mul_f64 v[125:126], v[125:126], v[144:145]
	s_cbranch_execz .LBB61_332
	s_branch .LBB61_333
.LBB61_331:
                                        ; implicit-def: $vgpr125_vgpr126
.LBB61_332:
	ds_load_b64 v[125:126], v128
.LBB61_333:
	s_and_saveexec_b32 s4, s0
	s_cbranch_execz .LBB61_337
; %bb.334:
	v_subrev_nc_u32_e32 v144, 28, v0
	s_movk_i32 s5, 0x2d0
	s_mov_b32 s0, 0
.LBB61_335:                             ; =>This Inner Loop Header: Depth=1
	scratch_load_b64 v[145:146], v143, off
	v_dual_mov_b32 v147, s5 :: v_dual_add_nc_u32 v144, -1, v144
	v_add_nc_u32_e32 v143, 8, v143
	s_add_i32 s5, s5, 8
	ds_load_b64 v[147:148], v147
	v_cmp_eq_u32_e32 vcc_lo, 0, v144
	s_or_b32 s0, vcc_lo, s0
	s_waitcnt vmcnt(0) lgkmcnt(0)
	v_fma_f64 v[125:126], v[145:146], v[147:148], v[125:126]
	s_and_not1_b32 exec_lo, exec_lo, s0
	s_cbranch_execnz .LBB61_335
; %bb.336:
	s_or_b32 exec_lo, exec_lo, s0
.LBB61_337:
	s_delay_alu instid0(SALU_CYCLE_1)
	s_or_b32 exec_lo, exec_lo, s4
	v_mov_b32_e32 v143, 0
	ds_load_b64 v[143:144], v143 offset:216
	s_waitcnt lgkmcnt(0)
	v_mul_f64 v[125:126], v[125:126], v[143:144]
	scratch_store_b64 off, v[125:126], off offset:216
.LBB61_338:
	s_or_b32 exec_lo, exec_lo, s3
	scratch_load_b64 v[125:126], off, off offset:208
	v_cmp_lt_u32_e64 s0, 26, v0
	s_waitcnt vmcnt(0)
	ds_store_b64 v128, v[125:126]
	s_waitcnt lgkmcnt(0)
	s_waitcnt_vscnt null, 0x0
	s_barrier
	buffer_gl0_inv
	s_and_saveexec_b32 s3, s0
	s_cbranch_execz .LBB61_348
; %bb.339:
	s_and_not1_b32 vcc_lo, exec_lo, s2
	s_cbranch_vccnz .LBB61_341
; %bb.340:
	scratch_load_b64 v[125:126], v129, off
	ds_load_b64 v[143:144], v128
	s_waitcnt vmcnt(0) lgkmcnt(0)
	v_mul_f64 v[125:126], v[125:126], v[143:144]
	s_cbranch_execz .LBB61_342
	s_branch .LBB61_343
.LBB61_341:
                                        ; implicit-def: $vgpr125_vgpr126
.LBB61_342:
	ds_load_b64 v[125:126], v128
.LBB61_343:
	s_and_saveexec_b32 s4, s1
	s_cbranch_execz .LBB61_347
; %bb.344:
	v_mov_b32_e32 v143, 0
	v_subrev_nc_u32_e32 v144, 27, v0
	s_movk_i32 s5, 0x2c8
	s_mov_b32 s1, 0
	s_delay_alu instid0(VALU_DEP_2)
	v_add_nc_u32_e32 v143, 0xd8, v143
.LBB61_345:                             ; =>This Inner Loop Header: Depth=1
	scratch_load_b64 v[145:146], v143, off
	v_dual_mov_b32 v147, s5 :: v_dual_add_nc_u32 v144, -1, v144
	v_add_nc_u32_e32 v143, 8, v143
	s_add_i32 s5, s5, 8
	ds_load_b64 v[147:148], v147
	v_cmp_eq_u32_e32 vcc_lo, 0, v144
	s_or_b32 s1, vcc_lo, s1
	s_waitcnt vmcnt(0) lgkmcnt(0)
	v_fma_f64 v[125:126], v[145:146], v[147:148], v[125:126]
	s_and_not1_b32 exec_lo, exec_lo, s1
	s_cbranch_execnz .LBB61_345
; %bb.346:
	s_or_b32 exec_lo, exec_lo, s1
.LBB61_347:
	s_delay_alu instid0(SALU_CYCLE_1)
	s_or_b32 exec_lo, exec_lo, s4
	v_mov_b32_e32 v143, 0
	ds_load_b64 v[143:144], v143 offset:208
	s_waitcnt lgkmcnt(0)
	v_mul_f64 v[125:126], v[125:126], v[143:144]
	scratch_store_b64 off, v[125:126], off offset:208
.LBB61_348:
	s_or_b32 exec_lo, exec_lo, s3
	scratch_load_b64 v[125:126], off, off offset:200
	v_cmp_lt_u32_e64 s1, 25, v0
	s_waitcnt vmcnt(0)
	ds_store_b64 v128, v[125:126]
	s_waitcnt lgkmcnt(0)
	s_waitcnt_vscnt null, 0x0
	s_barrier
	buffer_gl0_inv
	s_and_saveexec_b32 s3, s1
	s_cbranch_execz .LBB61_358
; %bb.349:
	s_and_not1_b32 vcc_lo, exec_lo, s2
	s_cbranch_vccnz .LBB61_351
; %bb.350:
	scratch_load_b64 v[125:126], v129, off
	ds_load_b64 v[143:144], v128
	s_waitcnt vmcnt(0) lgkmcnt(0)
	v_mul_f64 v[125:126], v[125:126], v[143:144]
	s_cbranch_execz .LBB61_352
	s_branch .LBB61_353
.LBB61_351:
                                        ; implicit-def: $vgpr125_vgpr126
.LBB61_352:
	ds_load_b64 v[125:126], v128
.LBB61_353:
	s_and_saveexec_b32 s4, s0
	s_cbranch_execz .LBB61_357
; %bb.354:
	v_subrev_nc_u32_e32 v143, 26, v0
	s_movk_i32 s5, 0x2c0
	s_mov_b32 s0, 0
.LBB61_355:                             ; =>This Inner Loop Header: Depth=1
	scratch_load_b64 v[144:145], v142, off
	v_dual_mov_b32 v146, s5 :: v_dual_add_nc_u32 v143, -1, v143
	v_add_nc_u32_e32 v142, 8, v142
	s_add_i32 s5, s5, 8
	ds_load_b64 v[146:147], v146
	v_cmp_eq_u32_e32 vcc_lo, 0, v143
	s_or_b32 s0, vcc_lo, s0
	s_waitcnt vmcnt(0) lgkmcnt(0)
	v_fma_f64 v[125:126], v[144:145], v[146:147], v[125:126]
	s_and_not1_b32 exec_lo, exec_lo, s0
	s_cbranch_execnz .LBB61_355
; %bb.356:
	s_or_b32 exec_lo, exec_lo, s0
.LBB61_357:
	s_delay_alu instid0(SALU_CYCLE_1)
	s_or_b32 exec_lo, exec_lo, s4
	v_mov_b32_e32 v142, 0
	ds_load_b64 v[142:143], v142 offset:200
	s_waitcnt lgkmcnt(0)
	v_mul_f64 v[125:126], v[125:126], v[142:143]
	scratch_store_b64 off, v[125:126], off offset:200
.LBB61_358:
	s_or_b32 exec_lo, exec_lo, s3
	scratch_load_b64 v[125:126], off, off offset:192
	v_cmp_lt_u32_e64 s0, 24, v0
	s_waitcnt vmcnt(0)
	ds_store_b64 v128, v[125:126]
	s_waitcnt lgkmcnt(0)
	s_waitcnt_vscnt null, 0x0
	s_barrier
	buffer_gl0_inv
	s_and_saveexec_b32 s3, s0
	s_cbranch_execz .LBB61_368
; %bb.359:
	s_and_not1_b32 vcc_lo, exec_lo, s2
	s_cbranch_vccnz .LBB61_361
; %bb.360:
	scratch_load_b64 v[125:126], v129, off
	ds_load_b64 v[142:143], v128
	s_waitcnt vmcnt(0) lgkmcnt(0)
	v_mul_f64 v[125:126], v[125:126], v[142:143]
	s_cbranch_execz .LBB61_362
	s_branch .LBB61_363
.LBB61_361:
                                        ; implicit-def: $vgpr125_vgpr126
.LBB61_362:
	ds_load_b64 v[125:126], v128
.LBB61_363:
	s_and_saveexec_b32 s4, s1
	s_cbranch_execz .LBB61_367
; %bb.364:
	v_mov_b32_e32 v142, 0
	v_subrev_nc_u32_e32 v143, 25, v0
	s_movk_i32 s5, 0x2b8
	s_mov_b32 s1, 0
	s_delay_alu instid0(VALU_DEP_2)
	v_add_nc_u32_e32 v142, 0xc8, v142
.LBB61_365:                             ; =>This Inner Loop Header: Depth=1
	scratch_load_b64 v[144:145], v142, off
	v_dual_mov_b32 v146, s5 :: v_dual_add_nc_u32 v143, -1, v143
	v_add_nc_u32_e32 v142, 8, v142
	s_add_i32 s5, s5, 8
	ds_load_b64 v[146:147], v146
	v_cmp_eq_u32_e32 vcc_lo, 0, v143
	s_or_b32 s1, vcc_lo, s1
	s_waitcnt vmcnt(0) lgkmcnt(0)
	v_fma_f64 v[125:126], v[144:145], v[146:147], v[125:126]
	s_and_not1_b32 exec_lo, exec_lo, s1
	s_cbranch_execnz .LBB61_365
; %bb.366:
	s_or_b32 exec_lo, exec_lo, s1
.LBB61_367:
	s_delay_alu instid0(SALU_CYCLE_1)
	s_or_b32 exec_lo, exec_lo, s4
	v_mov_b32_e32 v142, 0
	ds_load_b64 v[142:143], v142 offset:192
	s_waitcnt lgkmcnt(0)
	v_mul_f64 v[125:126], v[125:126], v[142:143]
	scratch_store_b64 off, v[125:126], off offset:192
.LBB61_368:
	s_or_b32 exec_lo, exec_lo, s3
	scratch_load_b64 v[125:126], off, off offset:184
	v_cmp_lt_u32_e64 s1, 23, v0
	s_waitcnt vmcnt(0)
	ds_store_b64 v128, v[125:126]
	s_waitcnt lgkmcnt(0)
	s_waitcnt_vscnt null, 0x0
	s_barrier
	buffer_gl0_inv
	s_and_saveexec_b32 s3, s1
	s_cbranch_execz .LBB61_378
; %bb.369:
	s_and_not1_b32 vcc_lo, exec_lo, s2
	s_cbranch_vccnz .LBB61_371
; %bb.370:
	scratch_load_b64 v[125:126], v129, off
	ds_load_b64 v[142:143], v128
	s_waitcnt vmcnt(0) lgkmcnt(0)
	v_mul_f64 v[125:126], v[125:126], v[142:143]
	s_cbranch_execz .LBB61_372
	s_branch .LBB61_373
.LBB61_371:
                                        ; implicit-def: $vgpr125_vgpr126
.LBB61_372:
	ds_load_b64 v[125:126], v128
.LBB61_373:
	s_and_saveexec_b32 s4, s0
	s_cbranch_execz .LBB61_377
; %bb.374:
	v_subrev_nc_u32_e32 v142, 24, v0
	s_movk_i32 s5, 0x2b0
	s_mov_b32 s0, 0
.LBB61_375:                             ; =>This Inner Loop Header: Depth=1
	scratch_load_b64 v[143:144], v141, off
	v_dual_mov_b32 v145, s5 :: v_dual_add_nc_u32 v142, -1, v142
	v_add_nc_u32_e32 v141, 8, v141
	s_add_i32 s5, s5, 8
	ds_load_b64 v[145:146], v145
	v_cmp_eq_u32_e32 vcc_lo, 0, v142
	s_or_b32 s0, vcc_lo, s0
	s_waitcnt vmcnt(0) lgkmcnt(0)
	v_fma_f64 v[125:126], v[143:144], v[145:146], v[125:126]
	s_and_not1_b32 exec_lo, exec_lo, s0
	s_cbranch_execnz .LBB61_375
; %bb.376:
	s_or_b32 exec_lo, exec_lo, s0
.LBB61_377:
	s_delay_alu instid0(SALU_CYCLE_1)
	s_or_b32 exec_lo, exec_lo, s4
	v_mov_b32_e32 v141, 0
	ds_load_b64 v[141:142], v141 offset:184
	s_waitcnt lgkmcnt(0)
	v_mul_f64 v[125:126], v[125:126], v[141:142]
	scratch_store_b64 off, v[125:126], off offset:184
.LBB61_378:
	s_or_b32 exec_lo, exec_lo, s3
	scratch_load_b64 v[125:126], off, off offset:176
	v_cmp_lt_u32_e64 s0, 22, v0
	s_waitcnt vmcnt(0)
	ds_store_b64 v128, v[125:126]
	s_waitcnt lgkmcnt(0)
	s_waitcnt_vscnt null, 0x0
	s_barrier
	buffer_gl0_inv
	s_and_saveexec_b32 s3, s0
	s_cbranch_execz .LBB61_388
; %bb.379:
	s_and_not1_b32 vcc_lo, exec_lo, s2
	s_cbranch_vccnz .LBB61_381
; %bb.380:
	scratch_load_b64 v[125:126], v129, off
	ds_load_b64 v[141:142], v128
	s_waitcnt vmcnt(0) lgkmcnt(0)
	v_mul_f64 v[125:126], v[125:126], v[141:142]
	s_cbranch_execz .LBB61_382
	s_branch .LBB61_383
.LBB61_381:
                                        ; implicit-def: $vgpr125_vgpr126
.LBB61_382:
	ds_load_b64 v[125:126], v128
.LBB61_383:
	s_and_saveexec_b32 s4, s1
	s_cbranch_execz .LBB61_387
; %bb.384:
	v_mov_b32_e32 v141, 0
	v_subrev_nc_u32_e32 v142, 23, v0
	s_movk_i32 s5, 0x2a8
	s_mov_b32 s1, 0
	s_delay_alu instid0(VALU_DEP_2)
	v_add_nc_u32_e32 v141, 0xb8, v141
.LBB61_385:                             ; =>This Inner Loop Header: Depth=1
	scratch_load_b64 v[143:144], v141, off
	v_dual_mov_b32 v145, s5 :: v_dual_add_nc_u32 v142, -1, v142
	v_add_nc_u32_e32 v141, 8, v141
	s_add_i32 s5, s5, 8
	ds_load_b64 v[145:146], v145
	v_cmp_eq_u32_e32 vcc_lo, 0, v142
	s_or_b32 s1, vcc_lo, s1
	s_waitcnt vmcnt(0) lgkmcnt(0)
	v_fma_f64 v[125:126], v[143:144], v[145:146], v[125:126]
	s_and_not1_b32 exec_lo, exec_lo, s1
	s_cbranch_execnz .LBB61_385
; %bb.386:
	s_or_b32 exec_lo, exec_lo, s1
.LBB61_387:
	s_delay_alu instid0(SALU_CYCLE_1)
	s_or_b32 exec_lo, exec_lo, s4
	v_mov_b32_e32 v141, 0
	ds_load_b64 v[141:142], v141 offset:176
	s_waitcnt lgkmcnt(0)
	v_mul_f64 v[125:126], v[125:126], v[141:142]
	scratch_store_b64 off, v[125:126], off offset:176
.LBB61_388:
	s_or_b32 exec_lo, exec_lo, s3
	scratch_load_b64 v[125:126], off, off offset:168
	v_cmp_lt_u32_e64 s1, 21, v0
	s_waitcnt vmcnt(0)
	ds_store_b64 v128, v[125:126]
	s_waitcnt lgkmcnt(0)
	s_waitcnt_vscnt null, 0x0
	s_barrier
	buffer_gl0_inv
	s_and_saveexec_b32 s3, s1
	s_cbranch_execz .LBB61_398
; %bb.389:
	s_and_not1_b32 vcc_lo, exec_lo, s2
	s_cbranch_vccnz .LBB61_391
; %bb.390:
	scratch_load_b64 v[125:126], v129, off
	ds_load_b64 v[141:142], v128
	s_waitcnt vmcnt(0) lgkmcnt(0)
	v_mul_f64 v[125:126], v[125:126], v[141:142]
	s_cbranch_execz .LBB61_392
	s_branch .LBB61_393
.LBB61_391:
                                        ; implicit-def: $vgpr125_vgpr126
.LBB61_392:
	ds_load_b64 v[125:126], v128
.LBB61_393:
	s_and_saveexec_b32 s4, s0
	s_cbranch_execz .LBB61_397
; %bb.394:
	v_subrev_nc_u32_e32 v141, 22, v0
	s_movk_i32 s5, 0x2a0
	s_mov_b32 s0, 0
.LBB61_395:                             ; =>This Inner Loop Header: Depth=1
	scratch_load_b64 v[142:143], v140, off
	v_dual_mov_b32 v144, s5 :: v_dual_add_nc_u32 v141, -1, v141
	v_add_nc_u32_e32 v140, 8, v140
	s_add_i32 s5, s5, 8
	ds_load_b64 v[144:145], v144
	v_cmp_eq_u32_e32 vcc_lo, 0, v141
	s_or_b32 s0, vcc_lo, s0
	s_waitcnt vmcnt(0) lgkmcnt(0)
	v_fma_f64 v[125:126], v[142:143], v[144:145], v[125:126]
	s_and_not1_b32 exec_lo, exec_lo, s0
	s_cbranch_execnz .LBB61_395
; %bb.396:
	s_or_b32 exec_lo, exec_lo, s0
.LBB61_397:
	s_delay_alu instid0(SALU_CYCLE_1)
	s_or_b32 exec_lo, exec_lo, s4
	v_mov_b32_e32 v140, 0
	ds_load_b64 v[140:141], v140 offset:168
	s_waitcnt lgkmcnt(0)
	v_mul_f64 v[125:126], v[125:126], v[140:141]
	scratch_store_b64 off, v[125:126], off offset:168
.LBB61_398:
	s_or_b32 exec_lo, exec_lo, s3
	scratch_load_b64 v[125:126], off, off offset:160
	v_cmp_lt_u32_e64 s0, 20, v0
	s_waitcnt vmcnt(0)
	ds_store_b64 v128, v[125:126]
	s_waitcnt lgkmcnt(0)
	s_waitcnt_vscnt null, 0x0
	s_barrier
	buffer_gl0_inv
	s_and_saveexec_b32 s3, s0
	s_cbranch_execz .LBB61_408
; %bb.399:
	s_and_not1_b32 vcc_lo, exec_lo, s2
	s_cbranch_vccnz .LBB61_401
; %bb.400:
	scratch_load_b64 v[125:126], v129, off
	ds_load_b64 v[140:141], v128
	s_waitcnt vmcnt(0) lgkmcnt(0)
	v_mul_f64 v[125:126], v[125:126], v[140:141]
	s_cbranch_execz .LBB61_402
	s_branch .LBB61_403
.LBB61_401:
                                        ; implicit-def: $vgpr125_vgpr126
.LBB61_402:
	ds_load_b64 v[125:126], v128
.LBB61_403:
	s_and_saveexec_b32 s4, s1
	s_cbranch_execz .LBB61_407
; %bb.404:
	v_mov_b32_e32 v140, 0
	v_subrev_nc_u32_e32 v141, 21, v0
	s_movk_i32 s5, 0x298
	s_mov_b32 s1, 0
	s_delay_alu instid0(VALU_DEP_2)
	v_add_nc_u32_e32 v140, 0xa8, v140
.LBB61_405:                             ; =>This Inner Loop Header: Depth=1
	scratch_load_b64 v[142:143], v140, off
	v_dual_mov_b32 v144, s5 :: v_dual_add_nc_u32 v141, -1, v141
	v_add_nc_u32_e32 v140, 8, v140
	s_add_i32 s5, s5, 8
	ds_load_b64 v[144:145], v144
	v_cmp_eq_u32_e32 vcc_lo, 0, v141
	s_or_b32 s1, vcc_lo, s1
	s_waitcnt vmcnt(0) lgkmcnt(0)
	v_fma_f64 v[125:126], v[142:143], v[144:145], v[125:126]
	s_and_not1_b32 exec_lo, exec_lo, s1
	s_cbranch_execnz .LBB61_405
; %bb.406:
	s_or_b32 exec_lo, exec_lo, s1
.LBB61_407:
	s_delay_alu instid0(SALU_CYCLE_1)
	s_or_b32 exec_lo, exec_lo, s4
	v_mov_b32_e32 v140, 0
	ds_load_b64 v[140:141], v140 offset:160
	s_waitcnt lgkmcnt(0)
	v_mul_f64 v[125:126], v[125:126], v[140:141]
	scratch_store_b64 off, v[125:126], off offset:160
.LBB61_408:
	s_or_b32 exec_lo, exec_lo, s3
	scratch_load_b64 v[125:126], off, off offset:152
	v_cmp_lt_u32_e64 s1, 19, v0
	s_waitcnt vmcnt(0)
	ds_store_b64 v128, v[125:126]
	s_waitcnt lgkmcnt(0)
	s_waitcnt_vscnt null, 0x0
	s_barrier
	buffer_gl0_inv
	s_and_saveexec_b32 s3, s1
	s_cbranch_execz .LBB61_418
; %bb.409:
	s_and_not1_b32 vcc_lo, exec_lo, s2
	s_cbranch_vccnz .LBB61_411
; %bb.410:
	scratch_load_b64 v[125:126], v129, off
	ds_load_b64 v[140:141], v128
	s_waitcnt vmcnt(0) lgkmcnt(0)
	v_mul_f64 v[125:126], v[125:126], v[140:141]
	s_cbranch_execz .LBB61_412
	s_branch .LBB61_413
.LBB61_411:
                                        ; implicit-def: $vgpr125_vgpr126
.LBB61_412:
	ds_load_b64 v[125:126], v128
.LBB61_413:
	s_and_saveexec_b32 s4, s0
	s_cbranch_execz .LBB61_417
; %bb.414:
	v_subrev_nc_u32_e32 v140, 20, v0
	s_movk_i32 s5, 0x290
	s_mov_b32 s0, 0
.LBB61_415:                             ; =>This Inner Loop Header: Depth=1
	scratch_load_b64 v[141:142], v139, off
	v_dual_mov_b32 v143, s5 :: v_dual_add_nc_u32 v140, -1, v140
	v_add_nc_u32_e32 v139, 8, v139
	s_add_i32 s5, s5, 8
	ds_load_b64 v[143:144], v143
	v_cmp_eq_u32_e32 vcc_lo, 0, v140
	s_or_b32 s0, vcc_lo, s0
	s_waitcnt vmcnt(0) lgkmcnt(0)
	v_fma_f64 v[125:126], v[141:142], v[143:144], v[125:126]
	s_and_not1_b32 exec_lo, exec_lo, s0
	s_cbranch_execnz .LBB61_415
; %bb.416:
	s_or_b32 exec_lo, exec_lo, s0
.LBB61_417:
	s_delay_alu instid0(SALU_CYCLE_1)
	s_or_b32 exec_lo, exec_lo, s4
	v_mov_b32_e32 v139, 0
	ds_load_b64 v[139:140], v139 offset:152
	s_waitcnt lgkmcnt(0)
	v_mul_f64 v[125:126], v[125:126], v[139:140]
	scratch_store_b64 off, v[125:126], off offset:152
.LBB61_418:
	s_or_b32 exec_lo, exec_lo, s3
	scratch_load_b64 v[125:126], off, off offset:144
	v_cmp_lt_u32_e64 s0, 18, v0
	s_waitcnt vmcnt(0)
	ds_store_b64 v128, v[125:126]
	s_waitcnt lgkmcnt(0)
	s_waitcnt_vscnt null, 0x0
	s_barrier
	buffer_gl0_inv
	s_and_saveexec_b32 s3, s0
	s_cbranch_execz .LBB61_428
; %bb.419:
	s_and_not1_b32 vcc_lo, exec_lo, s2
	s_cbranch_vccnz .LBB61_421
; %bb.420:
	scratch_load_b64 v[125:126], v129, off
	ds_load_b64 v[139:140], v128
	s_waitcnt vmcnt(0) lgkmcnt(0)
	v_mul_f64 v[125:126], v[125:126], v[139:140]
	s_cbranch_execz .LBB61_422
	s_branch .LBB61_423
.LBB61_421:
                                        ; implicit-def: $vgpr125_vgpr126
.LBB61_422:
	ds_load_b64 v[125:126], v128
.LBB61_423:
	s_and_saveexec_b32 s4, s1
	s_cbranch_execz .LBB61_427
; %bb.424:
	v_mov_b32_e32 v139, 0
	v_subrev_nc_u32_e32 v140, 19, v0
	s_movk_i32 s5, 0x288
	s_mov_b32 s1, 0
	s_delay_alu instid0(VALU_DEP_2)
	v_add_nc_u32_e32 v139, 0x98, v139
.LBB61_425:                             ; =>This Inner Loop Header: Depth=1
	scratch_load_b64 v[141:142], v139, off
	v_dual_mov_b32 v143, s5 :: v_dual_add_nc_u32 v140, -1, v140
	v_add_nc_u32_e32 v139, 8, v139
	s_add_i32 s5, s5, 8
	ds_load_b64 v[143:144], v143
	v_cmp_eq_u32_e32 vcc_lo, 0, v140
	s_or_b32 s1, vcc_lo, s1
	s_waitcnt vmcnt(0) lgkmcnt(0)
	v_fma_f64 v[125:126], v[141:142], v[143:144], v[125:126]
	s_and_not1_b32 exec_lo, exec_lo, s1
	s_cbranch_execnz .LBB61_425
; %bb.426:
	s_or_b32 exec_lo, exec_lo, s1
.LBB61_427:
	s_delay_alu instid0(SALU_CYCLE_1)
	s_or_b32 exec_lo, exec_lo, s4
	v_mov_b32_e32 v139, 0
	ds_load_b64 v[139:140], v139 offset:144
	s_waitcnt lgkmcnt(0)
	v_mul_f64 v[125:126], v[125:126], v[139:140]
	scratch_store_b64 off, v[125:126], off offset:144
.LBB61_428:
	s_or_b32 exec_lo, exec_lo, s3
	scratch_load_b64 v[125:126], off, off offset:136
	v_cmp_lt_u32_e64 s1, 17, v0
	s_waitcnt vmcnt(0)
	ds_store_b64 v128, v[125:126]
	s_waitcnt lgkmcnt(0)
	s_waitcnt_vscnt null, 0x0
	s_barrier
	buffer_gl0_inv
	s_and_saveexec_b32 s3, s1
	s_cbranch_execz .LBB61_438
; %bb.429:
	s_and_not1_b32 vcc_lo, exec_lo, s2
	s_cbranch_vccnz .LBB61_431
; %bb.430:
	scratch_load_b64 v[125:126], v129, off
	ds_load_b64 v[139:140], v128
	s_waitcnt vmcnt(0) lgkmcnt(0)
	v_mul_f64 v[125:126], v[125:126], v[139:140]
	s_cbranch_execz .LBB61_432
	s_branch .LBB61_433
.LBB61_431:
                                        ; implicit-def: $vgpr125_vgpr126
.LBB61_432:
	ds_load_b64 v[125:126], v128
.LBB61_433:
	s_and_saveexec_b32 s4, s0
	s_cbranch_execz .LBB61_437
; %bb.434:
	v_subrev_nc_u32_e32 v139, 18, v0
	s_movk_i32 s5, 0x280
	s_mov_b32 s0, 0
.LBB61_435:                             ; =>This Inner Loop Header: Depth=1
	scratch_load_b64 v[140:141], v138, off
	v_dual_mov_b32 v142, s5 :: v_dual_add_nc_u32 v139, -1, v139
	v_add_nc_u32_e32 v138, 8, v138
	s_add_i32 s5, s5, 8
	ds_load_b64 v[142:143], v142
	v_cmp_eq_u32_e32 vcc_lo, 0, v139
	s_or_b32 s0, vcc_lo, s0
	s_waitcnt vmcnt(0) lgkmcnt(0)
	v_fma_f64 v[125:126], v[140:141], v[142:143], v[125:126]
	s_and_not1_b32 exec_lo, exec_lo, s0
	s_cbranch_execnz .LBB61_435
; %bb.436:
	s_or_b32 exec_lo, exec_lo, s0
.LBB61_437:
	s_delay_alu instid0(SALU_CYCLE_1)
	s_or_b32 exec_lo, exec_lo, s4
	v_mov_b32_e32 v138, 0
	ds_load_b64 v[138:139], v138 offset:136
	s_waitcnt lgkmcnt(0)
	v_mul_f64 v[125:126], v[125:126], v[138:139]
	scratch_store_b64 off, v[125:126], off offset:136
.LBB61_438:
	s_or_b32 exec_lo, exec_lo, s3
	scratch_load_b64 v[125:126], off, off offset:128
	v_cmp_lt_u32_e64 s0, 16, v0
	s_waitcnt vmcnt(0)
	ds_store_b64 v128, v[125:126]
	s_waitcnt lgkmcnt(0)
	s_waitcnt_vscnt null, 0x0
	s_barrier
	buffer_gl0_inv
	s_and_saveexec_b32 s3, s0
	s_cbranch_execz .LBB61_448
; %bb.439:
	s_and_not1_b32 vcc_lo, exec_lo, s2
	s_cbranch_vccnz .LBB61_441
; %bb.440:
	scratch_load_b64 v[125:126], v129, off
	ds_load_b64 v[138:139], v128
	s_waitcnt vmcnt(0) lgkmcnt(0)
	v_mul_f64 v[125:126], v[125:126], v[138:139]
	s_cbranch_execz .LBB61_442
	s_branch .LBB61_443
.LBB61_441:
                                        ; implicit-def: $vgpr125_vgpr126
.LBB61_442:
	ds_load_b64 v[125:126], v128
.LBB61_443:
	s_and_saveexec_b32 s4, s1
	s_cbranch_execz .LBB61_447
; %bb.444:
	v_mov_b32_e32 v138, 0
	v_subrev_nc_u32_e32 v139, 17, v0
	s_movk_i32 s5, 0x278
	s_mov_b32 s1, 0
	s_delay_alu instid0(VALU_DEP_2)
	v_add_nc_u32_e32 v138, 0x88, v138
.LBB61_445:                             ; =>This Inner Loop Header: Depth=1
	scratch_load_b64 v[140:141], v138, off
	v_dual_mov_b32 v142, s5 :: v_dual_add_nc_u32 v139, -1, v139
	v_add_nc_u32_e32 v138, 8, v138
	s_add_i32 s5, s5, 8
	ds_load_b64 v[142:143], v142
	v_cmp_eq_u32_e32 vcc_lo, 0, v139
	s_or_b32 s1, vcc_lo, s1
	s_waitcnt vmcnt(0) lgkmcnt(0)
	v_fma_f64 v[125:126], v[140:141], v[142:143], v[125:126]
	s_and_not1_b32 exec_lo, exec_lo, s1
	s_cbranch_execnz .LBB61_445
; %bb.446:
	s_or_b32 exec_lo, exec_lo, s1
.LBB61_447:
	s_delay_alu instid0(SALU_CYCLE_1)
	s_or_b32 exec_lo, exec_lo, s4
	v_mov_b32_e32 v138, 0
	ds_load_b64 v[138:139], v138 offset:128
	s_waitcnt lgkmcnt(0)
	v_mul_f64 v[125:126], v[125:126], v[138:139]
	scratch_store_b64 off, v[125:126], off offset:128
.LBB61_448:
	s_or_b32 exec_lo, exec_lo, s3
	scratch_load_b64 v[125:126], off, off offset:120
	v_cmp_lt_u32_e64 s1, 15, v0
	s_waitcnt vmcnt(0)
	ds_store_b64 v128, v[125:126]
	s_waitcnt lgkmcnt(0)
	s_waitcnt_vscnt null, 0x0
	s_barrier
	buffer_gl0_inv
	s_and_saveexec_b32 s3, s1
	s_cbranch_execz .LBB61_458
; %bb.449:
	s_and_not1_b32 vcc_lo, exec_lo, s2
	s_cbranch_vccnz .LBB61_451
; %bb.450:
	scratch_load_b64 v[125:126], v129, off
	ds_load_b64 v[138:139], v128
	s_waitcnt vmcnt(0) lgkmcnt(0)
	v_mul_f64 v[125:126], v[125:126], v[138:139]
	s_cbranch_execz .LBB61_452
	s_branch .LBB61_453
.LBB61_451:
                                        ; implicit-def: $vgpr125_vgpr126
.LBB61_452:
	ds_load_b64 v[125:126], v128
.LBB61_453:
	s_and_saveexec_b32 s4, s0
	s_cbranch_execz .LBB61_457
; %bb.454:
	v_add_nc_u32_e32 v138, -16, v0
	s_movk_i32 s5, 0x270
	s_mov_b32 s0, 0
.LBB61_455:                             ; =>This Inner Loop Header: Depth=1
	scratch_load_b64 v[139:140], v137, off
	v_dual_mov_b32 v141, s5 :: v_dual_add_nc_u32 v138, -1, v138
	v_add_nc_u32_e32 v137, 8, v137
	s_add_i32 s5, s5, 8
	ds_load_b64 v[141:142], v141
	v_cmp_eq_u32_e32 vcc_lo, 0, v138
	s_or_b32 s0, vcc_lo, s0
	s_waitcnt vmcnt(0) lgkmcnt(0)
	v_fma_f64 v[125:126], v[139:140], v[141:142], v[125:126]
	s_and_not1_b32 exec_lo, exec_lo, s0
	s_cbranch_execnz .LBB61_455
; %bb.456:
	s_or_b32 exec_lo, exec_lo, s0
.LBB61_457:
	s_delay_alu instid0(SALU_CYCLE_1)
	s_or_b32 exec_lo, exec_lo, s4
	v_mov_b32_e32 v137, 0
	ds_load_b64 v[137:138], v137 offset:120
	s_waitcnt lgkmcnt(0)
	v_mul_f64 v[125:126], v[125:126], v[137:138]
	scratch_store_b64 off, v[125:126], off offset:120
.LBB61_458:
	s_or_b32 exec_lo, exec_lo, s3
	scratch_load_b64 v[125:126], off, off offset:112
	v_cmp_lt_u32_e64 s0, 14, v0
	s_waitcnt vmcnt(0)
	ds_store_b64 v128, v[125:126]
	s_waitcnt lgkmcnt(0)
	s_waitcnt_vscnt null, 0x0
	s_barrier
	buffer_gl0_inv
	s_and_saveexec_b32 s3, s0
	s_cbranch_execz .LBB61_468
; %bb.459:
	s_and_not1_b32 vcc_lo, exec_lo, s2
	s_cbranch_vccnz .LBB61_461
; %bb.460:
	scratch_load_b64 v[125:126], v129, off
	ds_load_b64 v[137:138], v128
	s_waitcnt vmcnt(0) lgkmcnt(0)
	v_mul_f64 v[125:126], v[125:126], v[137:138]
	s_cbranch_execz .LBB61_462
	s_branch .LBB61_463
.LBB61_461:
                                        ; implicit-def: $vgpr125_vgpr126
.LBB61_462:
	ds_load_b64 v[125:126], v128
.LBB61_463:
	s_and_saveexec_b32 s4, s1
	s_cbranch_execz .LBB61_467
; %bb.464:
	v_dual_mov_b32 v137, 0 :: v_dual_add_nc_u32 v138, -15, v0
	s_movk_i32 s5, 0x268
	s_mov_b32 s1, 0
	s_delay_alu instid0(VALU_DEP_1)
	v_add_nc_u32_e32 v137, 0x78, v137
.LBB61_465:                             ; =>This Inner Loop Header: Depth=1
	scratch_load_b64 v[139:140], v137, off
	v_dual_mov_b32 v141, s5 :: v_dual_add_nc_u32 v138, -1, v138
	v_add_nc_u32_e32 v137, 8, v137
	s_add_i32 s5, s5, 8
	ds_load_b64 v[141:142], v141
	v_cmp_eq_u32_e32 vcc_lo, 0, v138
	s_or_b32 s1, vcc_lo, s1
	s_waitcnt vmcnt(0) lgkmcnt(0)
	v_fma_f64 v[125:126], v[139:140], v[141:142], v[125:126]
	s_and_not1_b32 exec_lo, exec_lo, s1
	s_cbranch_execnz .LBB61_465
; %bb.466:
	s_or_b32 exec_lo, exec_lo, s1
.LBB61_467:
	s_delay_alu instid0(SALU_CYCLE_1)
	s_or_b32 exec_lo, exec_lo, s4
	v_mov_b32_e32 v137, 0
	ds_load_b64 v[137:138], v137 offset:112
	s_waitcnt lgkmcnt(0)
	v_mul_f64 v[125:126], v[125:126], v[137:138]
	scratch_store_b64 off, v[125:126], off offset:112
.LBB61_468:
	s_or_b32 exec_lo, exec_lo, s3
	scratch_load_b64 v[125:126], off, off offset:104
	v_cmp_lt_u32_e64 s1, 13, v0
	s_waitcnt vmcnt(0)
	ds_store_b64 v128, v[125:126]
	s_waitcnt lgkmcnt(0)
	s_waitcnt_vscnt null, 0x0
	s_barrier
	buffer_gl0_inv
	s_and_saveexec_b32 s3, s1
	s_cbranch_execz .LBB61_478
; %bb.469:
	s_and_not1_b32 vcc_lo, exec_lo, s2
	s_cbranch_vccnz .LBB61_471
; %bb.470:
	scratch_load_b64 v[125:126], v129, off
	ds_load_b64 v[137:138], v128
	s_waitcnt vmcnt(0) lgkmcnt(0)
	v_mul_f64 v[125:126], v[125:126], v[137:138]
	s_cbranch_execz .LBB61_472
	s_branch .LBB61_473
.LBB61_471:
                                        ; implicit-def: $vgpr125_vgpr126
.LBB61_472:
	ds_load_b64 v[125:126], v128
.LBB61_473:
	s_and_saveexec_b32 s4, s0
	s_cbranch_execz .LBB61_477
; %bb.474:
	v_add_nc_u32_e32 v137, -14, v0
	s_movk_i32 s5, 0x260
	s_mov_b32 s0, 0
.LBB61_475:                             ; =>This Inner Loop Header: Depth=1
	scratch_load_b64 v[138:139], v136, off
	v_dual_mov_b32 v140, s5 :: v_dual_add_nc_u32 v137, -1, v137
	v_add_nc_u32_e32 v136, 8, v136
	s_add_i32 s5, s5, 8
	ds_load_b64 v[140:141], v140
	v_cmp_eq_u32_e32 vcc_lo, 0, v137
	s_or_b32 s0, vcc_lo, s0
	s_waitcnt vmcnt(0) lgkmcnt(0)
	v_fma_f64 v[125:126], v[138:139], v[140:141], v[125:126]
	s_and_not1_b32 exec_lo, exec_lo, s0
	s_cbranch_execnz .LBB61_475
; %bb.476:
	s_or_b32 exec_lo, exec_lo, s0
.LBB61_477:
	s_delay_alu instid0(SALU_CYCLE_1)
	s_or_b32 exec_lo, exec_lo, s4
	v_mov_b32_e32 v136, 0
	ds_load_b64 v[136:137], v136 offset:104
	s_waitcnt lgkmcnt(0)
	v_mul_f64 v[125:126], v[125:126], v[136:137]
	scratch_store_b64 off, v[125:126], off offset:104
.LBB61_478:
	s_or_b32 exec_lo, exec_lo, s3
	scratch_load_b64 v[125:126], off, off offset:96
	v_cmp_lt_u32_e64 s0, 12, v0
	s_waitcnt vmcnt(0)
	ds_store_b64 v128, v[125:126]
	s_waitcnt lgkmcnt(0)
	s_waitcnt_vscnt null, 0x0
	s_barrier
	buffer_gl0_inv
	s_and_saveexec_b32 s3, s0
	s_cbranch_execz .LBB61_488
; %bb.479:
	s_and_not1_b32 vcc_lo, exec_lo, s2
	s_cbranch_vccnz .LBB61_481
; %bb.480:
	scratch_load_b64 v[125:126], v129, off
	ds_load_b64 v[136:137], v128
	s_waitcnt vmcnt(0) lgkmcnt(0)
	v_mul_f64 v[125:126], v[125:126], v[136:137]
	s_cbranch_execz .LBB61_482
	s_branch .LBB61_483
.LBB61_481:
                                        ; implicit-def: $vgpr125_vgpr126
.LBB61_482:
	ds_load_b64 v[125:126], v128
.LBB61_483:
	s_and_saveexec_b32 s4, s1
	s_cbranch_execz .LBB61_487
; %bb.484:
	v_dual_mov_b32 v136, 0 :: v_dual_add_nc_u32 v137, -13, v0
	s_movk_i32 s5, 0x258
	s_mov_b32 s1, 0
	s_delay_alu instid0(VALU_DEP_1)
	v_add_nc_u32_e32 v136, 0x68, v136
.LBB61_485:                             ; =>This Inner Loop Header: Depth=1
	scratch_load_b64 v[138:139], v136, off
	v_dual_mov_b32 v140, s5 :: v_dual_add_nc_u32 v137, -1, v137
	v_add_nc_u32_e32 v136, 8, v136
	s_add_i32 s5, s5, 8
	ds_load_b64 v[140:141], v140
	v_cmp_eq_u32_e32 vcc_lo, 0, v137
	s_or_b32 s1, vcc_lo, s1
	s_waitcnt vmcnt(0) lgkmcnt(0)
	v_fma_f64 v[125:126], v[138:139], v[140:141], v[125:126]
	s_and_not1_b32 exec_lo, exec_lo, s1
	s_cbranch_execnz .LBB61_485
; %bb.486:
	s_or_b32 exec_lo, exec_lo, s1
.LBB61_487:
	s_delay_alu instid0(SALU_CYCLE_1)
	s_or_b32 exec_lo, exec_lo, s4
	v_mov_b32_e32 v136, 0
	ds_load_b64 v[136:137], v136 offset:96
	s_waitcnt lgkmcnt(0)
	v_mul_f64 v[125:126], v[125:126], v[136:137]
	scratch_store_b64 off, v[125:126], off offset:96
.LBB61_488:
	s_or_b32 exec_lo, exec_lo, s3
	scratch_load_b64 v[125:126], off, off offset:88
	v_cmp_lt_u32_e64 s1, 11, v0
	s_waitcnt vmcnt(0)
	ds_store_b64 v128, v[125:126]
	s_waitcnt lgkmcnt(0)
	s_waitcnt_vscnt null, 0x0
	s_barrier
	buffer_gl0_inv
	s_and_saveexec_b32 s3, s1
	s_cbranch_execz .LBB61_498
; %bb.489:
	s_and_not1_b32 vcc_lo, exec_lo, s2
	s_cbranch_vccnz .LBB61_491
; %bb.490:
	scratch_load_b64 v[125:126], v129, off
	ds_load_b64 v[136:137], v128
	s_waitcnt vmcnt(0) lgkmcnt(0)
	v_mul_f64 v[125:126], v[125:126], v[136:137]
	s_cbranch_execz .LBB61_492
	s_branch .LBB61_493
.LBB61_491:
                                        ; implicit-def: $vgpr125_vgpr126
.LBB61_492:
	ds_load_b64 v[125:126], v128
.LBB61_493:
	s_and_saveexec_b32 s4, s0
	s_cbranch_execz .LBB61_497
; %bb.494:
	v_add_nc_u32_e32 v136, -12, v0
	s_movk_i32 s5, 0x250
	s_mov_b32 s0, 0
.LBB61_495:                             ; =>This Inner Loop Header: Depth=1
	scratch_load_b64 v[137:138], v135, off
	v_dual_mov_b32 v139, s5 :: v_dual_add_nc_u32 v136, -1, v136
	v_add_nc_u32_e32 v135, 8, v135
	s_add_i32 s5, s5, 8
	ds_load_b64 v[139:140], v139
	v_cmp_eq_u32_e32 vcc_lo, 0, v136
	s_or_b32 s0, vcc_lo, s0
	s_waitcnt vmcnt(0) lgkmcnt(0)
	v_fma_f64 v[125:126], v[137:138], v[139:140], v[125:126]
	s_and_not1_b32 exec_lo, exec_lo, s0
	s_cbranch_execnz .LBB61_495
; %bb.496:
	s_or_b32 exec_lo, exec_lo, s0
.LBB61_497:
	s_delay_alu instid0(SALU_CYCLE_1)
	s_or_b32 exec_lo, exec_lo, s4
	v_mov_b32_e32 v135, 0
	ds_load_b64 v[135:136], v135 offset:88
	s_waitcnt lgkmcnt(0)
	v_mul_f64 v[125:126], v[125:126], v[135:136]
	scratch_store_b64 off, v[125:126], off offset:88
.LBB61_498:
	s_or_b32 exec_lo, exec_lo, s3
	scratch_load_b64 v[125:126], off, off offset:80
	v_cmp_lt_u32_e64 s0, 10, v0
	s_waitcnt vmcnt(0)
	ds_store_b64 v128, v[125:126]
	s_waitcnt lgkmcnt(0)
	s_waitcnt_vscnt null, 0x0
	s_barrier
	buffer_gl0_inv
	s_and_saveexec_b32 s3, s0
	s_cbranch_execz .LBB61_508
; %bb.499:
	s_and_not1_b32 vcc_lo, exec_lo, s2
	s_cbranch_vccnz .LBB61_501
; %bb.500:
	scratch_load_b64 v[125:126], v129, off
	ds_load_b64 v[135:136], v128
	s_waitcnt vmcnt(0) lgkmcnt(0)
	v_mul_f64 v[125:126], v[125:126], v[135:136]
	s_cbranch_execz .LBB61_502
	s_branch .LBB61_503
.LBB61_501:
                                        ; implicit-def: $vgpr125_vgpr126
.LBB61_502:
	ds_load_b64 v[125:126], v128
.LBB61_503:
	s_and_saveexec_b32 s4, s1
	s_cbranch_execz .LBB61_507
; %bb.504:
	v_dual_mov_b32 v135, 0 :: v_dual_add_nc_u32 v136, -11, v0
	s_movk_i32 s5, 0x248
	s_mov_b32 s1, 0
	s_delay_alu instid0(VALU_DEP_1)
	v_add_nc_u32_e32 v135, 0x58, v135
.LBB61_505:                             ; =>This Inner Loop Header: Depth=1
	scratch_load_b64 v[137:138], v135, off
	v_dual_mov_b32 v139, s5 :: v_dual_add_nc_u32 v136, -1, v136
	v_add_nc_u32_e32 v135, 8, v135
	s_add_i32 s5, s5, 8
	ds_load_b64 v[139:140], v139
	v_cmp_eq_u32_e32 vcc_lo, 0, v136
	s_or_b32 s1, vcc_lo, s1
	s_waitcnt vmcnt(0) lgkmcnt(0)
	v_fma_f64 v[125:126], v[137:138], v[139:140], v[125:126]
	s_and_not1_b32 exec_lo, exec_lo, s1
	s_cbranch_execnz .LBB61_505
; %bb.506:
	s_or_b32 exec_lo, exec_lo, s1
.LBB61_507:
	s_delay_alu instid0(SALU_CYCLE_1)
	s_or_b32 exec_lo, exec_lo, s4
	v_mov_b32_e32 v135, 0
	ds_load_b64 v[135:136], v135 offset:80
	s_waitcnt lgkmcnt(0)
	v_mul_f64 v[125:126], v[125:126], v[135:136]
	scratch_store_b64 off, v[125:126], off offset:80
.LBB61_508:
	s_or_b32 exec_lo, exec_lo, s3
	scratch_load_b64 v[125:126], off, off offset:72
	v_cmp_lt_u32_e64 s1, 9, v0
	s_waitcnt vmcnt(0)
	ds_store_b64 v128, v[125:126]
	s_waitcnt lgkmcnt(0)
	s_waitcnt_vscnt null, 0x0
	s_barrier
	buffer_gl0_inv
	s_and_saveexec_b32 s3, s1
	s_cbranch_execz .LBB61_518
; %bb.509:
	s_and_not1_b32 vcc_lo, exec_lo, s2
	s_cbranch_vccnz .LBB61_511
; %bb.510:
	scratch_load_b64 v[125:126], v129, off
	ds_load_b64 v[135:136], v128
	s_waitcnt vmcnt(0) lgkmcnt(0)
	v_mul_f64 v[125:126], v[125:126], v[135:136]
	s_cbranch_execz .LBB61_512
	s_branch .LBB61_513
.LBB61_511:
                                        ; implicit-def: $vgpr125_vgpr126
.LBB61_512:
	ds_load_b64 v[125:126], v128
.LBB61_513:
	s_and_saveexec_b32 s4, s0
	s_cbranch_execz .LBB61_517
; %bb.514:
	v_add_nc_u32_e32 v135, -10, v0
	s_movk_i32 s5, 0x240
	s_mov_b32 s0, 0
.LBB61_515:                             ; =>This Inner Loop Header: Depth=1
	scratch_load_b64 v[136:137], v134, off
	v_dual_mov_b32 v138, s5 :: v_dual_add_nc_u32 v135, -1, v135
	v_add_nc_u32_e32 v134, 8, v134
	s_add_i32 s5, s5, 8
	ds_load_b64 v[138:139], v138
	v_cmp_eq_u32_e32 vcc_lo, 0, v135
	s_or_b32 s0, vcc_lo, s0
	s_waitcnt vmcnt(0) lgkmcnt(0)
	v_fma_f64 v[125:126], v[136:137], v[138:139], v[125:126]
	s_and_not1_b32 exec_lo, exec_lo, s0
	s_cbranch_execnz .LBB61_515
; %bb.516:
	s_or_b32 exec_lo, exec_lo, s0
.LBB61_517:
	s_delay_alu instid0(SALU_CYCLE_1)
	s_or_b32 exec_lo, exec_lo, s4
	v_mov_b32_e32 v134, 0
	ds_load_b64 v[134:135], v134 offset:72
	s_waitcnt lgkmcnt(0)
	v_mul_f64 v[125:126], v[125:126], v[134:135]
	scratch_store_b64 off, v[125:126], off offset:72
.LBB61_518:
	s_or_b32 exec_lo, exec_lo, s3
	scratch_load_b64 v[125:126], off, off offset:64
	v_cmp_lt_u32_e64 s0, 8, v0
	s_waitcnt vmcnt(0)
	ds_store_b64 v128, v[125:126]
	s_waitcnt lgkmcnt(0)
	s_waitcnt_vscnt null, 0x0
	s_barrier
	buffer_gl0_inv
	s_and_saveexec_b32 s3, s0
	s_cbranch_execz .LBB61_528
; %bb.519:
	s_and_not1_b32 vcc_lo, exec_lo, s2
	s_cbranch_vccnz .LBB61_521
; %bb.520:
	scratch_load_b64 v[125:126], v129, off
	ds_load_b64 v[134:135], v128
	s_waitcnt vmcnt(0) lgkmcnt(0)
	v_mul_f64 v[125:126], v[125:126], v[134:135]
	s_cbranch_execz .LBB61_522
	s_branch .LBB61_523
.LBB61_521:
                                        ; implicit-def: $vgpr125_vgpr126
.LBB61_522:
	ds_load_b64 v[125:126], v128
.LBB61_523:
	s_and_saveexec_b32 s4, s1
	s_cbranch_execz .LBB61_527
; %bb.524:
	v_dual_mov_b32 v134, 0 :: v_dual_add_nc_u32 v135, -9, v0
	s_movk_i32 s5, 0x238
	s_mov_b32 s1, 0
	s_delay_alu instid0(VALU_DEP_1)
	v_add_nc_u32_e32 v134, 0x48, v134
.LBB61_525:                             ; =>This Inner Loop Header: Depth=1
	scratch_load_b64 v[136:137], v134, off
	v_dual_mov_b32 v138, s5 :: v_dual_add_nc_u32 v135, -1, v135
	v_add_nc_u32_e32 v134, 8, v134
	s_add_i32 s5, s5, 8
	ds_load_b64 v[138:139], v138
	v_cmp_eq_u32_e32 vcc_lo, 0, v135
	s_or_b32 s1, vcc_lo, s1
	s_waitcnt vmcnt(0) lgkmcnt(0)
	v_fma_f64 v[125:126], v[136:137], v[138:139], v[125:126]
	s_and_not1_b32 exec_lo, exec_lo, s1
	s_cbranch_execnz .LBB61_525
; %bb.526:
	s_or_b32 exec_lo, exec_lo, s1
.LBB61_527:
	s_delay_alu instid0(SALU_CYCLE_1)
	s_or_b32 exec_lo, exec_lo, s4
	v_mov_b32_e32 v134, 0
	ds_load_b64 v[134:135], v134 offset:64
	s_waitcnt lgkmcnt(0)
	v_mul_f64 v[125:126], v[125:126], v[134:135]
	scratch_store_b64 off, v[125:126], off offset:64
.LBB61_528:
	s_or_b32 exec_lo, exec_lo, s3
	scratch_load_b64 v[125:126], off, off offset:56
	v_cmp_lt_u32_e64 s1, 7, v0
	s_waitcnt vmcnt(0)
	ds_store_b64 v128, v[125:126]
	s_waitcnt lgkmcnt(0)
	s_waitcnt_vscnt null, 0x0
	s_barrier
	buffer_gl0_inv
	s_and_saveexec_b32 s3, s1
	s_cbranch_execz .LBB61_538
; %bb.529:
	s_and_not1_b32 vcc_lo, exec_lo, s2
	s_cbranch_vccnz .LBB61_531
; %bb.530:
	scratch_load_b64 v[125:126], v129, off
	ds_load_b64 v[134:135], v128
	s_waitcnt vmcnt(0) lgkmcnt(0)
	v_mul_f64 v[125:126], v[125:126], v[134:135]
	s_cbranch_execz .LBB61_532
	s_branch .LBB61_533
.LBB61_531:
                                        ; implicit-def: $vgpr125_vgpr126
.LBB61_532:
	ds_load_b64 v[125:126], v128
.LBB61_533:
	s_and_saveexec_b32 s4, s0
	s_cbranch_execz .LBB61_537
; %bb.534:
	v_add_nc_u32_e32 v134, -8, v0
	s_movk_i32 s5, 0x230
	s_mov_b32 s0, 0
.LBB61_535:                             ; =>This Inner Loop Header: Depth=1
	scratch_load_b64 v[135:136], v133, off
	v_dual_mov_b32 v137, s5 :: v_dual_add_nc_u32 v134, -1, v134
	v_add_nc_u32_e32 v133, 8, v133
	s_add_i32 s5, s5, 8
	ds_load_b64 v[137:138], v137
	v_cmp_eq_u32_e32 vcc_lo, 0, v134
	s_or_b32 s0, vcc_lo, s0
	s_waitcnt vmcnt(0) lgkmcnt(0)
	v_fma_f64 v[125:126], v[135:136], v[137:138], v[125:126]
	s_and_not1_b32 exec_lo, exec_lo, s0
	s_cbranch_execnz .LBB61_535
; %bb.536:
	s_or_b32 exec_lo, exec_lo, s0
.LBB61_537:
	s_delay_alu instid0(SALU_CYCLE_1)
	s_or_b32 exec_lo, exec_lo, s4
	v_mov_b32_e32 v133, 0
	ds_load_b64 v[133:134], v133 offset:56
	s_waitcnt lgkmcnt(0)
	v_mul_f64 v[125:126], v[125:126], v[133:134]
	scratch_store_b64 off, v[125:126], off offset:56
.LBB61_538:
	s_or_b32 exec_lo, exec_lo, s3
	scratch_load_b64 v[125:126], off, off offset:48
	v_cmp_lt_u32_e64 s0, 6, v0
	s_waitcnt vmcnt(0)
	ds_store_b64 v128, v[125:126]
	s_waitcnt lgkmcnt(0)
	s_waitcnt_vscnt null, 0x0
	s_barrier
	buffer_gl0_inv
	s_and_saveexec_b32 s3, s0
	s_cbranch_execz .LBB61_548
; %bb.539:
	s_and_not1_b32 vcc_lo, exec_lo, s2
	s_cbranch_vccnz .LBB61_541
; %bb.540:
	scratch_load_b64 v[125:126], v129, off
	ds_load_b64 v[133:134], v128
	s_waitcnt vmcnt(0) lgkmcnt(0)
	v_mul_f64 v[125:126], v[125:126], v[133:134]
	s_cbranch_execz .LBB61_542
	s_branch .LBB61_543
.LBB61_541:
                                        ; implicit-def: $vgpr125_vgpr126
.LBB61_542:
	ds_load_b64 v[125:126], v128
.LBB61_543:
	s_and_saveexec_b32 s4, s1
	s_cbranch_execz .LBB61_547
; %bb.544:
	v_add_nc_u32_e64 v133, 0, 56
	v_add_nc_u32_e32 v134, -7, v0
	s_movk_i32 s5, 0x228
	s_mov_b32 s1, 0
.LBB61_545:                             ; =>This Inner Loop Header: Depth=1
	scratch_load_b64 v[135:136], v133, off
	v_dual_mov_b32 v137, s5 :: v_dual_add_nc_u32 v134, -1, v134
	v_add_nc_u32_e32 v133, 8, v133
	s_add_i32 s5, s5, 8
	ds_load_b64 v[137:138], v137
	v_cmp_eq_u32_e32 vcc_lo, 0, v134
	s_or_b32 s1, vcc_lo, s1
	s_waitcnt vmcnt(0) lgkmcnt(0)
	v_fma_f64 v[125:126], v[135:136], v[137:138], v[125:126]
	s_and_not1_b32 exec_lo, exec_lo, s1
	s_cbranch_execnz .LBB61_545
; %bb.546:
	s_or_b32 exec_lo, exec_lo, s1
.LBB61_547:
	s_delay_alu instid0(SALU_CYCLE_1)
	s_or_b32 exec_lo, exec_lo, s4
	v_mov_b32_e32 v133, 0
	ds_load_b64 v[133:134], v133 offset:48
	s_waitcnt lgkmcnt(0)
	v_mul_f64 v[125:126], v[125:126], v[133:134]
	scratch_store_b64 off, v[125:126], off offset:48
.LBB61_548:
	s_or_b32 exec_lo, exec_lo, s3
	scratch_load_b64 v[125:126], off, off offset:40
	v_cmp_lt_u32_e64 s1, 5, v0
	s_waitcnt vmcnt(0)
	ds_store_b64 v128, v[125:126]
	s_waitcnt lgkmcnt(0)
	s_waitcnt_vscnt null, 0x0
	s_barrier
	buffer_gl0_inv
	s_and_saveexec_b32 s3, s1
	s_cbranch_execz .LBB61_558
; %bb.549:
	s_and_not1_b32 vcc_lo, exec_lo, s2
	s_cbranch_vccnz .LBB61_551
; %bb.550:
	scratch_load_b64 v[125:126], v129, off
	ds_load_b64 v[133:134], v128
	s_waitcnt vmcnt(0) lgkmcnt(0)
	v_mul_f64 v[125:126], v[125:126], v[133:134]
	s_cbranch_execz .LBB61_552
	s_branch .LBB61_553
.LBB61_551:
                                        ; implicit-def: $vgpr125_vgpr126
.LBB61_552:
	ds_load_b64 v[125:126], v128
.LBB61_553:
	s_and_saveexec_b32 s4, s0
	s_cbranch_execz .LBB61_557
; %bb.554:
	v_add_nc_u32_e32 v133, -6, v0
	s_movk_i32 s5, 0x220
	s_mov_b32 s0, 0
.LBB61_555:                             ; =>This Inner Loop Header: Depth=1
	scratch_load_b64 v[134:135], v132, off
	v_dual_mov_b32 v136, s5 :: v_dual_add_nc_u32 v133, -1, v133
	v_add_nc_u32_e32 v132, 8, v132
	s_add_i32 s5, s5, 8
	ds_load_b64 v[136:137], v136
	v_cmp_eq_u32_e32 vcc_lo, 0, v133
	s_or_b32 s0, vcc_lo, s0
	s_waitcnt vmcnt(0) lgkmcnt(0)
	v_fma_f64 v[125:126], v[134:135], v[136:137], v[125:126]
	s_and_not1_b32 exec_lo, exec_lo, s0
	s_cbranch_execnz .LBB61_555
; %bb.556:
	s_or_b32 exec_lo, exec_lo, s0
.LBB61_557:
	s_delay_alu instid0(SALU_CYCLE_1)
	s_or_b32 exec_lo, exec_lo, s4
	v_mov_b32_e32 v132, 0
	ds_load_b64 v[132:133], v132 offset:40
	s_waitcnt lgkmcnt(0)
	v_mul_f64 v[125:126], v[125:126], v[132:133]
	scratch_store_b64 off, v[125:126], off offset:40
.LBB61_558:
	s_or_b32 exec_lo, exec_lo, s3
	scratch_load_b64 v[125:126], off, off offset:32
	v_cmp_lt_u32_e64 s0, 4, v0
	s_waitcnt vmcnt(0)
	ds_store_b64 v128, v[125:126]
	s_waitcnt lgkmcnt(0)
	s_waitcnt_vscnt null, 0x0
	s_barrier
	buffer_gl0_inv
	s_and_saveexec_b32 s3, s0
	s_cbranch_execz .LBB61_568
; %bb.559:
	s_and_not1_b32 vcc_lo, exec_lo, s2
	s_cbranch_vccnz .LBB61_561
; %bb.560:
	scratch_load_b64 v[125:126], v129, off
	ds_load_b64 v[132:133], v128
	s_waitcnt vmcnt(0) lgkmcnt(0)
	v_mul_f64 v[125:126], v[125:126], v[132:133]
	s_cbranch_execz .LBB61_562
	s_branch .LBB61_563
.LBB61_561:
                                        ; implicit-def: $vgpr125_vgpr126
.LBB61_562:
	ds_load_b64 v[125:126], v128
.LBB61_563:
	s_and_saveexec_b32 s4, s1
	s_cbranch_execz .LBB61_567
; %bb.564:
	v_add_nc_u32_e64 v132, 0, 40
	v_add_nc_u32_e32 v133, -5, v0
	s_movk_i32 s5, 0x218
	s_mov_b32 s1, 0
.LBB61_565:                             ; =>This Inner Loop Header: Depth=1
	scratch_load_b64 v[134:135], v132, off
	v_dual_mov_b32 v136, s5 :: v_dual_add_nc_u32 v133, -1, v133
	v_add_nc_u32_e32 v132, 8, v132
	s_add_i32 s5, s5, 8
	ds_load_b64 v[136:137], v136
	v_cmp_eq_u32_e32 vcc_lo, 0, v133
	s_or_b32 s1, vcc_lo, s1
	s_waitcnt vmcnt(0) lgkmcnt(0)
	v_fma_f64 v[125:126], v[134:135], v[136:137], v[125:126]
	s_and_not1_b32 exec_lo, exec_lo, s1
	s_cbranch_execnz .LBB61_565
; %bb.566:
	s_or_b32 exec_lo, exec_lo, s1
.LBB61_567:
	s_delay_alu instid0(SALU_CYCLE_1)
	s_or_b32 exec_lo, exec_lo, s4
	v_mov_b32_e32 v132, 0
	ds_load_b64 v[132:133], v132 offset:32
	s_waitcnt lgkmcnt(0)
	v_mul_f64 v[125:126], v[125:126], v[132:133]
	scratch_store_b64 off, v[125:126], off offset:32
.LBB61_568:
	s_or_b32 exec_lo, exec_lo, s3
	scratch_load_b64 v[125:126], off, off offset:24
	v_cmp_lt_u32_e64 s1, 3, v0
	s_waitcnt vmcnt(0)
	ds_store_b64 v128, v[125:126]
	s_waitcnt lgkmcnt(0)
	s_waitcnt_vscnt null, 0x0
	s_barrier
	buffer_gl0_inv
	s_and_saveexec_b32 s3, s1
	s_cbranch_execz .LBB61_578
; %bb.569:
	s_and_not1_b32 vcc_lo, exec_lo, s2
	s_cbranch_vccnz .LBB61_571
; %bb.570:
	scratch_load_b64 v[125:126], v129, off
	ds_load_b64 v[132:133], v128
	s_waitcnt vmcnt(0) lgkmcnt(0)
	v_mul_f64 v[125:126], v[125:126], v[132:133]
	s_cbranch_execz .LBB61_572
	s_branch .LBB61_573
.LBB61_571:
                                        ; implicit-def: $vgpr125_vgpr126
.LBB61_572:
	ds_load_b64 v[125:126], v128
.LBB61_573:
	s_and_saveexec_b32 s4, s0
	s_cbranch_execz .LBB61_577
; %bb.574:
	v_add_nc_u32_e32 v132, -4, v0
	s_movk_i32 s5, 0x210
	s_mov_b32 s0, 0
.LBB61_575:                             ; =>This Inner Loop Header: Depth=1
	scratch_load_b64 v[133:134], v131, off
	v_dual_mov_b32 v135, s5 :: v_dual_add_nc_u32 v132, -1, v132
	v_add_nc_u32_e32 v131, 8, v131
	s_add_i32 s5, s5, 8
	ds_load_b64 v[135:136], v135
	v_cmp_eq_u32_e32 vcc_lo, 0, v132
	s_or_b32 s0, vcc_lo, s0
	s_waitcnt vmcnt(0) lgkmcnt(0)
	v_fma_f64 v[125:126], v[133:134], v[135:136], v[125:126]
	s_and_not1_b32 exec_lo, exec_lo, s0
	s_cbranch_execnz .LBB61_575
; %bb.576:
	s_or_b32 exec_lo, exec_lo, s0
.LBB61_577:
	s_delay_alu instid0(SALU_CYCLE_1)
	s_or_b32 exec_lo, exec_lo, s4
	v_mov_b32_e32 v131, 0
	ds_load_b64 v[131:132], v131 offset:24
	s_waitcnt lgkmcnt(0)
	v_mul_f64 v[125:126], v[125:126], v[131:132]
	scratch_store_b64 off, v[125:126], off offset:24
.LBB61_578:
	s_or_b32 exec_lo, exec_lo, s3
	scratch_load_b64 v[125:126], off, off offset:16
	v_cmp_lt_u32_e64 s0, 2, v0
	s_waitcnt vmcnt(0)
	ds_store_b64 v128, v[125:126]
	s_waitcnt lgkmcnt(0)
	s_waitcnt_vscnt null, 0x0
	s_barrier
	buffer_gl0_inv
	s_and_saveexec_b32 s3, s0
	s_cbranch_execz .LBB61_588
; %bb.579:
	s_and_not1_b32 vcc_lo, exec_lo, s2
	s_cbranch_vccnz .LBB61_581
; %bb.580:
	scratch_load_b64 v[125:126], v129, off
	ds_load_b64 v[131:132], v128
	s_waitcnt vmcnt(0) lgkmcnt(0)
	v_mul_f64 v[125:126], v[125:126], v[131:132]
	s_cbranch_execz .LBB61_582
	s_branch .LBB61_583
.LBB61_581:
                                        ; implicit-def: $vgpr125_vgpr126
.LBB61_582:
	ds_load_b64 v[125:126], v128
.LBB61_583:
	s_and_saveexec_b32 s4, s1
	s_cbranch_execz .LBB61_587
; %bb.584:
	v_add_nc_u32_e64 v131, 0, 24
	v_add_nc_u32_e32 v132, -3, v0
	s_movk_i32 s5, 0x208
	s_mov_b32 s1, 0
.LBB61_585:                             ; =>This Inner Loop Header: Depth=1
	scratch_load_b64 v[133:134], v131, off
	v_dual_mov_b32 v135, s5 :: v_dual_add_nc_u32 v132, -1, v132
	v_add_nc_u32_e32 v131, 8, v131
	s_add_i32 s5, s5, 8
	ds_load_b64 v[135:136], v135
	v_cmp_eq_u32_e32 vcc_lo, 0, v132
	s_or_b32 s1, vcc_lo, s1
	s_waitcnt vmcnt(0) lgkmcnt(0)
	v_fma_f64 v[125:126], v[133:134], v[135:136], v[125:126]
	s_and_not1_b32 exec_lo, exec_lo, s1
	s_cbranch_execnz .LBB61_585
; %bb.586:
	s_or_b32 exec_lo, exec_lo, s1
.LBB61_587:
	s_delay_alu instid0(SALU_CYCLE_1)
	s_or_b32 exec_lo, exec_lo, s4
	v_mov_b32_e32 v131, 0
	ds_load_b64 v[131:132], v131 offset:16
	s_waitcnt lgkmcnt(0)
	v_mul_f64 v[125:126], v[125:126], v[131:132]
	scratch_store_b64 off, v[125:126], off offset:16
.LBB61_588:
	s_or_b32 exec_lo, exec_lo, s3
	scratch_load_b64 v[125:126], off, off offset:8
	v_cmp_lt_u32_e64 s1, 1, v0
	s_waitcnt vmcnt(0)
	ds_store_b64 v128, v[125:126]
	s_waitcnt lgkmcnt(0)
	s_waitcnt_vscnt null, 0x0
	s_barrier
	buffer_gl0_inv
	s_and_saveexec_b32 s3, s1
	s_cbranch_execz .LBB61_598
; %bb.589:
	s_and_not1_b32 vcc_lo, exec_lo, s2
	s_cbranch_vccnz .LBB61_591
; %bb.590:
	scratch_load_b64 v[125:126], v129, off
	ds_load_b64 v[131:132], v128
	s_waitcnt vmcnt(0) lgkmcnt(0)
	v_mul_f64 v[125:126], v[125:126], v[131:132]
	s_cbranch_execz .LBB61_592
	s_branch .LBB61_593
.LBB61_591:
                                        ; implicit-def: $vgpr125_vgpr126
.LBB61_592:
	ds_load_b64 v[125:126], v128
.LBB61_593:
	s_and_saveexec_b32 s4, s0
	s_cbranch_execz .LBB61_597
; %bb.594:
	v_add_nc_u32_e32 v131, -2, v0
	s_movk_i32 s5, 0x200
	s_mov_b32 s0, 0
.LBB61_595:                             ; =>This Inner Loop Header: Depth=1
	scratch_load_b64 v[132:133], v130, off
	v_dual_mov_b32 v134, s5 :: v_dual_add_nc_u32 v131, -1, v131
	v_add_nc_u32_e32 v130, 8, v130
	s_add_i32 s5, s5, 8
	ds_load_b64 v[134:135], v134
	v_cmp_eq_u32_e32 vcc_lo, 0, v131
	s_or_b32 s0, vcc_lo, s0
	s_waitcnt vmcnt(0) lgkmcnt(0)
	v_fma_f64 v[125:126], v[132:133], v[134:135], v[125:126]
	s_and_not1_b32 exec_lo, exec_lo, s0
	s_cbranch_execnz .LBB61_595
; %bb.596:
	s_or_b32 exec_lo, exec_lo, s0
.LBB61_597:
	s_delay_alu instid0(SALU_CYCLE_1)
	s_or_b32 exec_lo, exec_lo, s4
	v_mov_b32_e32 v130, 0
	ds_load_b64 v[130:131], v130 offset:8
	s_waitcnt lgkmcnt(0)
	v_mul_f64 v[125:126], v[125:126], v[130:131]
	scratch_store_b64 off, v[125:126], off offset:8
.LBB61_598:
	s_or_b32 exec_lo, exec_lo, s3
	scratch_load_b64 v[125:126], off, off
	s_mov_b32 s0, 0
	s_mov_b32 s3, exec_lo
	s_waitcnt vmcnt(0)
	ds_store_b64 v128, v[125:126]
	s_waitcnt lgkmcnt(0)
	s_waitcnt_vscnt null, 0x0
	s_barrier
	buffer_gl0_inv
	v_cmpx_ne_u32_e32 0, v0
	s_cbranch_execz .LBB61_608
; %bb.599:
	s_and_not1_b32 vcc_lo, exec_lo, s2
	s_cbranch_vccnz .LBB61_601
; %bb.600:
	scratch_load_b64 v[125:126], v129, off
	ds_load_b64 v[130:131], v128
	s_waitcnt vmcnt(0) lgkmcnt(0)
	v_mul_f64 v[125:126], v[125:126], v[130:131]
	s_cbranch_execz .LBB61_602
	s_branch .LBB61_603
.LBB61_601:
                                        ; implicit-def: $vgpr125_vgpr126
.LBB61_602:
	ds_load_b64 v[125:126], v128
.LBB61_603:
	s_and_saveexec_b32 s4, s1
	s_cbranch_execz .LBB61_607
; %bb.604:
	v_or_b32_e64 v130, 0, 8
	v_add_nc_u32_e32 v131, -1, v0
	s_movk_i32 s5, 0x1f8
	s_mov_b32 s1, 0
.LBB61_605:                             ; =>This Inner Loop Header: Depth=1
	scratch_load_b64 v[132:133], v130, off
	v_dual_mov_b32 v134, s5 :: v_dual_add_nc_u32 v131, -1, v131
	v_add_nc_u32_e32 v130, 8, v130
	s_add_i32 s5, s5, 8
	ds_load_b64 v[134:135], v134
	v_cmp_eq_u32_e32 vcc_lo, 0, v131
	s_or_b32 s1, vcc_lo, s1
	s_waitcnt vmcnt(0) lgkmcnt(0)
	v_fma_f64 v[125:126], v[132:133], v[134:135], v[125:126]
	s_and_not1_b32 exec_lo, exec_lo, s1
	s_cbranch_execnz .LBB61_605
; %bb.606:
	s_or_b32 exec_lo, exec_lo, s1
.LBB61_607:
	s_delay_alu instid0(SALU_CYCLE_1)
	s_or_b32 exec_lo, exec_lo, s4
	v_mov_b32_e32 v130, 0
	ds_load_b64 v[130:131], v130
	s_waitcnt lgkmcnt(0)
	v_mul_f64 v[125:126], v[125:126], v[130:131]
	scratch_store_b64 off, v[125:126], off
.LBB61_608:
	s_or_b32 exec_lo, exec_lo, s3
.LBB61_609:
	s_delay_alu instid0(SALU_CYCLE_1)
	s_and_b32 vcc_lo, exec_lo, s0
	s_cbranch_vccz .LBB61_1215
; %bb.610:
	scratch_load_b64 v[125:126], off, off offset:8
	v_cmp_eq_u32_e64 s0, 0, v0
	s_waitcnt vmcnt(0)
	ds_store_b64 v128, v[125:126]
	s_waitcnt lgkmcnt(0)
	s_waitcnt_vscnt null, 0x0
	s_barrier
	buffer_gl0_inv
	s_and_saveexec_b32 s1, s0
	s_cbranch_execz .LBB61_616
; %bb.611:
	s_and_b32 vcc_lo, exec_lo, s2
	s_cbranch_vccz .LBB61_613
; %bb.612:
	scratch_load_b64 v[125:126], v129, off
	ds_load_b64 v[130:131], v128
	s_waitcnt vmcnt(0) lgkmcnt(0)
	v_mul_f64 v[125:126], v[125:126], v[130:131]
	s_cbranch_execz .LBB61_614
	s_branch .LBB61_615
.LBB61_613:
                                        ; implicit-def: $vgpr125_vgpr126
.LBB61_614:
	ds_load_b64 v[125:126], v128
.LBB61_615:
	v_mov_b32_e32 v130, 0
	ds_load_b64 v[130:131], v130 offset:8
	s_waitcnt lgkmcnt(0)
	v_mul_f64 v[125:126], v[125:126], v[130:131]
	scratch_store_b64 off, v[125:126], off offset:8
.LBB61_616:
	s_or_b32 exec_lo, exec_lo, s1
	scratch_load_b64 v[125:126], off, off offset:16
	v_cndmask_b32_e64 v130, 0, 1, s2
	s_mov_b32 s1, exec_lo
	s_waitcnt vmcnt(0)
	ds_store_b64 v128, v[125:126]
	s_waitcnt lgkmcnt(0)
	s_waitcnt_vscnt null, 0x0
	s_barrier
	buffer_gl0_inv
	v_cmpx_gt_u32_e32 2, v0
	s_cbranch_execz .LBB61_624
; %bb.617:
	s_and_not1_b32 vcc_lo, exec_lo, s2
	s_cbranch_vccnz .LBB61_619
; %bb.618:
	scratch_load_b64 v[125:126], v129, off
	ds_load_b64 v[131:132], v128
	s_waitcnt vmcnt(0) lgkmcnt(0)
	v_mul_f64 v[125:126], v[125:126], v[131:132]
	s_cbranch_execz .LBB61_620
	s_branch .LBB61_621
.LBB61_619:
                                        ; implicit-def: $vgpr125_vgpr126
.LBB61_620:
	ds_load_b64 v[125:126], v128
.LBB61_621:
	s_and_saveexec_b32 s2, s0
	s_cbranch_execz .LBB61_623
; %bb.622:
	scratch_load_b64 v[131:132], v129, off offset:8
	ds_load_b64 v[133:134], v128 offset:8
	s_waitcnt vmcnt(0) lgkmcnt(0)
	v_fma_f64 v[125:126], v[131:132], v[133:134], v[125:126]
.LBB61_623:
	s_or_b32 exec_lo, exec_lo, s2
	v_mov_b32_e32 v131, 0
	ds_load_b64 v[131:132], v131 offset:16
	s_waitcnt lgkmcnt(0)
	v_mul_f64 v[125:126], v[125:126], v[131:132]
	scratch_store_b64 off, v[125:126], off offset:16
.LBB61_624:
	s_or_b32 exec_lo, exec_lo, s1
	scratch_load_b64 v[125:126], off, off offset:24
	s_mov_b32 s1, exec_lo
	s_waitcnt vmcnt(0)
	ds_store_b64 v128, v[125:126]
	s_waitcnt lgkmcnt(0)
	s_waitcnt_vscnt null, 0x0
	s_barrier
	buffer_gl0_inv
	v_cmpx_gt_u32_e32 3, v0
	s_cbranch_execz .LBB61_634
; %bb.625:
	v_cmp_ne_u32_e32 vcc_lo, 1, v130
	s_cbranch_vccnz .LBB61_627
; %bb.626:
	scratch_load_b64 v[125:126], v129, off
	ds_load_b64 v[131:132], v128
	s_waitcnt vmcnt(0) lgkmcnt(0)
	v_mul_f64 v[125:126], v[125:126], v[131:132]
	s_cbranch_execz .LBB61_628
	s_branch .LBB61_629
.LBB61_627:
                                        ; implicit-def: $vgpr125_vgpr126
.LBB61_628:
	ds_load_b64 v[125:126], v128
.LBB61_629:
	s_mov_b32 s2, exec_lo
	v_cmpx_ne_u32_e32 2, v0
	s_cbranch_execz .LBB61_633
; %bb.630:
	scratch_load_b64 v[131:132], v129, off offset:8
	ds_load_b64 v[133:134], v128 offset:8
	s_waitcnt vmcnt(0) lgkmcnt(0)
	v_fma_f64 v[125:126], v[131:132], v[133:134], v[125:126]
	s_and_saveexec_b32 s3, s0
	s_cbranch_execz .LBB61_632
; %bb.631:
	scratch_load_b64 v[131:132], off, off offset:16
	v_mov_b32_e32 v133, 0
	ds_load_b64 v[133:134], v133 offset:512
	s_waitcnt vmcnt(0) lgkmcnt(0)
	v_fma_f64 v[125:126], v[131:132], v[133:134], v[125:126]
.LBB61_632:
	s_or_b32 exec_lo, exec_lo, s3
.LBB61_633:
	s_delay_alu instid0(SALU_CYCLE_1)
	s_or_b32 exec_lo, exec_lo, s2
	v_mov_b32_e32 v131, 0
	ds_load_b64 v[131:132], v131 offset:24
	s_waitcnt lgkmcnt(0)
	v_mul_f64 v[125:126], v[125:126], v[131:132]
	scratch_store_b64 off, v[125:126], off offset:24
.LBB61_634:
	s_or_b32 exec_lo, exec_lo, s1
	scratch_load_b64 v[125:126], off, off offset:32
	s_mov_b32 s0, exec_lo
	s_waitcnt vmcnt(0)
	ds_store_b64 v128, v[125:126]
	s_waitcnt lgkmcnt(0)
	s_waitcnt_vscnt null, 0x0
	s_barrier
	buffer_gl0_inv
	v_cmpx_gt_u32_e32 4, v0
	s_cbranch_execz .LBB61_644
; %bb.635:
	v_cmp_ne_u32_e32 vcc_lo, 1, v130
	s_cbranch_vccnz .LBB61_637
; %bb.636:
	scratch_load_b64 v[125:126], v129, off
	ds_load_b64 v[131:132], v128
	s_waitcnt vmcnt(0) lgkmcnt(0)
	v_mul_f64 v[125:126], v[125:126], v[131:132]
	s_cbranch_execz .LBB61_638
	s_branch .LBB61_639
.LBB61_637:
                                        ; implicit-def: $vgpr125_vgpr126
.LBB61_638:
	ds_load_b64 v[125:126], v128
.LBB61_639:
	s_mov_b32 s1, exec_lo
	v_cmpx_ne_u32_e32 3, v0
	s_cbranch_execz .LBB61_643
; %bb.640:
	v_add_nc_u32_e32 v131, 0x1f8, v127
	v_add3_u32 v132, 0, v127, 8
	v_mov_b32_e32 v133, v0
	s_mov_b32 s2, 0
.LBB61_641:                             ; =>This Inner Loop Header: Depth=1
	scratch_load_b64 v[134:135], v132, off
	ds_load_b64 v[136:137], v131
	v_add_nc_u32_e32 v133, 1, v133
	v_add_nc_u32_e32 v131, 8, v131
	v_add_nc_u32_e32 v132, 8, v132
	s_delay_alu instid0(VALU_DEP_3)
	v_cmp_lt_u32_e32 vcc_lo, 2, v133
	s_or_b32 s2, vcc_lo, s2
	s_waitcnt vmcnt(0) lgkmcnt(0)
	v_fma_f64 v[125:126], v[134:135], v[136:137], v[125:126]
	s_and_not1_b32 exec_lo, exec_lo, s2
	s_cbranch_execnz .LBB61_641
; %bb.642:
	s_or_b32 exec_lo, exec_lo, s2
.LBB61_643:
	s_delay_alu instid0(SALU_CYCLE_1)
	s_or_b32 exec_lo, exec_lo, s1
	v_mov_b32_e32 v131, 0
	ds_load_b64 v[131:132], v131 offset:32
	s_waitcnt lgkmcnt(0)
	v_mul_f64 v[125:126], v[125:126], v[131:132]
	scratch_store_b64 off, v[125:126], off offset:32
.LBB61_644:
	s_or_b32 exec_lo, exec_lo, s0
	scratch_load_b64 v[125:126], off, off offset:40
	s_mov_b32 s0, exec_lo
	s_waitcnt vmcnt(0)
	ds_store_b64 v128, v[125:126]
	s_waitcnt lgkmcnt(0)
	s_waitcnt_vscnt null, 0x0
	s_barrier
	buffer_gl0_inv
	v_cmpx_gt_u32_e32 5, v0
	s_cbranch_execz .LBB61_654
; %bb.645:
	v_cmp_ne_u32_e32 vcc_lo, 1, v130
	s_cbranch_vccnz .LBB61_647
; %bb.646:
	scratch_load_b64 v[125:126], v129, off
	ds_load_b64 v[131:132], v128
	s_waitcnt vmcnt(0) lgkmcnt(0)
	v_mul_f64 v[125:126], v[125:126], v[131:132]
	s_cbranch_execz .LBB61_648
	s_branch .LBB61_649
.LBB61_647:
                                        ; implicit-def: $vgpr125_vgpr126
.LBB61_648:
	ds_load_b64 v[125:126], v128
.LBB61_649:
	s_mov_b32 s1, exec_lo
	v_cmpx_ne_u32_e32 4, v0
	s_cbranch_execz .LBB61_653
; %bb.650:
	v_add_nc_u32_e32 v131, 0x1f8, v127
	v_add3_u32 v132, 0, v127, 8
	v_mov_b32_e32 v133, v0
	s_mov_b32 s2, 0
.LBB61_651:                             ; =>This Inner Loop Header: Depth=1
	scratch_load_b64 v[134:135], v132, off
	ds_load_b64 v[136:137], v131
	v_add_nc_u32_e32 v133, 1, v133
	v_add_nc_u32_e32 v131, 8, v131
	v_add_nc_u32_e32 v132, 8, v132
	s_delay_alu instid0(VALU_DEP_3)
	v_cmp_lt_u32_e32 vcc_lo, 3, v133
	s_or_b32 s2, vcc_lo, s2
	s_waitcnt vmcnt(0) lgkmcnt(0)
	v_fma_f64 v[125:126], v[134:135], v[136:137], v[125:126]
	s_and_not1_b32 exec_lo, exec_lo, s2
	s_cbranch_execnz .LBB61_651
; %bb.652:
	s_or_b32 exec_lo, exec_lo, s2
.LBB61_653:
	s_delay_alu instid0(SALU_CYCLE_1)
	s_or_b32 exec_lo, exec_lo, s1
	v_mov_b32_e32 v131, 0
	ds_load_b64 v[131:132], v131 offset:40
	s_waitcnt lgkmcnt(0)
	v_mul_f64 v[125:126], v[125:126], v[131:132]
	scratch_store_b64 off, v[125:126], off offset:40
.LBB61_654:
	;; [unrolled: 58-line block ×36, first 2 shown]
	s_or_b32 exec_lo, exec_lo, s0
	scratch_load_b64 v[125:126], off, off offset:320
	s_mov_b32 s0, exec_lo
	s_waitcnt vmcnt(0)
	ds_store_b64 v128, v[125:126]
	s_waitcnt lgkmcnt(0)
	s_waitcnt_vscnt null, 0x0
	s_barrier
	buffer_gl0_inv
	v_cmpx_gt_u32_e32 40, v0
	s_cbranch_execz .LBB61_1004
; %bb.995:
	v_cmp_ne_u32_e32 vcc_lo, 1, v130
	s_cbranch_vccnz .LBB61_997
; %bb.996:
	scratch_load_b64 v[125:126], v129, off
	ds_load_b64 v[131:132], v128
	s_waitcnt vmcnt(0) lgkmcnt(0)
	v_mul_f64 v[125:126], v[125:126], v[131:132]
	s_cbranch_execz .LBB61_998
	s_branch .LBB61_999
.LBB61_997:
                                        ; implicit-def: $vgpr125_vgpr126
.LBB61_998:
	ds_load_b64 v[125:126], v128
.LBB61_999:
	s_mov_b32 s1, exec_lo
	v_cmpx_ne_u32_e32 39, v0
	s_cbranch_execz .LBB61_1003
; %bb.1000:
	v_add_nc_u32_e32 v131, 0x1f8, v127
	v_add3_u32 v132, 0, v127, 8
	v_mov_b32_e32 v133, v0
	s_mov_b32 s2, 0
.LBB61_1001:                            ; =>This Inner Loop Header: Depth=1
	scratch_load_b64 v[134:135], v132, off
	ds_load_b64 v[136:137], v131
	v_add_nc_u32_e32 v133, 1, v133
	v_add_nc_u32_e32 v131, 8, v131
	v_add_nc_u32_e32 v132, 8, v132
	s_delay_alu instid0(VALU_DEP_3)
	v_cmp_lt_u32_e32 vcc_lo, 38, v133
	s_or_b32 s2, vcc_lo, s2
	s_waitcnt vmcnt(0) lgkmcnt(0)
	v_fma_f64 v[125:126], v[134:135], v[136:137], v[125:126]
	s_and_not1_b32 exec_lo, exec_lo, s2
	s_cbranch_execnz .LBB61_1001
; %bb.1002:
	s_or_b32 exec_lo, exec_lo, s2
.LBB61_1003:
	s_delay_alu instid0(SALU_CYCLE_1)
	s_or_b32 exec_lo, exec_lo, s1
	v_mov_b32_e32 v131, 0
	ds_load_b64 v[131:132], v131 offset:320
	s_waitcnt lgkmcnt(0)
	v_mul_f64 v[125:126], v[125:126], v[131:132]
	scratch_store_b64 off, v[125:126], off offset:320
.LBB61_1004:
	s_or_b32 exec_lo, exec_lo, s0
	scratch_load_b64 v[125:126], off, off offset:328
	s_mov_b32 s0, exec_lo
	s_waitcnt vmcnt(0)
	ds_store_b64 v128, v[125:126]
	s_waitcnt lgkmcnt(0)
	s_waitcnt_vscnt null, 0x0
	s_barrier
	buffer_gl0_inv
	v_cmpx_gt_u32_e32 41, v0
	s_cbranch_execz .LBB61_1014
; %bb.1005:
	v_cmp_ne_u32_e32 vcc_lo, 1, v130
	s_cbranch_vccnz .LBB61_1007
; %bb.1006:
	scratch_load_b64 v[125:126], v129, off
	ds_load_b64 v[131:132], v128
	s_waitcnt vmcnt(0) lgkmcnt(0)
	v_mul_f64 v[125:126], v[125:126], v[131:132]
	s_cbranch_execz .LBB61_1008
	s_branch .LBB61_1009
.LBB61_1007:
                                        ; implicit-def: $vgpr125_vgpr126
.LBB61_1008:
	ds_load_b64 v[125:126], v128
.LBB61_1009:
	s_mov_b32 s1, exec_lo
	v_cmpx_ne_u32_e32 40, v0
	s_cbranch_execz .LBB61_1013
; %bb.1010:
	v_add_nc_u32_e32 v131, 0x1f8, v127
	v_add3_u32 v132, 0, v127, 8
	v_mov_b32_e32 v133, v0
	s_mov_b32 s2, 0
.LBB61_1011:                            ; =>This Inner Loop Header: Depth=1
	scratch_load_b64 v[134:135], v132, off
	ds_load_b64 v[136:137], v131
	v_add_nc_u32_e32 v133, 1, v133
	v_add_nc_u32_e32 v131, 8, v131
	v_add_nc_u32_e32 v132, 8, v132
	s_delay_alu instid0(VALU_DEP_3)
	v_cmp_lt_u32_e32 vcc_lo, 39, v133
	s_or_b32 s2, vcc_lo, s2
	s_waitcnt vmcnt(0) lgkmcnt(0)
	v_fma_f64 v[125:126], v[134:135], v[136:137], v[125:126]
	s_and_not1_b32 exec_lo, exec_lo, s2
	s_cbranch_execnz .LBB61_1011
; %bb.1012:
	s_or_b32 exec_lo, exec_lo, s2
.LBB61_1013:
	s_delay_alu instid0(SALU_CYCLE_1)
	s_or_b32 exec_lo, exec_lo, s1
	v_mov_b32_e32 v131, 0
	ds_load_b64 v[131:132], v131 offset:328
	s_waitcnt lgkmcnt(0)
	v_mul_f64 v[125:126], v[125:126], v[131:132]
	scratch_store_b64 off, v[125:126], off offset:328
.LBB61_1014:
	s_or_b32 exec_lo, exec_lo, s0
	scratch_load_b64 v[125:126], off, off offset:336
	s_mov_b32 s0, exec_lo
	s_waitcnt vmcnt(0)
	ds_store_b64 v128, v[125:126]
	s_waitcnt lgkmcnt(0)
	s_waitcnt_vscnt null, 0x0
	s_barrier
	buffer_gl0_inv
	v_cmpx_gt_u32_e32 42, v0
	s_cbranch_execz .LBB61_1024
; %bb.1015:
	v_cmp_ne_u32_e32 vcc_lo, 1, v130
	s_cbranch_vccnz .LBB61_1017
; %bb.1016:
	scratch_load_b64 v[125:126], v129, off
	ds_load_b64 v[131:132], v128
	s_waitcnt vmcnt(0) lgkmcnt(0)
	v_mul_f64 v[125:126], v[125:126], v[131:132]
	s_cbranch_execz .LBB61_1018
	s_branch .LBB61_1019
.LBB61_1017:
                                        ; implicit-def: $vgpr125_vgpr126
.LBB61_1018:
	ds_load_b64 v[125:126], v128
.LBB61_1019:
	s_mov_b32 s1, exec_lo
	v_cmpx_ne_u32_e32 41, v0
	s_cbranch_execz .LBB61_1023
; %bb.1020:
	v_add_nc_u32_e32 v131, 0x1f8, v127
	v_add3_u32 v132, 0, v127, 8
	v_mov_b32_e32 v133, v0
	s_mov_b32 s2, 0
.LBB61_1021:                            ; =>This Inner Loop Header: Depth=1
	scratch_load_b64 v[134:135], v132, off
	ds_load_b64 v[136:137], v131
	v_add_nc_u32_e32 v133, 1, v133
	v_add_nc_u32_e32 v131, 8, v131
	v_add_nc_u32_e32 v132, 8, v132
	s_delay_alu instid0(VALU_DEP_3)
	v_cmp_lt_u32_e32 vcc_lo, 40, v133
	s_or_b32 s2, vcc_lo, s2
	s_waitcnt vmcnt(0) lgkmcnt(0)
	v_fma_f64 v[125:126], v[134:135], v[136:137], v[125:126]
	s_and_not1_b32 exec_lo, exec_lo, s2
	s_cbranch_execnz .LBB61_1021
; %bb.1022:
	s_or_b32 exec_lo, exec_lo, s2
.LBB61_1023:
	s_delay_alu instid0(SALU_CYCLE_1)
	s_or_b32 exec_lo, exec_lo, s1
	v_mov_b32_e32 v131, 0
	ds_load_b64 v[131:132], v131 offset:336
	s_waitcnt lgkmcnt(0)
	v_mul_f64 v[125:126], v[125:126], v[131:132]
	scratch_store_b64 off, v[125:126], off offset:336
.LBB61_1024:
	s_or_b32 exec_lo, exec_lo, s0
	scratch_load_b64 v[125:126], off, off offset:344
	s_mov_b32 s0, exec_lo
	s_waitcnt vmcnt(0)
	ds_store_b64 v128, v[125:126]
	s_waitcnt lgkmcnt(0)
	s_waitcnt_vscnt null, 0x0
	s_barrier
	buffer_gl0_inv
	v_cmpx_gt_u32_e32 43, v0
	s_cbranch_execz .LBB61_1034
; %bb.1025:
	v_cmp_ne_u32_e32 vcc_lo, 1, v130
	s_cbranch_vccnz .LBB61_1027
; %bb.1026:
	scratch_load_b64 v[125:126], v129, off
	ds_load_b64 v[131:132], v128
	s_waitcnt vmcnt(0) lgkmcnt(0)
	v_mul_f64 v[125:126], v[125:126], v[131:132]
	s_cbranch_execz .LBB61_1028
	s_branch .LBB61_1029
.LBB61_1027:
                                        ; implicit-def: $vgpr125_vgpr126
.LBB61_1028:
	ds_load_b64 v[125:126], v128
.LBB61_1029:
	s_mov_b32 s1, exec_lo
	v_cmpx_ne_u32_e32 42, v0
	s_cbranch_execz .LBB61_1033
; %bb.1030:
	v_add_nc_u32_e32 v131, 0x1f8, v127
	v_add3_u32 v132, 0, v127, 8
	v_mov_b32_e32 v133, v0
	s_mov_b32 s2, 0
.LBB61_1031:                            ; =>This Inner Loop Header: Depth=1
	scratch_load_b64 v[134:135], v132, off
	ds_load_b64 v[136:137], v131
	v_add_nc_u32_e32 v133, 1, v133
	v_add_nc_u32_e32 v131, 8, v131
	v_add_nc_u32_e32 v132, 8, v132
	s_delay_alu instid0(VALU_DEP_3)
	v_cmp_lt_u32_e32 vcc_lo, 41, v133
	s_or_b32 s2, vcc_lo, s2
	s_waitcnt vmcnt(0) lgkmcnt(0)
	v_fma_f64 v[125:126], v[134:135], v[136:137], v[125:126]
	s_and_not1_b32 exec_lo, exec_lo, s2
	s_cbranch_execnz .LBB61_1031
; %bb.1032:
	s_or_b32 exec_lo, exec_lo, s2
.LBB61_1033:
	s_delay_alu instid0(SALU_CYCLE_1)
	s_or_b32 exec_lo, exec_lo, s1
	v_mov_b32_e32 v131, 0
	ds_load_b64 v[131:132], v131 offset:344
	s_waitcnt lgkmcnt(0)
	v_mul_f64 v[125:126], v[125:126], v[131:132]
	scratch_store_b64 off, v[125:126], off offset:344
.LBB61_1034:
	s_or_b32 exec_lo, exec_lo, s0
	scratch_load_b64 v[125:126], off, off offset:352
	s_mov_b32 s0, exec_lo
	s_waitcnt vmcnt(0)
	ds_store_b64 v128, v[125:126]
	s_waitcnt lgkmcnt(0)
	s_waitcnt_vscnt null, 0x0
	s_barrier
	buffer_gl0_inv
	v_cmpx_gt_u32_e32 44, v0
	s_cbranch_execz .LBB61_1044
; %bb.1035:
	v_cmp_ne_u32_e32 vcc_lo, 1, v130
	s_cbranch_vccnz .LBB61_1037
; %bb.1036:
	scratch_load_b64 v[125:126], v129, off
	ds_load_b64 v[131:132], v128
	s_waitcnt vmcnt(0) lgkmcnt(0)
	v_mul_f64 v[125:126], v[125:126], v[131:132]
	s_cbranch_execz .LBB61_1038
	s_branch .LBB61_1039
.LBB61_1037:
                                        ; implicit-def: $vgpr125_vgpr126
.LBB61_1038:
	ds_load_b64 v[125:126], v128
.LBB61_1039:
	s_mov_b32 s1, exec_lo
	v_cmpx_ne_u32_e32 43, v0
	s_cbranch_execz .LBB61_1043
; %bb.1040:
	v_add_nc_u32_e32 v131, 0x1f8, v127
	v_add3_u32 v132, 0, v127, 8
	v_mov_b32_e32 v133, v0
	s_mov_b32 s2, 0
.LBB61_1041:                            ; =>This Inner Loop Header: Depth=1
	scratch_load_b64 v[134:135], v132, off
	ds_load_b64 v[136:137], v131
	v_add_nc_u32_e32 v133, 1, v133
	v_add_nc_u32_e32 v131, 8, v131
	v_add_nc_u32_e32 v132, 8, v132
	s_delay_alu instid0(VALU_DEP_3)
	v_cmp_lt_u32_e32 vcc_lo, 42, v133
	s_or_b32 s2, vcc_lo, s2
	s_waitcnt vmcnt(0) lgkmcnt(0)
	v_fma_f64 v[125:126], v[134:135], v[136:137], v[125:126]
	s_and_not1_b32 exec_lo, exec_lo, s2
	s_cbranch_execnz .LBB61_1041
; %bb.1042:
	s_or_b32 exec_lo, exec_lo, s2
.LBB61_1043:
	s_delay_alu instid0(SALU_CYCLE_1)
	s_or_b32 exec_lo, exec_lo, s1
	v_mov_b32_e32 v131, 0
	ds_load_b64 v[131:132], v131 offset:352
	s_waitcnt lgkmcnt(0)
	v_mul_f64 v[125:126], v[125:126], v[131:132]
	scratch_store_b64 off, v[125:126], off offset:352
.LBB61_1044:
	s_or_b32 exec_lo, exec_lo, s0
	scratch_load_b64 v[125:126], off, off offset:360
	s_mov_b32 s0, exec_lo
	s_waitcnt vmcnt(0)
	ds_store_b64 v128, v[125:126]
	s_waitcnt lgkmcnt(0)
	s_waitcnt_vscnt null, 0x0
	s_barrier
	buffer_gl0_inv
	v_cmpx_gt_u32_e32 45, v0
	s_cbranch_execz .LBB61_1054
; %bb.1045:
	v_cmp_ne_u32_e32 vcc_lo, 1, v130
	s_cbranch_vccnz .LBB61_1047
; %bb.1046:
	scratch_load_b64 v[125:126], v129, off
	ds_load_b64 v[131:132], v128
	s_waitcnt vmcnt(0) lgkmcnt(0)
	v_mul_f64 v[125:126], v[125:126], v[131:132]
	s_cbranch_execz .LBB61_1048
	s_branch .LBB61_1049
.LBB61_1047:
                                        ; implicit-def: $vgpr125_vgpr126
.LBB61_1048:
	ds_load_b64 v[125:126], v128
.LBB61_1049:
	s_mov_b32 s1, exec_lo
	v_cmpx_ne_u32_e32 44, v0
	s_cbranch_execz .LBB61_1053
; %bb.1050:
	v_add_nc_u32_e32 v131, 0x1f8, v127
	v_add3_u32 v132, 0, v127, 8
	v_mov_b32_e32 v133, v0
	s_mov_b32 s2, 0
.LBB61_1051:                            ; =>This Inner Loop Header: Depth=1
	scratch_load_b64 v[134:135], v132, off
	ds_load_b64 v[136:137], v131
	v_add_nc_u32_e32 v133, 1, v133
	v_add_nc_u32_e32 v131, 8, v131
	v_add_nc_u32_e32 v132, 8, v132
	s_delay_alu instid0(VALU_DEP_3)
	v_cmp_lt_u32_e32 vcc_lo, 43, v133
	s_or_b32 s2, vcc_lo, s2
	s_waitcnt vmcnt(0) lgkmcnt(0)
	v_fma_f64 v[125:126], v[134:135], v[136:137], v[125:126]
	s_and_not1_b32 exec_lo, exec_lo, s2
	s_cbranch_execnz .LBB61_1051
; %bb.1052:
	s_or_b32 exec_lo, exec_lo, s2
.LBB61_1053:
	s_delay_alu instid0(SALU_CYCLE_1)
	s_or_b32 exec_lo, exec_lo, s1
	v_mov_b32_e32 v131, 0
	ds_load_b64 v[131:132], v131 offset:360
	s_waitcnt lgkmcnt(0)
	v_mul_f64 v[125:126], v[125:126], v[131:132]
	scratch_store_b64 off, v[125:126], off offset:360
.LBB61_1054:
	s_or_b32 exec_lo, exec_lo, s0
	scratch_load_b64 v[125:126], off, off offset:368
	s_mov_b32 s0, exec_lo
	s_waitcnt vmcnt(0)
	ds_store_b64 v128, v[125:126]
	s_waitcnt lgkmcnt(0)
	s_waitcnt_vscnt null, 0x0
	s_barrier
	buffer_gl0_inv
	v_cmpx_gt_u32_e32 46, v0
	s_cbranch_execz .LBB61_1064
; %bb.1055:
	v_cmp_ne_u32_e32 vcc_lo, 1, v130
	s_cbranch_vccnz .LBB61_1057
; %bb.1056:
	scratch_load_b64 v[125:126], v129, off
	ds_load_b64 v[131:132], v128
	s_waitcnt vmcnt(0) lgkmcnt(0)
	v_mul_f64 v[125:126], v[125:126], v[131:132]
	s_cbranch_execz .LBB61_1058
	s_branch .LBB61_1059
.LBB61_1057:
                                        ; implicit-def: $vgpr125_vgpr126
.LBB61_1058:
	ds_load_b64 v[125:126], v128
.LBB61_1059:
	s_mov_b32 s1, exec_lo
	v_cmpx_ne_u32_e32 45, v0
	s_cbranch_execz .LBB61_1063
; %bb.1060:
	v_add_nc_u32_e32 v131, 0x1f8, v127
	v_add3_u32 v132, 0, v127, 8
	v_mov_b32_e32 v133, v0
	s_mov_b32 s2, 0
.LBB61_1061:                            ; =>This Inner Loop Header: Depth=1
	scratch_load_b64 v[134:135], v132, off
	ds_load_b64 v[136:137], v131
	v_add_nc_u32_e32 v133, 1, v133
	v_add_nc_u32_e32 v131, 8, v131
	v_add_nc_u32_e32 v132, 8, v132
	s_delay_alu instid0(VALU_DEP_3)
	v_cmp_lt_u32_e32 vcc_lo, 44, v133
	s_or_b32 s2, vcc_lo, s2
	s_waitcnt vmcnt(0) lgkmcnt(0)
	v_fma_f64 v[125:126], v[134:135], v[136:137], v[125:126]
	s_and_not1_b32 exec_lo, exec_lo, s2
	s_cbranch_execnz .LBB61_1061
; %bb.1062:
	s_or_b32 exec_lo, exec_lo, s2
.LBB61_1063:
	s_delay_alu instid0(SALU_CYCLE_1)
	s_or_b32 exec_lo, exec_lo, s1
	v_mov_b32_e32 v131, 0
	ds_load_b64 v[131:132], v131 offset:368
	s_waitcnt lgkmcnt(0)
	v_mul_f64 v[125:126], v[125:126], v[131:132]
	scratch_store_b64 off, v[125:126], off offset:368
.LBB61_1064:
	s_or_b32 exec_lo, exec_lo, s0
	scratch_load_b64 v[125:126], off, off offset:376
	s_mov_b32 s0, exec_lo
	s_waitcnt vmcnt(0)
	ds_store_b64 v128, v[125:126]
	s_waitcnt lgkmcnt(0)
	s_waitcnt_vscnt null, 0x0
	s_barrier
	buffer_gl0_inv
	v_cmpx_gt_u32_e32 47, v0
	s_cbranch_execz .LBB61_1074
; %bb.1065:
	v_cmp_ne_u32_e32 vcc_lo, 1, v130
	s_cbranch_vccnz .LBB61_1067
; %bb.1066:
	scratch_load_b64 v[125:126], v129, off
	ds_load_b64 v[131:132], v128
	s_waitcnt vmcnt(0) lgkmcnt(0)
	v_mul_f64 v[125:126], v[125:126], v[131:132]
	s_cbranch_execz .LBB61_1068
	s_branch .LBB61_1069
.LBB61_1067:
                                        ; implicit-def: $vgpr125_vgpr126
.LBB61_1068:
	ds_load_b64 v[125:126], v128
.LBB61_1069:
	s_mov_b32 s1, exec_lo
	v_cmpx_ne_u32_e32 46, v0
	s_cbranch_execz .LBB61_1073
; %bb.1070:
	v_add_nc_u32_e32 v131, 0x1f8, v127
	v_add3_u32 v132, 0, v127, 8
	v_mov_b32_e32 v133, v0
	s_mov_b32 s2, 0
.LBB61_1071:                            ; =>This Inner Loop Header: Depth=1
	scratch_load_b64 v[134:135], v132, off
	ds_load_b64 v[136:137], v131
	v_add_nc_u32_e32 v133, 1, v133
	v_add_nc_u32_e32 v131, 8, v131
	v_add_nc_u32_e32 v132, 8, v132
	s_delay_alu instid0(VALU_DEP_3)
	v_cmp_lt_u32_e32 vcc_lo, 45, v133
	s_or_b32 s2, vcc_lo, s2
	s_waitcnt vmcnt(0) lgkmcnt(0)
	v_fma_f64 v[125:126], v[134:135], v[136:137], v[125:126]
	s_and_not1_b32 exec_lo, exec_lo, s2
	s_cbranch_execnz .LBB61_1071
; %bb.1072:
	s_or_b32 exec_lo, exec_lo, s2
.LBB61_1073:
	s_delay_alu instid0(SALU_CYCLE_1)
	s_or_b32 exec_lo, exec_lo, s1
	v_mov_b32_e32 v131, 0
	ds_load_b64 v[131:132], v131 offset:376
	s_waitcnt lgkmcnt(0)
	v_mul_f64 v[125:126], v[125:126], v[131:132]
	scratch_store_b64 off, v[125:126], off offset:376
.LBB61_1074:
	s_or_b32 exec_lo, exec_lo, s0
	scratch_load_b64 v[125:126], off, off offset:384
	s_mov_b32 s0, exec_lo
	s_waitcnt vmcnt(0)
	ds_store_b64 v128, v[125:126]
	s_waitcnt lgkmcnt(0)
	s_waitcnt_vscnt null, 0x0
	s_barrier
	buffer_gl0_inv
	v_cmpx_gt_u32_e32 48, v0
	s_cbranch_execz .LBB61_1084
; %bb.1075:
	v_cmp_ne_u32_e32 vcc_lo, 1, v130
	s_cbranch_vccnz .LBB61_1077
; %bb.1076:
	scratch_load_b64 v[125:126], v129, off
	ds_load_b64 v[131:132], v128
	s_waitcnt vmcnt(0) lgkmcnt(0)
	v_mul_f64 v[125:126], v[125:126], v[131:132]
	s_cbranch_execz .LBB61_1078
	s_branch .LBB61_1079
.LBB61_1077:
                                        ; implicit-def: $vgpr125_vgpr126
.LBB61_1078:
	ds_load_b64 v[125:126], v128
.LBB61_1079:
	s_mov_b32 s1, exec_lo
	v_cmpx_ne_u32_e32 47, v0
	s_cbranch_execz .LBB61_1083
; %bb.1080:
	v_add_nc_u32_e32 v131, 0x1f8, v127
	v_add3_u32 v132, 0, v127, 8
	v_mov_b32_e32 v133, v0
	s_mov_b32 s2, 0
.LBB61_1081:                            ; =>This Inner Loop Header: Depth=1
	scratch_load_b64 v[134:135], v132, off
	ds_load_b64 v[136:137], v131
	v_add_nc_u32_e32 v133, 1, v133
	v_add_nc_u32_e32 v131, 8, v131
	v_add_nc_u32_e32 v132, 8, v132
	s_delay_alu instid0(VALU_DEP_3)
	v_cmp_lt_u32_e32 vcc_lo, 46, v133
	s_or_b32 s2, vcc_lo, s2
	s_waitcnt vmcnt(0) lgkmcnt(0)
	v_fma_f64 v[125:126], v[134:135], v[136:137], v[125:126]
	s_and_not1_b32 exec_lo, exec_lo, s2
	s_cbranch_execnz .LBB61_1081
; %bb.1082:
	s_or_b32 exec_lo, exec_lo, s2
.LBB61_1083:
	s_delay_alu instid0(SALU_CYCLE_1)
	s_or_b32 exec_lo, exec_lo, s1
	v_mov_b32_e32 v131, 0
	ds_load_b64 v[131:132], v131 offset:384
	s_waitcnt lgkmcnt(0)
	v_mul_f64 v[125:126], v[125:126], v[131:132]
	scratch_store_b64 off, v[125:126], off offset:384
.LBB61_1084:
	s_or_b32 exec_lo, exec_lo, s0
	scratch_load_b64 v[125:126], off, off offset:392
	s_mov_b32 s0, exec_lo
	s_waitcnt vmcnt(0)
	ds_store_b64 v128, v[125:126]
	s_waitcnt lgkmcnt(0)
	s_waitcnt_vscnt null, 0x0
	s_barrier
	buffer_gl0_inv
	v_cmpx_gt_u32_e32 49, v0
	s_cbranch_execz .LBB61_1094
; %bb.1085:
	v_cmp_ne_u32_e32 vcc_lo, 1, v130
	s_cbranch_vccnz .LBB61_1087
; %bb.1086:
	scratch_load_b64 v[125:126], v129, off
	ds_load_b64 v[131:132], v128
	s_waitcnt vmcnt(0) lgkmcnt(0)
	v_mul_f64 v[125:126], v[125:126], v[131:132]
	s_cbranch_execz .LBB61_1088
	s_branch .LBB61_1089
.LBB61_1087:
                                        ; implicit-def: $vgpr125_vgpr126
.LBB61_1088:
	ds_load_b64 v[125:126], v128
.LBB61_1089:
	s_mov_b32 s1, exec_lo
	v_cmpx_ne_u32_e32 48, v0
	s_cbranch_execz .LBB61_1093
; %bb.1090:
	v_add_nc_u32_e32 v131, 0x1f8, v127
	v_add3_u32 v132, 0, v127, 8
	v_mov_b32_e32 v133, v0
	s_mov_b32 s2, 0
.LBB61_1091:                            ; =>This Inner Loop Header: Depth=1
	scratch_load_b64 v[134:135], v132, off
	ds_load_b64 v[136:137], v131
	v_add_nc_u32_e32 v133, 1, v133
	v_add_nc_u32_e32 v131, 8, v131
	v_add_nc_u32_e32 v132, 8, v132
	s_delay_alu instid0(VALU_DEP_3)
	v_cmp_lt_u32_e32 vcc_lo, 47, v133
	s_or_b32 s2, vcc_lo, s2
	s_waitcnt vmcnt(0) lgkmcnt(0)
	v_fma_f64 v[125:126], v[134:135], v[136:137], v[125:126]
	s_and_not1_b32 exec_lo, exec_lo, s2
	s_cbranch_execnz .LBB61_1091
; %bb.1092:
	s_or_b32 exec_lo, exec_lo, s2
.LBB61_1093:
	s_delay_alu instid0(SALU_CYCLE_1)
	s_or_b32 exec_lo, exec_lo, s1
	v_mov_b32_e32 v131, 0
	ds_load_b64 v[131:132], v131 offset:392
	s_waitcnt lgkmcnt(0)
	v_mul_f64 v[125:126], v[125:126], v[131:132]
	scratch_store_b64 off, v[125:126], off offset:392
.LBB61_1094:
	s_or_b32 exec_lo, exec_lo, s0
	scratch_load_b64 v[125:126], off, off offset:400
	s_mov_b32 s0, exec_lo
	s_waitcnt vmcnt(0)
	ds_store_b64 v128, v[125:126]
	s_waitcnt lgkmcnt(0)
	s_waitcnt_vscnt null, 0x0
	s_barrier
	buffer_gl0_inv
	v_cmpx_gt_u32_e32 50, v0
	s_cbranch_execz .LBB61_1104
; %bb.1095:
	v_cmp_ne_u32_e32 vcc_lo, 1, v130
	s_cbranch_vccnz .LBB61_1097
; %bb.1096:
	scratch_load_b64 v[125:126], v129, off
	ds_load_b64 v[131:132], v128
	s_waitcnt vmcnt(0) lgkmcnt(0)
	v_mul_f64 v[125:126], v[125:126], v[131:132]
	s_cbranch_execz .LBB61_1098
	s_branch .LBB61_1099
.LBB61_1097:
                                        ; implicit-def: $vgpr125_vgpr126
.LBB61_1098:
	ds_load_b64 v[125:126], v128
.LBB61_1099:
	s_mov_b32 s1, exec_lo
	v_cmpx_ne_u32_e32 49, v0
	s_cbranch_execz .LBB61_1103
; %bb.1100:
	v_add_nc_u32_e32 v131, 0x1f8, v127
	v_add3_u32 v132, 0, v127, 8
	v_mov_b32_e32 v133, v0
	s_mov_b32 s2, 0
.LBB61_1101:                            ; =>This Inner Loop Header: Depth=1
	scratch_load_b64 v[134:135], v132, off
	ds_load_b64 v[136:137], v131
	v_add_nc_u32_e32 v133, 1, v133
	v_add_nc_u32_e32 v131, 8, v131
	v_add_nc_u32_e32 v132, 8, v132
	s_delay_alu instid0(VALU_DEP_3)
	v_cmp_lt_u32_e32 vcc_lo, 48, v133
	s_or_b32 s2, vcc_lo, s2
	s_waitcnt vmcnt(0) lgkmcnt(0)
	v_fma_f64 v[125:126], v[134:135], v[136:137], v[125:126]
	s_and_not1_b32 exec_lo, exec_lo, s2
	s_cbranch_execnz .LBB61_1101
; %bb.1102:
	s_or_b32 exec_lo, exec_lo, s2
.LBB61_1103:
	s_delay_alu instid0(SALU_CYCLE_1)
	s_or_b32 exec_lo, exec_lo, s1
	v_mov_b32_e32 v131, 0
	ds_load_b64 v[131:132], v131 offset:400
	s_waitcnt lgkmcnt(0)
	v_mul_f64 v[125:126], v[125:126], v[131:132]
	scratch_store_b64 off, v[125:126], off offset:400
.LBB61_1104:
	s_or_b32 exec_lo, exec_lo, s0
	scratch_load_b64 v[125:126], off, off offset:408
	s_mov_b32 s0, exec_lo
	s_waitcnt vmcnt(0)
	ds_store_b64 v128, v[125:126]
	s_waitcnt lgkmcnt(0)
	s_waitcnt_vscnt null, 0x0
	s_barrier
	buffer_gl0_inv
	v_cmpx_gt_u32_e32 51, v0
	s_cbranch_execz .LBB61_1114
; %bb.1105:
	v_cmp_ne_u32_e32 vcc_lo, 1, v130
	s_cbranch_vccnz .LBB61_1107
; %bb.1106:
	scratch_load_b64 v[125:126], v129, off
	ds_load_b64 v[131:132], v128
	s_waitcnt vmcnt(0) lgkmcnt(0)
	v_mul_f64 v[125:126], v[125:126], v[131:132]
	s_cbranch_execz .LBB61_1108
	s_branch .LBB61_1109
.LBB61_1107:
                                        ; implicit-def: $vgpr125_vgpr126
.LBB61_1108:
	ds_load_b64 v[125:126], v128
.LBB61_1109:
	s_mov_b32 s1, exec_lo
	v_cmpx_ne_u32_e32 50, v0
	s_cbranch_execz .LBB61_1113
; %bb.1110:
	v_add_nc_u32_e32 v131, 0x1f8, v127
	v_add3_u32 v132, 0, v127, 8
	v_mov_b32_e32 v133, v0
	s_mov_b32 s2, 0
.LBB61_1111:                            ; =>This Inner Loop Header: Depth=1
	scratch_load_b64 v[134:135], v132, off
	ds_load_b64 v[136:137], v131
	v_add_nc_u32_e32 v133, 1, v133
	v_add_nc_u32_e32 v131, 8, v131
	v_add_nc_u32_e32 v132, 8, v132
	s_delay_alu instid0(VALU_DEP_3)
	v_cmp_lt_u32_e32 vcc_lo, 49, v133
	s_or_b32 s2, vcc_lo, s2
	s_waitcnt vmcnt(0) lgkmcnt(0)
	v_fma_f64 v[125:126], v[134:135], v[136:137], v[125:126]
	s_and_not1_b32 exec_lo, exec_lo, s2
	s_cbranch_execnz .LBB61_1111
; %bb.1112:
	s_or_b32 exec_lo, exec_lo, s2
.LBB61_1113:
	s_delay_alu instid0(SALU_CYCLE_1)
	s_or_b32 exec_lo, exec_lo, s1
	v_mov_b32_e32 v131, 0
	ds_load_b64 v[131:132], v131 offset:408
	s_waitcnt lgkmcnt(0)
	v_mul_f64 v[125:126], v[125:126], v[131:132]
	scratch_store_b64 off, v[125:126], off offset:408
.LBB61_1114:
	s_or_b32 exec_lo, exec_lo, s0
	scratch_load_b64 v[125:126], off, off offset:416
	s_mov_b32 s0, exec_lo
	s_waitcnt vmcnt(0)
	ds_store_b64 v128, v[125:126]
	s_waitcnt lgkmcnt(0)
	s_waitcnt_vscnt null, 0x0
	s_barrier
	buffer_gl0_inv
	v_cmpx_gt_u32_e32 52, v0
	s_cbranch_execz .LBB61_1124
; %bb.1115:
	v_cmp_ne_u32_e32 vcc_lo, 1, v130
	s_cbranch_vccnz .LBB61_1117
; %bb.1116:
	scratch_load_b64 v[125:126], v129, off
	ds_load_b64 v[131:132], v128
	s_waitcnt vmcnt(0) lgkmcnt(0)
	v_mul_f64 v[125:126], v[125:126], v[131:132]
	s_cbranch_execz .LBB61_1118
	s_branch .LBB61_1119
.LBB61_1117:
                                        ; implicit-def: $vgpr125_vgpr126
.LBB61_1118:
	ds_load_b64 v[125:126], v128
.LBB61_1119:
	s_mov_b32 s1, exec_lo
	v_cmpx_ne_u32_e32 51, v0
	s_cbranch_execz .LBB61_1123
; %bb.1120:
	v_add_nc_u32_e32 v131, 0x1f8, v127
	v_add3_u32 v132, 0, v127, 8
	v_mov_b32_e32 v133, v0
	s_mov_b32 s2, 0
.LBB61_1121:                            ; =>This Inner Loop Header: Depth=1
	scratch_load_b64 v[134:135], v132, off
	ds_load_b64 v[136:137], v131
	v_add_nc_u32_e32 v133, 1, v133
	v_add_nc_u32_e32 v131, 8, v131
	v_add_nc_u32_e32 v132, 8, v132
	s_delay_alu instid0(VALU_DEP_3)
	v_cmp_lt_u32_e32 vcc_lo, 50, v133
	s_or_b32 s2, vcc_lo, s2
	s_waitcnt vmcnt(0) lgkmcnt(0)
	v_fma_f64 v[125:126], v[134:135], v[136:137], v[125:126]
	s_and_not1_b32 exec_lo, exec_lo, s2
	s_cbranch_execnz .LBB61_1121
; %bb.1122:
	s_or_b32 exec_lo, exec_lo, s2
.LBB61_1123:
	s_delay_alu instid0(SALU_CYCLE_1)
	s_or_b32 exec_lo, exec_lo, s1
	v_mov_b32_e32 v131, 0
	ds_load_b64 v[131:132], v131 offset:416
	s_waitcnt lgkmcnt(0)
	v_mul_f64 v[125:126], v[125:126], v[131:132]
	scratch_store_b64 off, v[125:126], off offset:416
.LBB61_1124:
	s_or_b32 exec_lo, exec_lo, s0
	scratch_load_b64 v[125:126], off, off offset:424
	s_mov_b32 s0, exec_lo
	s_waitcnt vmcnt(0)
	ds_store_b64 v128, v[125:126]
	s_waitcnt lgkmcnt(0)
	s_waitcnt_vscnt null, 0x0
	s_barrier
	buffer_gl0_inv
	v_cmpx_gt_u32_e32 53, v0
	s_cbranch_execz .LBB61_1134
; %bb.1125:
	v_cmp_ne_u32_e32 vcc_lo, 1, v130
	s_cbranch_vccnz .LBB61_1127
; %bb.1126:
	scratch_load_b64 v[125:126], v129, off
	ds_load_b64 v[131:132], v128
	s_waitcnt vmcnt(0) lgkmcnt(0)
	v_mul_f64 v[125:126], v[125:126], v[131:132]
	s_cbranch_execz .LBB61_1128
	s_branch .LBB61_1129
.LBB61_1127:
                                        ; implicit-def: $vgpr125_vgpr126
.LBB61_1128:
	ds_load_b64 v[125:126], v128
.LBB61_1129:
	s_mov_b32 s1, exec_lo
	v_cmpx_ne_u32_e32 52, v0
	s_cbranch_execz .LBB61_1133
; %bb.1130:
	v_add_nc_u32_e32 v131, 0x1f8, v127
	v_add3_u32 v132, 0, v127, 8
	v_mov_b32_e32 v133, v0
	s_mov_b32 s2, 0
.LBB61_1131:                            ; =>This Inner Loop Header: Depth=1
	scratch_load_b64 v[134:135], v132, off
	ds_load_b64 v[136:137], v131
	v_add_nc_u32_e32 v133, 1, v133
	v_add_nc_u32_e32 v131, 8, v131
	v_add_nc_u32_e32 v132, 8, v132
	s_delay_alu instid0(VALU_DEP_3)
	v_cmp_lt_u32_e32 vcc_lo, 51, v133
	s_or_b32 s2, vcc_lo, s2
	s_waitcnt vmcnt(0) lgkmcnt(0)
	v_fma_f64 v[125:126], v[134:135], v[136:137], v[125:126]
	s_and_not1_b32 exec_lo, exec_lo, s2
	s_cbranch_execnz .LBB61_1131
; %bb.1132:
	s_or_b32 exec_lo, exec_lo, s2
.LBB61_1133:
	s_delay_alu instid0(SALU_CYCLE_1)
	s_or_b32 exec_lo, exec_lo, s1
	v_mov_b32_e32 v131, 0
	ds_load_b64 v[131:132], v131 offset:424
	s_waitcnt lgkmcnt(0)
	v_mul_f64 v[125:126], v[125:126], v[131:132]
	scratch_store_b64 off, v[125:126], off offset:424
.LBB61_1134:
	s_or_b32 exec_lo, exec_lo, s0
	scratch_load_b64 v[125:126], off, off offset:432
	s_mov_b32 s0, exec_lo
	s_waitcnt vmcnt(0)
	ds_store_b64 v128, v[125:126]
	s_waitcnt lgkmcnt(0)
	s_waitcnt_vscnt null, 0x0
	s_barrier
	buffer_gl0_inv
	v_cmpx_gt_u32_e32 54, v0
	s_cbranch_execz .LBB61_1144
; %bb.1135:
	v_cmp_ne_u32_e32 vcc_lo, 1, v130
	s_cbranch_vccnz .LBB61_1137
; %bb.1136:
	scratch_load_b64 v[125:126], v129, off
	ds_load_b64 v[131:132], v128
	s_waitcnt vmcnt(0) lgkmcnt(0)
	v_mul_f64 v[125:126], v[125:126], v[131:132]
	s_cbranch_execz .LBB61_1138
	s_branch .LBB61_1139
.LBB61_1137:
                                        ; implicit-def: $vgpr125_vgpr126
.LBB61_1138:
	ds_load_b64 v[125:126], v128
.LBB61_1139:
	s_mov_b32 s1, exec_lo
	v_cmpx_ne_u32_e32 53, v0
	s_cbranch_execz .LBB61_1143
; %bb.1140:
	v_add_nc_u32_e32 v131, 0x1f8, v127
	v_add3_u32 v132, 0, v127, 8
	v_mov_b32_e32 v133, v0
	s_mov_b32 s2, 0
.LBB61_1141:                            ; =>This Inner Loop Header: Depth=1
	scratch_load_b64 v[134:135], v132, off
	ds_load_b64 v[136:137], v131
	v_add_nc_u32_e32 v133, 1, v133
	v_add_nc_u32_e32 v131, 8, v131
	v_add_nc_u32_e32 v132, 8, v132
	s_delay_alu instid0(VALU_DEP_3)
	v_cmp_lt_u32_e32 vcc_lo, 52, v133
	s_or_b32 s2, vcc_lo, s2
	s_waitcnt vmcnt(0) lgkmcnt(0)
	v_fma_f64 v[125:126], v[134:135], v[136:137], v[125:126]
	s_and_not1_b32 exec_lo, exec_lo, s2
	s_cbranch_execnz .LBB61_1141
; %bb.1142:
	s_or_b32 exec_lo, exec_lo, s2
.LBB61_1143:
	s_delay_alu instid0(SALU_CYCLE_1)
	s_or_b32 exec_lo, exec_lo, s1
	v_mov_b32_e32 v131, 0
	ds_load_b64 v[131:132], v131 offset:432
	s_waitcnt lgkmcnt(0)
	v_mul_f64 v[125:126], v[125:126], v[131:132]
	scratch_store_b64 off, v[125:126], off offset:432
.LBB61_1144:
	s_or_b32 exec_lo, exec_lo, s0
	scratch_load_b64 v[125:126], off, off offset:440
	s_mov_b32 s0, exec_lo
	s_waitcnt vmcnt(0)
	ds_store_b64 v128, v[125:126]
	s_waitcnt lgkmcnt(0)
	s_waitcnt_vscnt null, 0x0
	s_barrier
	buffer_gl0_inv
	v_cmpx_gt_u32_e32 55, v0
	s_cbranch_execz .LBB61_1154
; %bb.1145:
	v_cmp_ne_u32_e32 vcc_lo, 1, v130
	s_cbranch_vccnz .LBB61_1147
; %bb.1146:
	scratch_load_b64 v[125:126], v129, off
	ds_load_b64 v[131:132], v128
	s_waitcnt vmcnt(0) lgkmcnt(0)
	v_mul_f64 v[125:126], v[125:126], v[131:132]
	s_cbranch_execz .LBB61_1148
	s_branch .LBB61_1149
.LBB61_1147:
                                        ; implicit-def: $vgpr125_vgpr126
.LBB61_1148:
	ds_load_b64 v[125:126], v128
.LBB61_1149:
	s_mov_b32 s1, exec_lo
	v_cmpx_ne_u32_e32 54, v0
	s_cbranch_execz .LBB61_1153
; %bb.1150:
	v_add_nc_u32_e32 v131, 0x1f8, v127
	v_add3_u32 v132, 0, v127, 8
	v_mov_b32_e32 v133, v0
	s_mov_b32 s2, 0
.LBB61_1151:                            ; =>This Inner Loop Header: Depth=1
	scratch_load_b64 v[134:135], v132, off
	ds_load_b64 v[136:137], v131
	v_add_nc_u32_e32 v133, 1, v133
	v_add_nc_u32_e32 v131, 8, v131
	v_add_nc_u32_e32 v132, 8, v132
	s_delay_alu instid0(VALU_DEP_3)
	v_cmp_lt_u32_e32 vcc_lo, 53, v133
	s_or_b32 s2, vcc_lo, s2
	s_waitcnt vmcnt(0) lgkmcnt(0)
	v_fma_f64 v[125:126], v[134:135], v[136:137], v[125:126]
	s_and_not1_b32 exec_lo, exec_lo, s2
	s_cbranch_execnz .LBB61_1151
; %bb.1152:
	s_or_b32 exec_lo, exec_lo, s2
.LBB61_1153:
	s_delay_alu instid0(SALU_CYCLE_1)
	s_or_b32 exec_lo, exec_lo, s1
	v_mov_b32_e32 v131, 0
	ds_load_b64 v[131:132], v131 offset:440
	s_waitcnt lgkmcnt(0)
	v_mul_f64 v[125:126], v[125:126], v[131:132]
	scratch_store_b64 off, v[125:126], off offset:440
.LBB61_1154:
	s_or_b32 exec_lo, exec_lo, s0
	scratch_load_b64 v[125:126], off, off offset:448
	s_mov_b32 s0, exec_lo
	s_waitcnt vmcnt(0)
	ds_store_b64 v128, v[125:126]
	s_waitcnt lgkmcnt(0)
	s_waitcnt_vscnt null, 0x0
	s_barrier
	buffer_gl0_inv
	v_cmpx_gt_u32_e32 56, v0
	s_cbranch_execz .LBB61_1164
; %bb.1155:
	v_cmp_ne_u32_e32 vcc_lo, 1, v130
	s_cbranch_vccnz .LBB61_1157
; %bb.1156:
	scratch_load_b64 v[125:126], v129, off
	ds_load_b64 v[131:132], v128
	s_waitcnt vmcnt(0) lgkmcnt(0)
	v_mul_f64 v[125:126], v[125:126], v[131:132]
	s_cbranch_execz .LBB61_1158
	s_branch .LBB61_1159
.LBB61_1157:
                                        ; implicit-def: $vgpr125_vgpr126
.LBB61_1158:
	ds_load_b64 v[125:126], v128
.LBB61_1159:
	s_mov_b32 s1, exec_lo
	v_cmpx_ne_u32_e32 55, v0
	s_cbranch_execz .LBB61_1163
; %bb.1160:
	v_add_nc_u32_e32 v131, 0x1f8, v127
	v_add3_u32 v132, 0, v127, 8
	v_mov_b32_e32 v133, v0
	s_mov_b32 s2, 0
.LBB61_1161:                            ; =>This Inner Loop Header: Depth=1
	scratch_load_b64 v[134:135], v132, off
	ds_load_b64 v[136:137], v131
	v_add_nc_u32_e32 v133, 1, v133
	v_add_nc_u32_e32 v131, 8, v131
	v_add_nc_u32_e32 v132, 8, v132
	s_delay_alu instid0(VALU_DEP_3)
	v_cmp_lt_u32_e32 vcc_lo, 54, v133
	s_or_b32 s2, vcc_lo, s2
	s_waitcnt vmcnt(0) lgkmcnt(0)
	v_fma_f64 v[125:126], v[134:135], v[136:137], v[125:126]
	s_and_not1_b32 exec_lo, exec_lo, s2
	s_cbranch_execnz .LBB61_1161
; %bb.1162:
	s_or_b32 exec_lo, exec_lo, s2
.LBB61_1163:
	s_delay_alu instid0(SALU_CYCLE_1)
	s_or_b32 exec_lo, exec_lo, s1
	v_mov_b32_e32 v131, 0
	ds_load_b64 v[131:132], v131 offset:448
	s_waitcnt lgkmcnt(0)
	v_mul_f64 v[125:126], v[125:126], v[131:132]
	scratch_store_b64 off, v[125:126], off offset:448
.LBB61_1164:
	s_or_b32 exec_lo, exec_lo, s0
	scratch_load_b64 v[125:126], off, off offset:456
	s_mov_b32 s0, exec_lo
	s_waitcnt vmcnt(0)
	ds_store_b64 v128, v[125:126]
	s_waitcnt lgkmcnt(0)
	s_waitcnt_vscnt null, 0x0
	s_barrier
	buffer_gl0_inv
	v_cmpx_gt_u32_e32 57, v0
	s_cbranch_execz .LBB61_1174
; %bb.1165:
	v_cmp_ne_u32_e32 vcc_lo, 1, v130
	s_cbranch_vccnz .LBB61_1167
; %bb.1166:
	scratch_load_b64 v[125:126], v129, off
	ds_load_b64 v[131:132], v128
	s_waitcnt vmcnt(0) lgkmcnt(0)
	v_mul_f64 v[125:126], v[125:126], v[131:132]
	s_cbranch_execz .LBB61_1168
	s_branch .LBB61_1169
.LBB61_1167:
                                        ; implicit-def: $vgpr125_vgpr126
.LBB61_1168:
	ds_load_b64 v[125:126], v128
.LBB61_1169:
	s_mov_b32 s1, exec_lo
	v_cmpx_ne_u32_e32 56, v0
	s_cbranch_execz .LBB61_1173
; %bb.1170:
	v_add_nc_u32_e32 v131, 0x1f8, v127
	v_add3_u32 v132, 0, v127, 8
	v_mov_b32_e32 v133, v0
	s_mov_b32 s2, 0
.LBB61_1171:                            ; =>This Inner Loop Header: Depth=1
	scratch_load_b64 v[134:135], v132, off
	ds_load_b64 v[136:137], v131
	v_add_nc_u32_e32 v133, 1, v133
	v_add_nc_u32_e32 v131, 8, v131
	v_add_nc_u32_e32 v132, 8, v132
	s_delay_alu instid0(VALU_DEP_3)
	v_cmp_lt_u32_e32 vcc_lo, 55, v133
	s_or_b32 s2, vcc_lo, s2
	s_waitcnt vmcnt(0) lgkmcnt(0)
	v_fma_f64 v[125:126], v[134:135], v[136:137], v[125:126]
	s_and_not1_b32 exec_lo, exec_lo, s2
	s_cbranch_execnz .LBB61_1171
; %bb.1172:
	s_or_b32 exec_lo, exec_lo, s2
.LBB61_1173:
	s_delay_alu instid0(SALU_CYCLE_1)
	s_or_b32 exec_lo, exec_lo, s1
	v_mov_b32_e32 v131, 0
	ds_load_b64 v[131:132], v131 offset:456
	s_waitcnt lgkmcnt(0)
	v_mul_f64 v[125:126], v[125:126], v[131:132]
	scratch_store_b64 off, v[125:126], off offset:456
.LBB61_1174:
	s_or_b32 exec_lo, exec_lo, s0
	scratch_load_b64 v[125:126], off, off offset:464
	s_mov_b32 s0, exec_lo
	s_waitcnt vmcnt(0)
	ds_store_b64 v128, v[125:126]
	s_waitcnt lgkmcnt(0)
	s_waitcnt_vscnt null, 0x0
	s_barrier
	buffer_gl0_inv
	v_cmpx_gt_u32_e32 58, v0
	s_cbranch_execz .LBB61_1184
; %bb.1175:
	v_cmp_ne_u32_e32 vcc_lo, 1, v130
	s_cbranch_vccnz .LBB61_1177
; %bb.1176:
	scratch_load_b64 v[125:126], v129, off
	ds_load_b64 v[131:132], v128
	s_waitcnt vmcnt(0) lgkmcnt(0)
	v_mul_f64 v[125:126], v[125:126], v[131:132]
	s_cbranch_execz .LBB61_1178
	s_branch .LBB61_1179
.LBB61_1177:
                                        ; implicit-def: $vgpr125_vgpr126
.LBB61_1178:
	ds_load_b64 v[125:126], v128
.LBB61_1179:
	s_mov_b32 s1, exec_lo
	v_cmpx_ne_u32_e32 57, v0
	s_cbranch_execz .LBB61_1183
; %bb.1180:
	v_add_nc_u32_e32 v131, 0x1f8, v127
	v_add3_u32 v132, 0, v127, 8
	v_mov_b32_e32 v133, v0
	s_mov_b32 s2, 0
.LBB61_1181:                            ; =>This Inner Loop Header: Depth=1
	scratch_load_b64 v[134:135], v132, off
	ds_load_b64 v[136:137], v131
	v_add_nc_u32_e32 v133, 1, v133
	v_add_nc_u32_e32 v131, 8, v131
	v_add_nc_u32_e32 v132, 8, v132
	s_delay_alu instid0(VALU_DEP_3)
	v_cmp_lt_u32_e32 vcc_lo, 56, v133
	s_or_b32 s2, vcc_lo, s2
	s_waitcnt vmcnt(0) lgkmcnt(0)
	v_fma_f64 v[125:126], v[134:135], v[136:137], v[125:126]
	s_and_not1_b32 exec_lo, exec_lo, s2
	s_cbranch_execnz .LBB61_1181
; %bb.1182:
	s_or_b32 exec_lo, exec_lo, s2
.LBB61_1183:
	s_delay_alu instid0(SALU_CYCLE_1)
	s_or_b32 exec_lo, exec_lo, s1
	v_mov_b32_e32 v131, 0
	ds_load_b64 v[131:132], v131 offset:464
	s_waitcnt lgkmcnt(0)
	v_mul_f64 v[125:126], v[125:126], v[131:132]
	scratch_store_b64 off, v[125:126], off offset:464
.LBB61_1184:
	s_or_b32 exec_lo, exec_lo, s0
	scratch_load_b64 v[125:126], off, off offset:472
	s_mov_b32 s0, exec_lo
	s_waitcnt vmcnt(0)
	ds_store_b64 v128, v[125:126]
	s_waitcnt lgkmcnt(0)
	s_waitcnt_vscnt null, 0x0
	s_barrier
	buffer_gl0_inv
	v_cmpx_gt_u32_e32 59, v0
	s_cbranch_execz .LBB61_1194
; %bb.1185:
	v_cmp_ne_u32_e32 vcc_lo, 1, v130
	s_cbranch_vccnz .LBB61_1187
; %bb.1186:
	scratch_load_b64 v[125:126], v129, off
	ds_load_b64 v[131:132], v128
	s_waitcnt vmcnt(0) lgkmcnt(0)
	v_mul_f64 v[125:126], v[125:126], v[131:132]
	s_cbranch_execz .LBB61_1188
	s_branch .LBB61_1189
.LBB61_1187:
                                        ; implicit-def: $vgpr125_vgpr126
.LBB61_1188:
	ds_load_b64 v[125:126], v128
.LBB61_1189:
	s_mov_b32 s1, exec_lo
	v_cmpx_ne_u32_e32 58, v0
	s_cbranch_execz .LBB61_1193
; %bb.1190:
	v_add_nc_u32_e32 v131, 0x1f8, v127
	v_add3_u32 v132, 0, v127, 8
	v_mov_b32_e32 v133, v0
	s_mov_b32 s2, 0
.LBB61_1191:                            ; =>This Inner Loop Header: Depth=1
	scratch_load_b64 v[134:135], v132, off
	ds_load_b64 v[136:137], v131
	v_add_nc_u32_e32 v133, 1, v133
	v_add_nc_u32_e32 v131, 8, v131
	v_add_nc_u32_e32 v132, 8, v132
	s_delay_alu instid0(VALU_DEP_3)
	v_cmp_lt_u32_e32 vcc_lo, 57, v133
	s_or_b32 s2, vcc_lo, s2
	s_waitcnt vmcnt(0) lgkmcnt(0)
	v_fma_f64 v[125:126], v[134:135], v[136:137], v[125:126]
	s_and_not1_b32 exec_lo, exec_lo, s2
	s_cbranch_execnz .LBB61_1191
; %bb.1192:
	s_or_b32 exec_lo, exec_lo, s2
.LBB61_1193:
	s_delay_alu instid0(SALU_CYCLE_1)
	s_or_b32 exec_lo, exec_lo, s1
	v_mov_b32_e32 v131, 0
	ds_load_b64 v[131:132], v131 offset:472
	s_waitcnt lgkmcnt(0)
	v_mul_f64 v[125:126], v[125:126], v[131:132]
	scratch_store_b64 off, v[125:126], off offset:472
.LBB61_1194:
	s_or_b32 exec_lo, exec_lo, s0
	scratch_load_b64 v[125:126], off, off offset:480
	v_cmp_gt_u32_e64 s0, 60, v0
	s_waitcnt vmcnt(0)
	ds_store_b64 v128, v[125:126]
	s_waitcnt lgkmcnt(0)
	s_waitcnt_vscnt null, 0x0
	s_barrier
	buffer_gl0_inv
	s_and_saveexec_b32 s1, s0
	s_cbranch_execz .LBB61_1204
; %bb.1195:
	v_cmp_ne_u32_e32 vcc_lo, 1, v130
	s_cbranch_vccnz .LBB61_1197
; %bb.1196:
	scratch_load_b64 v[125:126], v129, off
	ds_load_b64 v[131:132], v128
	s_waitcnt vmcnt(0) lgkmcnt(0)
	v_mul_f64 v[125:126], v[125:126], v[131:132]
	s_cbranch_execz .LBB61_1198
	s_branch .LBB61_1199
.LBB61_1197:
                                        ; implicit-def: $vgpr125_vgpr126
.LBB61_1198:
	ds_load_b64 v[125:126], v128
.LBB61_1199:
	s_mov_b32 s2, exec_lo
	v_cmpx_ne_u32_e32 59, v0
	s_cbranch_execz .LBB61_1203
; %bb.1200:
	v_add_nc_u32_e32 v131, 0x1f8, v127
	v_add3_u32 v132, 0, v127, 8
	v_mov_b32_e32 v133, v0
	s_mov_b32 s3, 0
.LBB61_1201:                            ; =>This Inner Loop Header: Depth=1
	scratch_load_b64 v[134:135], v132, off
	ds_load_b64 v[136:137], v131
	v_add_nc_u32_e32 v133, 1, v133
	v_add_nc_u32_e32 v131, 8, v131
	;; [unrolled: 1-line block ×3, first 2 shown]
	s_delay_alu instid0(VALU_DEP_3)
	v_cmp_lt_u32_e32 vcc_lo, 58, v133
	s_or_b32 s3, vcc_lo, s3
	s_waitcnt vmcnt(0) lgkmcnt(0)
	v_fma_f64 v[125:126], v[134:135], v[136:137], v[125:126]
	s_and_not1_b32 exec_lo, exec_lo, s3
	s_cbranch_execnz .LBB61_1201
; %bb.1202:
	s_or_b32 exec_lo, exec_lo, s3
.LBB61_1203:
	s_delay_alu instid0(SALU_CYCLE_1)
	s_or_b32 exec_lo, exec_lo, s2
	v_mov_b32_e32 v131, 0
	ds_load_b64 v[131:132], v131 offset:480
	s_waitcnt lgkmcnt(0)
	v_mul_f64 v[125:126], v[125:126], v[131:132]
	scratch_store_b64 off, v[125:126], off offset:480
.LBB61_1204:
	s_or_b32 exec_lo, exec_lo, s1
	scratch_load_b64 v[125:126], off, off offset:488
	s_mov_b32 s1, exec_lo
	s_waitcnt vmcnt(0)
	ds_store_b64 v128, v[125:126]
	s_waitcnt lgkmcnt(0)
	s_waitcnt_vscnt null, 0x0
	s_barrier
	buffer_gl0_inv
	v_cmpx_ne_u32_e32 61, v0
	s_cbranch_execz .LBB61_1214
; %bb.1205:
	v_cmp_ne_u32_e32 vcc_lo, 1, v130
	s_cbranch_vccnz .LBB61_1207
; %bb.1206:
	scratch_load_b64 v[125:126], v129, off
	ds_load_b64 v[129:130], v128
	s_waitcnt vmcnt(0) lgkmcnt(0)
	v_mul_f64 v[125:126], v[125:126], v[129:130]
	s_cbranch_execz .LBB61_1208
	s_branch .LBB61_1209
.LBB61_1207:
                                        ; implicit-def: $vgpr125_vgpr126
.LBB61_1208:
	ds_load_b64 v[125:126], v128
.LBB61_1209:
	s_and_saveexec_b32 s2, s0
	s_cbranch_execz .LBB61_1213
; %bb.1210:
	v_add_nc_u32_e32 v128, 0x1f8, v127
	v_add3_u32 v127, 0, v127, 8
	s_mov_b32 s0, 0
.LBB61_1211:                            ; =>This Inner Loop Header: Depth=1
	scratch_load_b64 v[129:130], v127, off
	ds_load_b64 v[131:132], v128
	v_add_nc_u32_e32 v0, 1, v0
	v_add_nc_u32_e32 v128, 8, v128
	;; [unrolled: 1-line block ×3, first 2 shown]
	s_delay_alu instid0(VALU_DEP_3)
	v_cmp_lt_u32_e32 vcc_lo, 59, v0
	s_or_b32 s0, vcc_lo, s0
	s_waitcnt vmcnt(0) lgkmcnt(0)
	v_fma_f64 v[125:126], v[129:130], v[131:132], v[125:126]
	s_and_not1_b32 exec_lo, exec_lo, s0
	s_cbranch_execnz .LBB61_1211
; %bb.1212:
	s_or_b32 exec_lo, exec_lo, s0
.LBB61_1213:
	s_delay_alu instid0(SALU_CYCLE_1)
	s_or_b32 exec_lo, exec_lo, s2
	v_mov_b32_e32 v0, 0
	ds_load_b64 v[127:128], v0 offset:488
	s_waitcnt lgkmcnt(0)
	v_mul_f64 v[125:126], v[125:126], v[127:128]
	scratch_store_b64 off, v[125:126], off offset:488
.LBB61_1214:
	s_or_b32 exec_lo, exec_lo, s1
.LBB61_1215:
	s_clause 0x9
	scratch_load_b128 v[125:128], off, off
	scratch_load_b128 v[129:132], off, off offset:16
	scratch_load_b128 v[133:136], off, off offset:32
	;; [unrolled: 1-line block ×9, first 2 shown]
	s_waitcnt vmcnt(9)
	s_clause 0x1
	global_store_b64 v[25:26], v[125:126], off
	global_store_b64 v[33:34], v[127:128], off
	s_clause 0x1
	scratch_load_b128 v[125:128], off, off offset:160
	scratch_load_b128 v[165:168], off, off offset:176
	s_waitcnt vmcnt(10)
	s_clause 0x1
	global_store_b64 v[15:16], v[129:130], off
	global_store_b64 v[27:28], v[131:132], off
	s_clause 0x1
	scratch_load_b128 v[25:28], off, off offset:192
	scratch_load_b128 v[129:132], off, off offset:208
	;; [unrolled: 7-line block ×10, first 2 shown]
	s_waitcnt vmcnt(19)
	s_clause 0x1
	global_store_b64 v[19:20], v[125:126], off
	global_store_b64 v[23:24], v[127:128], off
	scratch_load_b128 v[19:22], off, off offset:480
	s_waitcnt vmcnt(19)
	s_clause 0x1
	global_store_b64 v[37:38], v[165:166], off
	global_store_b64 v[45:46], v[167:168], off
	s_waitcnt vmcnt(18)
	s_clause 0x1
	global_store_b64 v[47:48], v[25:26], off
	global_store_b64 v[49:50], v[27:28], off
	;; [unrolled: 4-line block ×20, first 2 shown]
.LBB61_1216:
	s_endpgm
	.section	.rodata,"a",@progbits
	.p2align	6, 0x0
	.amdhsa_kernel _ZN9rocsolver6v33100L18trti2_kernel_smallILi62EdPdEEv13rocblas_fill_17rocblas_diagonal_T1_iil
		.amdhsa_group_segment_fixed_size 992
		.amdhsa_private_segment_fixed_size 512
		.amdhsa_kernarg_size 32
		.amdhsa_user_sgpr_count 15
		.amdhsa_user_sgpr_dispatch_ptr 0
		.amdhsa_user_sgpr_queue_ptr 0
		.amdhsa_user_sgpr_kernarg_segment_ptr 1
		.amdhsa_user_sgpr_dispatch_id 0
		.amdhsa_user_sgpr_private_segment_size 0
		.amdhsa_wavefront_size32 1
		.amdhsa_uses_dynamic_stack 0
		.amdhsa_enable_private_segment 1
		.amdhsa_system_sgpr_workgroup_id_x 1
		.amdhsa_system_sgpr_workgroup_id_y 0
		.amdhsa_system_sgpr_workgroup_id_z 0
		.amdhsa_system_sgpr_workgroup_info 0
		.amdhsa_system_vgpr_workitem_id 0
		.amdhsa_next_free_vgpr 178
		.amdhsa_next_free_sgpr 28
		.amdhsa_reserve_vcc 1
		.amdhsa_float_round_mode_32 0
		.amdhsa_float_round_mode_16_64 0
		.amdhsa_float_denorm_mode_32 3
		.amdhsa_float_denorm_mode_16_64 3
		.amdhsa_dx10_clamp 1
		.amdhsa_ieee_mode 1
		.amdhsa_fp16_overflow 0
		.amdhsa_workgroup_processor_mode 1
		.amdhsa_memory_ordered 1
		.amdhsa_forward_progress 0
		.amdhsa_shared_vgpr_count 0
		.amdhsa_exception_fp_ieee_invalid_op 0
		.amdhsa_exception_fp_denorm_src 0
		.amdhsa_exception_fp_ieee_div_zero 0
		.amdhsa_exception_fp_ieee_overflow 0
		.amdhsa_exception_fp_ieee_underflow 0
		.amdhsa_exception_fp_ieee_inexact 0
		.amdhsa_exception_int_div_zero 0
	.end_amdhsa_kernel
	.section	.text._ZN9rocsolver6v33100L18trti2_kernel_smallILi62EdPdEEv13rocblas_fill_17rocblas_diagonal_T1_iil,"axG",@progbits,_ZN9rocsolver6v33100L18trti2_kernel_smallILi62EdPdEEv13rocblas_fill_17rocblas_diagonal_T1_iil,comdat
.Lfunc_end61:
	.size	_ZN9rocsolver6v33100L18trti2_kernel_smallILi62EdPdEEv13rocblas_fill_17rocblas_diagonal_T1_iil, .Lfunc_end61-_ZN9rocsolver6v33100L18trti2_kernel_smallILi62EdPdEEv13rocblas_fill_17rocblas_diagonal_T1_iil
                                        ; -- End function
	.section	.AMDGPU.csdata,"",@progbits
; Kernel info:
; codeLenInByte = 34096
; NumSgprs: 30
; NumVgprs: 178
; ScratchSize: 512
; MemoryBound: 0
; FloatMode: 240
; IeeeMode: 1
; LDSByteSize: 992 bytes/workgroup (compile time only)
; SGPRBlocks: 3
; VGPRBlocks: 22
; NumSGPRsForWavesPerEU: 30
; NumVGPRsForWavesPerEU: 178
; Occupancy: 8
; WaveLimiterHint : 0
; COMPUTE_PGM_RSRC2:SCRATCH_EN: 1
; COMPUTE_PGM_RSRC2:USER_SGPR: 15
; COMPUTE_PGM_RSRC2:TRAP_HANDLER: 0
; COMPUTE_PGM_RSRC2:TGID_X_EN: 1
; COMPUTE_PGM_RSRC2:TGID_Y_EN: 0
; COMPUTE_PGM_RSRC2:TGID_Z_EN: 0
; COMPUTE_PGM_RSRC2:TIDIG_COMP_CNT: 0
	.section	.text._ZN9rocsolver6v33100L18trti2_kernel_smallILi63EdPdEEv13rocblas_fill_17rocblas_diagonal_T1_iil,"axG",@progbits,_ZN9rocsolver6v33100L18trti2_kernel_smallILi63EdPdEEv13rocblas_fill_17rocblas_diagonal_T1_iil,comdat
	.globl	_ZN9rocsolver6v33100L18trti2_kernel_smallILi63EdPdEEv13rocblas_fill_17rocblas_diagonal_T1_iil ; -- Begin function _ZN9rocsolver6v33100L18trti2_kernel_smallILi63EdPdEEv13rocblas_fill_17rocblas_diagonal_T1_iil
	.p2align	8
	.type	_ZN9rocsolver6v33100L18trti2_kernel_smallILi63EdPdEEv13rocblas_fill_17rocblas_diagonal_T1_iil,@function
_ZN9rocsolver6v33100L18trti2_kernel_smallILi63EdPdEEv13rocblas_fill_17rocblas_diagonal_T1_iil: ; @_ZN9rocsolver6v33100L18trti2_kernel_smallILi63EdPdEEv13rocblas_fill_17rocblas_diagonal_T1_iil
; %bb.0:
	s_mov_b32 s2, exec_lo
	v_cmpx_gt_u32_e32 63, v0
	s_cbranch_execz .LBB62_1236
; %bb.1:
	s_load_b256 s[0:7], s[0:1], 0x0
	s_ashr_i32 s8, s15, 31
	v_lshlrev_b32_e32 v129, 3, v0
	s_waitcnt lgkmcnt(0)
	v_add3_u32 v1, s5, s5, v0
	s_mul_i32 s7, s15, s7
	s_mul_hi_u32 s10, s15, s6
	s_ashr_i32 s9, s4, 31
	s_mul_i32 s11, s8, s6
	v_add_nc_u32_e32 v3, s5, v1
	s_mov_b32 s8, s4
	s_add_i32 s4, s10, s7
	s_mul_i32 s6, s15, s6
	s_add_i32 s7, s4, s11
	v_add_nc_u32_e32 v5, s5, v3
	s_lshl_b64 s[6:7], s[6:7], 3
	v_ashrrev_i32_e32 v2, 31, v1
	s_add_u32 s4, s2, s6
	s_addc_u32 s6, s3, s7
	v_add_nc_u32_e32 v7, s5, v5
	s_lshl_b64 s[2:3], s[8:9], 3
	s_mov_b32 s10, s5
	s_add_u32 s2, s4, s2
	s_addc_u32 s3, s6, s3
	v_add_co_u32 v45, s4, s2, v129
	v_add_nc_u32_e32 v9, s5, v7
	s_ashr_i32 s11, s5, 31
	v_ashrrev_i32_e32 v4, 31, v3
	v_lshlrev_b64 v[1:2], 3, v[1:2]
	v_add_co_ci_u32_e64 v46, null, s3, 0, s4
	s_lshl_b64 s[6:7], s[10:11], 3
	v_add_nc_u32_e32 v11, s5, v9
	v_add_co_u32 v33, vcc_lo, v45, s6
	v_ashrrev_i32_e32 v6, 31, v5
	v_add_co_ci_u32_e32 v34, vcc_lo, s7, v46, vcc_lo
	v_lshlrev_b64 v[3:4], 3, v[3:4]
	v_add_co_u32 v27, vcc_lo, s2, v1
	v_add_nc_u32_e32 v13, s5, v11
	v_add_co_ci_u32_e32 v28, vcc_lo, s3, v2, vcc_lo
	v_lshlrev_b64 v[1:2], 3, v[5:6]
	v_ashrrev_i32_e32 v8, 31, v7
	v_add_co_u32 v29, vcc_lo, s2, v3
	v_ashrrev_i32_e32 v10, 31, v9
	v_add_nc_u32_e32 v5, s5, v13
	v_add_co_ci_u32_e32 v30, vcc_lo, s3, v4, vcc_lo
	v_lshlrev_b64 v[3:4], 3, v[7:8]
	v_add_co_u32 v23, vcc_lo, s2, v1
	v_add_co_ci_u32_e32 v24, vcc_lo, s3, v2, vcc_lo
	v_lshlrev_b64 v[1:2], 3, v[9:10]
	v_ashrrev_i32_e32 v12, 31, v11
	v_add_nc_u32_e32 v7, s5, v5
	v_add_co_u32 v15, vcc_lo, s2, v3
	v_ashrrev_i32_e32 v14, 31, v13
	v_add_co_ci_u32_e32 v16, vcc_lo, s3, v4, vcc_lo
	v_lshlrev_b64 v[10:11], 3, v[11:12]
	v_add_co_u32 v21, vcc_lo, s2, v1
	s_clause 0x1
	global_load_b64 v[35:36], v129, s[2:3]
	global_load_b64 v[37:38], v[33:34], off
	v_add_nc_u32_e32 v9, s5, v7
	v_add_co_ci_u32_e32 v22, vcc_lo, s3, v2, vcc_lo
	v_lshlrev_b64 v[1:2], 3, v[13:14]
	v_ashrrev_i32_e32 v6, 31, v5
	v_add_co_u32 v17, vcc_lo, s2, v10
	v_ashrrev_i32_e32 v8, 31, v7
	v_add_nc_u32_e32 v3, s5, v9
	v_add_co_ci_u32_e32 v18, vcc_lo, s3, v11, vcc_lo
	v_lshlrev_b64 v[4:5], 3, v[5:6]
	v_add_co_u32 v11, vcc_lo, s2, v1
	v_add_co_ci_u32_e32 v12, vcc_lo, s3, v2, vcc_lo
	v_lshlrev_b64 v[1:2], 3, v[7:8]
	v_ashrrev_i32_e32 v10, 31, v9
	v_add_nc_u32_e32 v19, s5, v3
	v_add_co_u32 v7, vcc_lo, s2, v4
	v_ashrrev_i32_e32 v4, 31, v3
	s_clause 0x2
	global_load_b64 v[55:56], v[27:28], off
	global_load_b64 v[57:58], v[29:30], off
	;; [unrolled: 1-line block ×3, first 2 shown]
	v_add_co_ci_u32_e32 v8, vcc_lo, s3, v5, vcc_lo
	v_lshlrev_b64 v[5:6], 3, v[9:10]
	global_load_b64 v[61:62], v[15:16], off
	v_add_co_u32 v13, vcc_lo, s2, v1
	v_ashrrev_i32_e32 v20, 31, v19
	v_add_co_ci_u32_e32 v14, vcc_lo, s3, v2, vcc_lo
	v_lshlrev_b64 v[1:2], 3, v[3:4]
	v_add_co_u32 v9, vcc_lo, s2, v5
	s_delay_alu instid0(VALU_DEP_4) | instskip(SKIP_1) | instid1(VALU_DEP_4)
	v_lshlrev_b64 v[3:4], 3, v[19:20]
	v_add_co_ci_u32_e32 v10, vcc_lo, s3, v6, vcc_lo
	v_add_co_u32 v5, vcc_lo, s2, v1
	v_add_co_ci_u32_e32 v6, vcc_lo, s3, v2, vcc_lo
	s_delay_alu instid0(VALU_DEP_4)
	v_add_co_u32 v3, vcc_lo, s2, v3
	v_add_co_ci_u32_e32 v4, vcc_lo, s3, v4, vcc_lo
	s_clause 0x7
	global_load_b64 v[63:64], v[21:22], off
	global_load_b64 v[65:66], v[17:18], off
	;; [unrolled: 1-line block ×8, first 2 shown]
	v_add_nc_u32_e32 v25, s5, v19
	s_cmpk_lg_i32 s1, 0x84
	s_delay_alu instid0(VALU_DEP_1) | instskip(SKIP_1) | instid1(VALU_DEP_2)
	v_add_nc_u32_e32 v31, s5, v25
	v_ashrrev_i32_e32 v26, 31, v25
	v_add_nc_u32_e32 v39, s5, v31
	v_ashrrev_i32_e32 v32, 31, v31
	s_delay_alu instid0(VALU_DEP_3) | instskip(NEXT) | instid1(VALU_DEP_3)
	v_lshlrev_b64 v[1:2], 3, v[25:26]
	v_add_nc_u32_e32 v41, s5, v39
	s_delay_alu instid0(VALU_DEP_3) | instskip(SKIP_1) | instid1(VALU_DEP_4)
	v_lshlrev_b64 v[25:26], 3, v[31:32]
	v_ashrrev_i32_e32 v40, 31, v39
	v_add_co_u32 v53, vcc_lo, s2, v1
	s_delay_alu instid0(VALU_DEP_4) | instskip(SKIP_1) | instid1(VALU_DEP_4)
	v_add_nc_u32_e32 v43, s5, v41
	v_add_co_ci_u32_e32 v54, vcc_lo, s3, v2, vcc_lo
	v_lshlrev_b64 v[1:2], 3, v[39:40]
	v_ashrrev_i32_e32 v42, 31, v41
	s_delay_alu instid0(VALU_DEP_4) | instskip(SKIP_2) | instid1(VALU_DEP_3)
	v_add_nc_u32_e32 v49, s5, v43
	v_add_co_u32 v51, vcc_lo, s2, v25
	v_add_co_ci_u32_e32 v52, vcc_lo, s3, v26, vcc_lo
	v_add_nc_u32_e32 v19, s5, v49
	v_lshlrev_b64 v[25:26], 3, v[41:42]
	v_ashrrev_i32_e32 v44, 31, v43
	v_add_co_u32 v47, vcc_lo, s2, v1
	s_delay_alu instid0(VALU_DEP_4) | instskip(SKIP_3) | instid1(VALU_DEP_4)
	v_add_nc_u32_e32 v87, s5, v19
	v_add_co_ci_u32_e32 v48, vcc_lo, s3, v2, vcc_lo
	v_ashrrev_i32_e32 v50, 31, v49
	v_lshlrev_b64 v[41:42], 3, v[43:44]
	v_add_nc_u32_e32 v89, s5, v87
	v_ashrrev_i32_e32 v20, 31, v19
	v_ashrrev_i32_e32 v88, 31, v87
	s_delay_alu instid0(VALU_DEP_3) | instskip(NEXT) | instid1(VALU_DEP_3)
	v_add_nc_u32_e32 v95, s5, v89
	v_lshlrev_b64 v[19:20], 3, v[19:20]
	v_ashrrev_i32_e32 v90, 31, v89
	s_delay_alu instid0(VALU_DEP_3) | instskip(SKIP_1) | instid1(VALU_DEP_2)
	v_add_nc_u32_e32 v97, s5, v95
	v_ashrrev_i32_e32 v96, 31, v95
	v_add_nc_u32_e32 v99, s5, v97
	v_ashrrev_i32_e32 v98, 31, v97
	s_delay_alu instid0(VALU_DEP_2) | instskip(SKIP_1) | instid1(VALU_DEP_2)
	v_add_nc_u32_e32 v103, s5, v99
	v_ashrrev_i32_e32 v100, 31, v99
	v_add_nc_u32_e32 v105, s5, v103
	v_ashrrev_i32_e32 v104, 31, v103
	s_delay_alu instid0(VALU_DEP_3) | instskip(NEXT) | instid1(VALU_DEP_3)
	v_lshlrev_b64 v[43:44], 3, v[99:100]
	v_add_nc_u32_e32 v107, s5, v105
	v_ashrrev_i32_e32 v106, 31, v105
	s_delay_alu instid0(VALU_DEP_2) | instskip(SKIP_1) | instid1(VALU_DEP_2)
	v_add_nc_u32_e32 v109, s5, v107
	v_ashrrev_i32_e32 v108, 31, v107
	v_add_nc_u32_e32 v111, s5, v109
	v_ashrrev_i32_e32 v110, 31, v109
	s_delay_alu instid0(VALU_DEP_2) | instskip(SKIP_1) | instid1(VALU_DEP_2)
	v_add_nc_u32_e32 v113, s5, v111
	v_ashrrev_i32_e32 v112, 31, v111
	;; [unrolled: 5-line block ×6, first 2 shown]
	v_add_nc_u32_e32 v132, s5, v130
	s_delay_alu instid0(VALU_DEP_1) | instskip(SKIP_1) | instid1(VALU_DEP_2)
	v_add_nc_u32_e32 v134, s5, v132
	v_ashrrev_i32_e32 v133, 31, v132
	v_add_nc_u32_e32 v138, s5, v134
	v_ashrrev_i32_e32 v135, 31, v134
	s_delay_alu instid0(VALU_DEP_2) | instskip(SKIP_1) | instid1(VALU_DEP_2)
	v_add_nc_u32_e32 v140, s5, v138
	v_ashrrev_i32_e32 v139, 31, v138
	v_add_nc_u32_e32 v142, s5, v140
	v_ashrrev_i32_e32 v141, 31, v140
	s_delay_alu instid0(VALU_DEP_2) | instskip(SKIP_1) | instid1(VALU_DEP_2)
	;; [unrolled: 5-line block ×10, first 2 shown]
	v_add_nc_u32_e32 v176, s5, v174
	v_ashrrev_i32_e32 v175, 31, v174
	v_add_nc_u32_e32 v31, s5, v176
	v_ashrrev_i32_e32 v177, 31, v176
	s_delay_alu instid0(VALU_DEP_2) | instskip(NEXT) | instid1(VALU_DEP_1)
	v_ashrrev_i32_e32 v32, 31, v31
	v_lshlrev_b64 v[31:32], 3, v[31:32]
	s_delay_alu instid0(VALU_DEP_1) | instskip(NEXT) | instid1(VALU_DEP_2)
	v_add_co_u32 v1, vcc_lo, s2, v31
	v_add_co_ci_u32_e32 v2, vcc_lo, s3, v32, vcc_lo
	v_add_co_u32 v39, vcc_lo, s2, v25
	v_add_co_ci_u32_e32 v40, vcc_lo, s3, v26, vcc_lo
	v_lshlrev_b64 v[25:26], 3, v[49:50]
	v_add_co_u32 v49, vcc_lo, s2, v41
	v_add_co_ci_u32_e32 v50, vcc_lo, s3, v42, vcc_lo
	s_waitcnt vmcnt(12)
	scratch_store_b128 off, v[35:38], off
	v_add_co_u32 v41, vcc_lo, s2, v25
	v_add_co_ci_u32_e32 v42, vcc_lo, s3, v26, vcc_lo
	v_lshlrev_b64 v[25:26], 3, v[87:88]
	v_add_co_u32 v35, vcc_lo, s2, v19
	s_clause 0x4
	global_load_b64 v[178:179], v[1:2], off
	global_load_b64 v[79:80], v[53:54], off
	;; [unrolled: 1-line block ×5, first 2 shown]
	v_add_co_ci_u32_e32 v36, vcc_lo, s3, v20, vcc_lo
	v_lshlrev_b64 v[19:20], 3, v[89:90]
	v_add_co_u32 v25, vcc_lo, s2, v25
	v_lshlrev_b64 v[31:32], 3, v[95:96]
	v_add_co_ci_u32_e32 v26, vcc_lo, s3, v26, vcc_lo
	s_delay_alu instid0(VALU_DEP_4)
	v_add_co_u32 v19, vcc_lo, s2, v19
	v_lshlrev_b64 v[37:38], 3, v[97:98]
	v_add_co_ci_u32_e32 v20, vcc_lo, s3, v20, vcc_lo
	v_add_co_u32 v31, vcc_lo, s2, v31
	v_add_co_ci_u32_e32 v32, vcc_lo, s3, v32, vcc_lo
	s_waitcnt vmcnt(15)
	scratch_store_b128 off, v[55:58], off offset:16
	s_waitcnt vmcnt(13)
	scratch_store_b128 off, v[59:62], off offset:32
	v_add_co_u32 v37, vcc_lo, s2, v37
	v_lshlrev_b64 v[55:56], 3, v[103:104]
	s_clause 0x3
	global_load_b64 v[87:88], v[49:50], off
	global_load_b64 v[89:90], v[41:42], off
	;; [unrolled: 1-line block ×4, first 2 shown]
	v_add_co_ci_u32_e32 v38, vcc_lo, s3, v38, vcc_lo
	v_add_co_u32 v43, vcc_lo, s2, v43
	v_lshlrev_b64 v[57:58], 3, v[105:106]
	v_add_co_ci_u32_e32 v44, vcc_lo, s3, v44, vcc_lo
	v_add_co_u32 v55, vcc_lo, s2, v55
	v_lshlrev_b64 v[59:60], 3, v[107:108]
	;; [unrolled: 3-line block ×3, first 2 shown]
	v_add_co_ci_u32_e32 v58, vcc_lo, s3, v58, vcc_lo
	v_add_co_u32 v59, vcc_lo, s2, v59
	v_add_co_ci_u32_e32 v60, vcc_lo, s3, v60, vcc_lo
	s_delay_alu instid0(VALU_DEP_4)
	v_add_co_u32 v61, vcc_lo, s2, v61
	s_waitcnt vmcnt(15)
	scratch_store_b128 off, v[63:66], off offset:48
	s_waitcnt vmcnt(13)
	scratch_store_b128 off, v[67:70], off offset:64
	v_add_co_ci_u32_e32 v62, vcc_lo, s3, v62, vcc_lo
	s_clause 0x3
	global_load_b64 v[95:96], v[19:20], off
	global_load_b64 v[97:98], v[31:32], off
	;; [unrolled: 1-line block ×4, first 2 shown]
	s_waitcnt vmcnt(15)
	scratch_store_b128 off, v[71:74], off offset:80
	s_waitcnt vmcnt(13)
	scratch_store_b128 off, v[75:78], off offset:96
	s_clause 0x3
	global_load_b64 v[103:104], v[55:56], off
	global_load_b64 v[105:106], v[57:58], off
	;; [unrolled: 1-line block ×4, first 2 shown]
	v_lshlrev_b64 v[63:64], 3, v[111:112]
	v_lshlrev_b64 v[65:66], 3, v[113:114]
	;; [unrolled: 1-line block ×6, first 2 shown]
	v_add_co_u32 v63, vcc_lo, s2, v63
	v_add_co_ci_u32_e32 v64, vcc_lo, s3, v64, vcc_lo
	v_add_co_u32 v65, vcc_lo, s2, v65
	v_add_co_ci_u32_e32 v66, vcc_lo, s3, v66, vcc_lo
	;; [unrolled: 2-line block ×4, first 2 shown]
	v_add_co_u32 v71, vcc_lo, s2, v71
	v_lshlrev_b64 v[75:76], 3, v[123:124]
	v_add_co_ci_u32_e32 v72, vcc_lo, s3, v72, vcc_lo
	v_add_co_u32 v73, vcc_lo, s2, v73
	v_lshlrev_b64 v[77:78], 3, v[125:126]
	v_add_co_ci_u32_e32 v74, vcc_lo, s3, v74, vcc_lo
	v_add_co_u32 v75, vcc_lo, s2, v75
	v_add_co_ci_u32_e32 v76, vcc_lo, s3, v76, vcc_lo
	s_delay_alu instid0(VALU_DEP_4)
	v_add_co_u32 v77, vcc_lo, s2, v77
	v_add_co_ci_u32_e32 v78, vcc_lo, s3, v78, vcc_lo
	s_waitcnt vmcnt(14)
	scratch_store_b128 off, v[79:82], off offset:112
	s_waitcnt vmcnt(12)
	scratch_store_b128 off, v[83:86], off offset:128
	v_lshlrev_b64 v[79:80], 3, v[127:128]
	v_mov_b32_e32 v127, 0
	v_ashrrev_i32_e32 v131, 31, v130
	s_clause 0x3
	global_load_b64 v[111:112], v[63:64], off
	global_load_b64 v[113:114], v[65:66], off
	;; [unrolled: 1-line block ×4, first 2 shown]
	v_lshlrev_b64 v[83:84], 3, v[132:133]
	v_add_co_u32 v79, vcc_lo, s2, v79
	v_lshlrev_b64 v[81:82], 3, v[130:131]
	v_add_co_ci_u32_e32 v80, vcc_lo, s3, v80, vcc_lo
	v_lshlrev_b64 v[85:86], 3, v[134:135]
	s_waitcnt vmcnt(14)
	scratch_store_b128 off, v[87:90], off offset:144
	s_waitcnt vmcnt(12)
	scratch_store_b128 off, v[91:94], off offset:160
	v_add_co_u32 v81, vcc_lo, s2, v81
	v_add_co_ci_u32_e32 v82, vcc_lo, s3, v82, vcc_lo
	v_add_co_u32 v83, vcc_lo, s2, v83
	v_lshlrev_b64 v[87:88], 3, v[138:139]
	s_clause 0x3
	global_load_b64 v[119:120], v[71:72], off
	global_load_b64 v[121:122], v[73:74], off
	;; [unrolled: 1-line block ×4, first 2 shown]
	v_add_co_ci_u32_e32 v84, vcc_lo, s3, v84, vcc_lo
	v_add_co_u32 v85, vcc_lo, s2, v85
	v_lshlrev_b64 v[89:90], 3, v[140:141]
	v_add_co_ci_u32_e32 v86, vcc_lo, s3, v86, vcc_lo
	v_add_co_u32 v87, vcc_lo, s2, v87
	v_lshlrev_b64 v[91:92], 3, v[142:143]
	v_add_co_ci_u32_e32 v88, vcc_lo, s3, v88, vcc_lo
	v_add_co_u32 v89, vcc_lo, s2, v89
	v_lshlrev_b64 v[93:94], 3, v[144:145]
	v_add_co_ci_u32_e32 v90, vcc_lo, s3, v90, vcc_lo
	v_add_co_u32 v91, vcc_lo, s2, v91
	v_add_co_ci_u32_e32 v92, vcc_lo, s3, v92, vcc_lo
	s_delay_alu instid0(VALU_DEP_4)
	v_add_co_u32 v93, vcc_lo, s2, v93
	s_waitcnt vmcnt(14)
	scratch_store_b128 off, v[95:98], off offset:176
	s_waitcnt vmcnt(12)
	scratch_store_b128 off, v[99:102], off offset:192
	v_add_co_ci_u32_e32 v94, vcc_lo, s3, v94, vcc_lo
	s_clause 0x3
	global_load_b64 v[130:131], v[79:80], off
	global_load_b64 v[132:133], v[81:82], off
	;; [unrolled: 1-line block ×4, first 2 shown]
	s_waitcnt vmcnt(14)
	scratch_store_b128 off, v[103:106], off offset:208
	s_waitcnt vmcnt(12)
	scratch_store_b128 off, v[107:110], off offset:224
	s_clause 0x3
	global_load_b64 v[138:139], v[87:88], off
	global_load_b64 v[140:141], v[89:90], off
	;; [unrolled: 1-line block ×4, first 2 shown]
	v_lshlrev_b64 v[95:96], 3, v[146:147]
	v_lshlrev_b64 v[97:98], 3, v[148:149]
	;; [unrolled: 1-line block ×6, first 2 shown]
	v_add_co_u32 v95, vcc_lo, s2, v95
	v_add_co_ci_u32_e32 v96, vcc_lo, s3, v96, vcc_lo
	v_add_co_u32 v97, vcc_lo, s2, v97
	v_add_co_ci_u32_e32 v98, vcc_lo, s3, v98, vcc_lo
	;; [unrolled: 2-line block ×4, first 2 shown]
	v_add_co_u32 v103, vcc_lo, s2, v103
	v_lshlrev_b64 v[107:108], 3, v[158:159]
	v_add_co_ci_u32_e32 v104, vcc_lo, s3, v104, vcc_lo
	v_add_co_u32 v105, vcc_lo, s2, v105
	v_lshlrev_b64 v[109:110], 3, v[160:161]
	v_add_co_ci_u32_e32 v106, vcc_lo, s3, v106, vcc_lo
	v_add_co_u32 v107, vcc_lo, s2, v107
	v_add_co_ci_u32_e32 v108, vcc_lo, s3, v108, vcc_lo
	s_delay_alu instid0(VALU_DEP_4)
	v_add_co_u32 v109, vcc_lo, s2, v109
	v_add_co_ci_u32_e32 v110, vcc_lo, s3, v110, vcc_lo
	v_mov_b32_e32 v128, 0xbff00000
	s_waitcnt vmcnt(14)
	scratch_store_b128 off, v[111:114], off offset:240
	s_waitcnt vmcnt(12)
	scratch_store_b128 off, v[115:118], off offset:256
	v_lshlrev_b64 v[111:112], 3, v[162:163]
	v_lshlrev_b64 v[113:114], 3, v[164:165]
	;; [unrolled: 1-line block ×4, first 2 shown]
	s_clause 0x2
	global_load_b64 v[146:147], v[95:96], off
	global_load_b64 v[148:149], v[97:98], off
	;; [unrolled: 1-line block ×3, first 2 shown]
	s_waitcnt vmcnt(13)
	scratch_store_b128 off, v[119:122], off offset:272
	s_waitcnt vmcnt(11)
	scratch_store_b128 off, v[123:126], off offset:288
	v_add_co_u32 v111, vcc_lo, s2, v111
	v_add_co_ci_u32_e32 v112, vcc_lo, s3, v112, vcc_lo
	v_add_co_u32 v113, vcc_lo, s2, v113
	v_add_co_ci_u32_e32 v114, vcc_lo, s3, v114, vcc_lo
	v_add_co_u32 v115, vcc_lo, s2, v115
	v_lshlrev_b64 v[119:120], 3, v[170:171]
	v_add_co_ci_u32_e32 v116, vcc_lo, s3, v116, vcc_lo
	v_add_co_u32 v117, vcc_lo, s2, v117
	v_lshlrev_b64 v[121:122], 3, v[172:173]
	;; [unrolled: 3-line block ×4, first 2 shown]
	v_add_co_ci_u32_e32 v122, vcc_lo, s3, v122, vcc_lo
	v_add_co_u32 v123, vcc_lo, s2, v123
	v_add_co_ci_u32_e32 v124, vcc_lo, s3, v124, vcc_lo
	s_delay_alu instid0(VALU_DEP_4)
	v_add_co_u32 v125, vcc_lo, s2, v125
	s_clause 0x3
	global_load_b64 v[152:153], v[101:102], off
	global_load_b64 v[154:155], v[103:104], off
	;; [unrolled: 1-line block ×4, first 2 shown]
	s_waitcnt vmcnt(13)
	scratch_store_b128 off, v[130:133], off offset:304
	s_waitcnt vmcnt(11)
	scratch_store_b128 off, v[134:137], off offset:320
	s_clause 0x3
	global_load_b64 v[160:161], v[109:110], off
	global_load_b64 v[130:131], v[111:112], off
	global_load_b64 v[132:133], v[113:114], off
	global_load_b64 v[134:135], v[115:116], off
	v_add_co_ci_u32_e32 v126, vcc_lo, s3, v126, vcc_lo
	s_waitcnt vmcnt(13)
	scratch_store_b128 off, v[138:141], off offset:336
	s_waitcnt vmcnt(11)
	scratch_store_b128 off, v[142:145], off offset:352
	s_clause 0x4
	global_load_b64 v[136:137], v[117:118], off
	global_load_b64 v[138:139], v[119:120], off
	;; [unrolled: 1-line block ×5, first 2 shown]
	s_cselect_b32 s3, -1, 0
	s_cmpk_eq_i32 s1, 0x84
	s_waitcnt vmcnt(14)
	scratch_store_b128 off, v[146:149], off offset:368
	s_waitcnt vmcnt(12)
	scratch_store_b128 off, v[150:153], off offset:384
	;; [unrolled: 2-line block ×7, first 2 shown]
	s_waitcnt vmcnt(0)
	s_clause 0x1
	scratch_store_b128 off, v[142:145], off offset:480
	scratch_store_b64 off, v[178:179], off offset:496
	s_cbranch_scc1 .LBB62_3
; %bb.2:
	scratch_load_b64 v[127:128], v129, off
	s_waitcnt vmcnt(0)
	v_div_scale_f64 v[130:131], null, v[127:128], v[127:128], 1.0
	v_div_scale_f64 v[136:137], vcc_lo, 1.0, v[127:128], 1.0
	s_delay_alu instid0(VALU_DEP_2) | instskip(SKIP_2) | instid1(VALU_DEP_1)
	v_rcp_f64_e32 v[132:133], v[130:131]
	s_waitcnt_depctr 0xfff
	v_fma_f64 v[134:135], -v[130:131], v[132:133], 1.0
	v_fma_f64 v[132:133], v[132:133], v[134:135], v[132:133]
	s_delay_alu instid0(VALU_DEP_1) | instskip(NEXT) | instid1(VALU_DEP_1)
	v_fma_f64 v[134:135], -v[130:131], v[132:133], 1.0
	v_fma_f64 v[132:133], v[132:133], v[134:135], v[132:133]
	s_delay_alu instid0(VALU_DEP_1) | instskip(NEXT) | instid1(VALU_DEP_1)
	v_mul_f64 v[134:135], v[136:137], v[132:133]
	v_fma_f64 v[130:131], -v[130:131], v[134:135], v[136:137]
	s_delay_alu instid0(VALU_DEP_1) | instskip(NEXT) | instid1(VALU_DEP_1)
	v_div_fmas_f64 v[130:131], v[130:131], v[132:133], v[134:135]
	v_div_fixup_f64 v[127:128], v[130:131], v[127:128], 1.0
	scratch_store_b64 v129, v[127:128], off
	v_xor_b32_e32 v128, 0x80000000, v128
.LBB62_3:
	v_or_b32_e32 v130, 0x200, v129
	v_add_nc_u32_e32 v131, 0, v129
	s_cmpk_eq_i32 s0, 0x79
	s_mov_b32 s0, -1
	ds_store_b64 v129, v[127:128]
	s_cbranch_scc1 .LBB62_619
; %bb.4:
	scratch_load_b64 v[127:128], off, off offset:488
	v_cmp_eq_u32_e64 s0, 62, v0
	s_movk_i32 s1, 0x50
	s_movk_i32 s2, 0x60
	;; [unrolled: 1-line block ×26, first 2 shown]
	s_waitcnt vmcnt(0)
	ds_store_b64 v130, v[127:128]
	s_waitcnt lgkmcnt(0)
	s_waitcnt_vscnt null, 0x0
	s_barrier
	buffer_gl0_inv
	s_and_saveexec_b32 s28, s0
	s_cbranch_execz .LBB62_10
; %bb.5:
	s_and_b32 vcc_lo, exec_lo, s3
	s_cbranch_vccz .LBB62_7
; %bb.6:
	scratch_load_b64 v[127:128], v131, off
	ds_load_b64 v[132:133], v130
	s_waitcnt vmcnt(0) lgkmcnt(0)
	v_mul_f64 v[127:128], v[127:128], v[132:133]
	s_cbranch_execz .LBB62_8
	s_branch .LBB62_9
.LBB62_7:
                                        ; implicit-def: $vgpr127_vgpr128
.LBB62_8:
	ds_load_b64 v[127:128], v130
.LBB62_9:
	v_mov_b32_e32 v132, 0
	ds_load_b64 v[132:133], v132 offset:488
	s_waitcnt lgkmcnt(0)
	v_mul_f64 v[127:128], v[127:128], v[132:133]
	scratch_store_b64 off, v[127:128], off offset:488
.LBB62_10:
	s_or_b32 exec_lo, exec_lo, s28
	scratch_load_b64 v[127:128], off, off offset:480
	v_add_nc_u32_e64 v132, 0, 16
	v_add_nc_u32_e64 v133, 0, 32
	;; [unrolled: 1-line block ×30, first 2 shown]
	v_cmp_lt_u32_e64 s2, 60, v0
	s_waitcnt vmcnt(0)
	ds_store_b64 v130, v[127:128]
	s_waitcnt lgkmcnt(0)
	s_waitcnt_vscnt null, 0x0
	s_barrier
	buffer_gl0_inv
	s_and_saveexec_b32 s1, s2
	s_cbranch_execz .LBB62_18
; %bb.11:
	s_and_not1_b32 vcc_lo, exec_lo, s3
	s_cbranch_vccnz .LBB62_13
; %bb.12:
	scratch_load_b64 v[127:128], v131, off
	ds_load_b64 v[162:163], v130
	s_waitcnt vmcnt(0) lgkmcnt(0)
	v_mul_f64 v[127:128], v[127:128], v[162:163]
	s_cbranch_execz .LBB62_14
	s_branch .LBB62_15
.LBB62_13:
                                        ; implicit-def: $vgpr127_vgpr128
.LBB62_14:
	ds_load_b64 v[127:128], v130
.LBB62_15:
	s_and_saveexec_b32 s4, s0
	s_cbranch_execz .LBB62_17
; %bb.16:
	scratch_load_b64 v[162:163], off, off offset:488
	v_mov_b32_e32 v164, 0
	ds_load_b64 v[164:165], v164 offset:1000
	s_waitcnt vmcnt(0) lgkmcnt(0)
	v_fma_f64 v[127:128], v[162:163], v[164:165], v[127:128]
.LBB62_17:
	s_or_b32 exec_lo, exec_lo, s4
	v_mov_b32_e32 v162, 0
	ds_load_b64 v[162:163], v162 offset:480
	s_waitcnt lgkmcnt(0)
	v_mul_f64 v[127:128], v[127:128], v[162:163]
	scratch_store_b64 off, v[127:128], off offset:480
.LBB62_18:
	s_or_b32 exec_lo, exec_lo, s1
	scratch_load_b64 v[127:128], off, off offset:472
	v_cmp_lt_u32_e64 s1, 59, v0
	s_waitcnt vmcnt(0)
	ds_store_b64 v130, v[127:128]
	s_waitcnt lgkmcnt(0)
	s_waitcnt_vscnt null, 0x0
	s_barrier
	buffer_gl0_inv
	s_and_saveexec_b32 s0, s1
	s_cbranch_execz .LBB62_28
; %bb.19:
	s_and_not1_b32 vcc_lo, exec_lo, s3
	s_cbranch_vccnz .LBB62_21
; %bb.20:
	scratch_load_b64 v[127:128], v131, off
	ds_load_b64 v[162:163], v130
	s_waitcnt vmcnt(0) lgkmcnt(0)
	v_mul_f64 v[127:128], v[127:128], v[162:163]
	s_cbranch_execz .LBB62_22
	s_branch .LBB62_23
.LBB62_21:
                                        ; implicit-def: $vgpr127_vgpr128
.LBB62_22:
	ds_load_b64 v[127:128], v130
.LBB62_23:
	s_and_saveexec_b32 s4, s2
	s_cbranch_execz .LBB62_27
; %bb.24:
	v_subrev_nc_u32_e32 v162, 60, v0
	s_movk_i32 s5, 0x3e0
	s_mov_b32 s2, 0
.LBB62_25:                              ; =>This Inner Loop Header: Depth=1
	scratch_load_b64 v[163:164], v161, off
	v_dual_mov_b32 v165, s5 :: v_dual_add_nc_u32 v162, -1, v162
	v_add_nc_u32_e32 v161, 8, v161
	s_add_i32 s5, s5, 8
	ds_load_b64 v[165:166], v165
	v_cmp_eq_u32_e32 vcc_lo, 0, v162
	s_or_b32 s2, vcc_lo, s2
	s_waitcnt vmcnt(0) lgkmcnt(0)
	v_fma_f64 v[127:128], v[163:164], v[165:166], v[127:128]
	s_and_not1_b32 exec_lo, exec_lo, s2
	s_cbranch_execnz .LBB62_25
; %bb.26:
	s_or_b32 exec_lo, exec_lo, s2
.LBB62_27:
	s_delay_alu instid0(SALU_CYCLE_1)
	s_or_b32 exec_lo, exec_lo, s4
	v_mov_b32_e32 v161, 0
	ds_load_b64 v[161:162], v161 offset:472
	s_waitcnt lgkmcnt(0)
	v_mul_f64 v[127:128], v[127:128], v[161:162]
	scratch_store_b64 off, v[127:128], off offset:472
.LBB62_28:
	s_or_b32 exec_lo, exec_lo, s0
	scratch_load_b64 v[127:128], off, off offset:464
	v_cmp_lt_u32_e64 s0, 58, v0
	s_waitcnt vmcnt(0)
	ds_store_b64 v130, v[127:128]
	s_waitcnt lgkmcnt(0)
	s_waitcnt_vscnt null, 0x0
	s_barrier
	buffer_gl0_inv
	s_and_saveexec_b32 s2, s0
	s_cbranch_execz .LBB62_38
; %bb.29:
	s_and_not1_b32 vcc_lo, exec_lo, s3
	s_cbranch_vccnz .LBB62_31
; %bb.30:
	scratch_load_b64 v[127:128], v131, off
	ds_load_b64 v[161:162], v130
	s_waitcnt vmcnt(0) lgkmcnt(0)
	v_mul_f64 v[127:128], v[127:128], v[161:162]
	s_cbranch_execz .LBB62_32
	s_branch .LBB62_33
.LBB62_31:
                                        ; implicit-def: $vgpr127_vgpr128
.LBB62_32:
	ds_load_b64 v[127:128], v130
.LBB62_33:
	s_and_saveexec_b32 s4, s1
	s_cbranch_execz .LBB62_37
; %bb.34:
	v_mov_b32_e32 v161, 0
	v_subrev_nc_u32_e32 v162, 59, v0
	s_movk_i32 s5, 0x3d8
	s_mov_b32 s1, 0
	s_delay_alu instid0(VALU_DEP_2)
	v_add_nc_u32_e32 v161, 0x1d8, v161
.LBB62_35:                              ; =>This Inner Loop Header: Depth=1
	scratch_load_b64 v[163:164], v161, off
	v_dual_mov_b32 v165, s5 :: v_dual_add_nc_u32 v162, -1, v162
	v_add_nc_u32_e32 v161, 8, v161
	s_add_i32 s5, s5, 8
	ds_load_b64 v[165:166], v165
	v_cmp_eq_u32_e32 vcc_lo, 0, v162
	s_or_b32 s1, vcc_lo, s1
	s_waitcnt vmcnt(0) lgkmcnt(0)
	v_fma_f64 v[127:128], v[163:164], v[165:166], v[127:128]
	s_and_not1_b32 exec_lo, exec_lo, s1
	s_cbranch_execnz .LBB62_35
; %bb.36:
	s_or_b32 exec_lo, exec_lo, s1
.LBB62_37:
	s_delay_alu instid0(SALU_CYCLE_1)
	s_or_b32 exec_lo, exec_lo, s4
	v_mov_b32_e32 v161, 0
	ds_load_b64 v[161:162], v161 offset:464
	s_waitcnt lgkmcnt(0)
	v_mul_f64 v[127:128], v[127:128], v[161:162]
	scratch_store_b64 off, v[127:128], off offset:464
.LBB62_38:
	s_or_b32 exec_lo, exec_lo, s2
	scratch_load_b64 v[127:128], off, off offset:456
	v_cmp_lt_u32_e64 s1, 57, v0
	s_waitcnt vmcnt(0)
	ds_store_b64 v130, v[127:128]
	s_waitcnt lgkmcnt(0)
	s_waitcnt_vscnt null, 0x0
	s_barrier
	buffer_gl0_inv
	s_and_saveexec_b32 s2, s1
	s_cbranch_execz .LBB62_48
; %bb.39:
	s_and_not1_b32 vcc_lo, exec_lo, s3
	s_cbranch_vccnz .LBB62_41
; %bb.40:
	scratch_load_b64 v[127:128], v131, off
	ds_load_b64 v[161:162], v130
	s_waitcnt vmcnt(0) lgkmcnt(0)
	v_mul_f64 v[127:128], v[127:128], v[161:162]
	s_cbranch_execz .LBB62_42
	s_branch .LBB62_43
.LBB62_41:
                                        ; implicit-def: $vgpr127_vgpr128
.LBB62_42:
	ds_load_b64 v[127:128], v130
.LBB62_43:
	s_and_saveexec_b32 s4, s0
	s_cbranch_execz .LBB62_47
; %bb.44:
	v_subrev_nc_u32_e32 v161, 58, v0
	s_movk_i32 s5, 0x3d0
	s_mov_b32 s0, 0
.LBB62_45:                              ; =>This Inner Loop Header: Depth=1
	scratch_load_b64 v[162:163], v160, off
	v_dual_mov_b32 v164, s5 :: v_dual_add_nc_u32 v161, -1, v161
	v_add_nc_u32_e32 v160, 8, v160
	s_add_i32 s5, s5, 8
	ds_load_b64 v[164:165], v164
	v_cmp_eq_u32_e32 vcc_lo, 0, v161
	s_or_b32 s0, vcc_lo, s0
	s_waitcnt vmcnt(0) lgkmcnt(0)
	v_fma_f64 v[127:128], v[162:163], v[164:165], v[127:128]
	s_and_not1_b32 exec_lo, exec_lo, s0
	s_cbranch_execnz .LBB62_45
; %bb.46:
	s_or_b32 exec_lo, exec_lo, s0
.LBB62_47:
	s_delay_alu instid0(SALU_CYCLE_1)
	s_or_b32 exec_lo, exec_lo, s4
	v_mov_b32_e32 v160, 0
	ds_load_b64 v[160:161], v160 offset:456
	s_waitcnt lgkmcnt(0)
	v_mul_f64 v[127:128], v[127:128], v[160:161]
	scratch_store_b64 off, v[127:128], off offset:456
.LBB62_48:
	s_or_b32 exec_lo, exec_lo, s2
	scratch_load_b64 v[127:128], off, off offset:448
	v_cmp_lt_u32_e64 s0, 56, v0
	s_waitcnt vmcnt(0)
	ds_store_b64 v130, v[127:128]
	s_waitcnt lgkmcnt(0)
	s_waitcnt_vscnt null, 0x0
	s_barrier
	buffer_gl0_inv
	s_and_saveexec_b32 s2, s0
	s_cbranch_execz .LBB62_58
; %bb.49:
	s_and_not1_b32 vcc_lo, exec_lo, s3
	s_cbranch_vccnz .LBB62_51
; %bb.50:
	scratch_load_b64 v[127:128], v131, off
	ds_load_b64 v[160:161], v130
	s_waitcnt vmcnt(0) lgkmcnt(0)
	v_mul_f64 v[127:128], v[127:128], v[160:161]
	s_cbranch_execz .LBB62_52
	s_branch .LBB62_53
.LBB62_51:
                                        ; implicit-def: $vgpr127_vgpr128
.LBB62_52:
	ds_load_b64 v[127:128], v130
.LBB62_53:
	s_and_saveexec_b32 s4, s1
	s_cbranch_execz .LBB62_57
; %bb.54:
	v_mov_b32_e32 v160, 0
	v_subrev_nc_u32_e32 v161, 57, v0
	s_movk_i32 s5, 0x3c8
	s_mov_b32 s1, 0
	s_delay_alu instid0(VALU_DEP_2)
	v_add_nc_u32_e32 v160, 0x1c8, v160
.LBB62_55:                              ; =>This Inner Loop Header: Depth=1
	scratch_load_b64 v[162:163], v160, off
	v_dual_mov_b32 v164, s5 :: v_dual_add_nc_u32 v161, -1, v161
	v_add_nc_u32_e32 v160, 8, v160
	s_add_i32 s5, s5, 8
	ds_load_b64 v[164:165], v164
	v_cmp_eq_u32_e32 vcc_lo, 0, v161
	s_or_b32 s1, vcc_lo, s1
	s_waitcnt vmcnt(0) lgkmcnt(0)
	v_fma_f64 v[127:128], v[162:163], v[164:165], v[127:128]
	s_and_not1_b32 exec_lo, exec_lo, s1
	s_cbranch_execnz .LBB62_55
; %bb.56:
	s_or_b32 exec_lo, exec_lo, s1
.LBB62_57:
	s_delay_alu instid0(SALU_CYCLE_1)
	s_or_b32 exec_lo, exec_lo, s4
	v_mov_b32_e32 v160, 0
	ds_load_b64 v[160:161], v160 offset:448
	s_waitcnt lgkmcnt(0)
	v_mul_f64 v[127:128], v[127:128], v[160:161]
	scratch_store_b64 off, v[127:128], off offset:448
.LBB62_58:
	s_or_b32 exec_lo, exec_lo, s2
	scratch_load_b64 v[127:128], off, off offset:440
	v_cmp_lt_u32_e64 s1, 55, v0
	s_waitcnt vmcnt(0)
	ds_store_b64 v130, v[127:128]
	s_waitcnt lgkmcnt(0)
	s_waitcnt_vscnt null, 0x0
	s_barrier
	buffer_gl0_inv
	s_and_saveexec_b32 s2, s1
	s_cbranch_execz .LBB62_68
; %bb.59:
	s_and_not1_b32 vcc_lo, exec_lo, s3
	s_cbranch_vccnz .LBB62_61
; %bb.60:
	scratch_load_b64 v[127:128], v131, off
	ds_load_b64 v[160:161], v130
	s_waitcnt vmcnt(0) lgkmcnt(0)
	v_mul_f64 v[127:128], v[127:128], v[160:161]
	s_cbranch_execz .LBB62_62
	s_branch .LBB62_63
.LBB62_61:
                                        ; implicit-def: $vgpr127_vgpr128
.LBB62_62:
	ds_load_b64 v[127:128], v130
.LBB62_63:
	s_and_saveexec_b32 s4, s0
	s_cbranch_execz .LBB62_67
; %bb.64:
	v_subrev_nc_u32_e32 v160, 56, v0
	s_movk_i32 s5, 0x3c0
	s_mov_b32 s0, 0
.LBB62_65:                              ; =>This Inner Loop Header: Depth=1
	scratch_load_b64 v[161:162], v159, off
	v_dual_mov_b32 v163, s5 :: v_dual_add_nc_u32 v160, -1, v160
	v_add_nc_u32_e32 v159, 8, v159
	s_add_i32 s5, s5, 8
	ds_load_b64 v[163:164], v163
	v_cmp_eq_u32_e32 vcc_lo, 0, v160
	s_or_b32 s0, vcc_lo, s0
	s_waitcnt vmcnt(0) lgkmcnt(0)
	v_fma_f64 v[127:128], v[161:162], v[163:164], v[127:128]
	s_and_not1_b32 exec_lo, exec_lo, s0
	s_cbranch_execnz .LBB62_65
; %bb.66:
	s_or_b32 exec_lo, exec_lo, s0
.LBB62_67:
	s_delay_alu instid0(SALU_CYCLE_1)
	s_or_b32 exec_lo, exec_lo, s4
	v_mov_b32_e32 v159, 0
	ds_load_b64 v[159:160], v159 offset:440
	s_waitcnt lgkmcnt(0)
	v_mul_f64 v[127:128], v[127:128], v[159:160]
	scratch_store_b64 off, v[127:128], off offset:440
.LBB62_68:
	s_or_b32 exec_lo, exec_lo, s2
	scratch_load_b64 v[127:128], off, off offset:432
	v_cmp_lt_u32_e64 s0, 54, v0
	s_waitcnt vmcnt(0)
	ds_store_b64 v130, v[127:128]
	s_waitcnt lgkmcnt(0)
	s_waitcnt_vscnt null, 0x0
	s_barrier
	buffer_gl0_inv
	s_and_saveexec_b32 s2, s0
	s_cbranch_execz .LBB62_78
; %bb.69:
	s_and_not1_b32 vcc_lo, exec_lo, s3
	s_cbranch_vccnz .LBB62_71
; %bb.70:
	scratch_load_b64 v[127:128], v131, off
	ds_load_b64 v[159:160], v130
	s_waitcnt vmcnt(0) lgkmcnt(0)
	v_mul_f64 v[127:128], v[127:128], v[159:160]
	s_cbranch_execz .LBB62_72
	s_branch .LBB62_73
.LBB62_71:
                                        ; implicit-def: $vgpr127_vgpr128
.LBB62_72:
	ds_load_b64 v[127:128], v130
.LBB62_73:
	s_and_saveexec_b32 s4, s1
	s_cbranch_execz .LBB62_77
; %bb.74:
	v_mov_b32_e32 v159, 0
	v_subrev_nc_u32_e32 v160, 55, v0
	s_movk_i32 s5, 0x3b8
	s_mov_b32 s1, 0
	s_delay_alu instid0(VALU_DEP_2)
	v_add_nc_u32_e32 v159, 0x1b8, v159
.LBB62_75:                              ; =>This Inner Loop Header: Depth=1
	scratch_load_b64 v[161:162], v159, off
	v_dual_mov_b32 v163, s5 :: v_dual_add_nc_u32 v160, -1, v160
	v_add_nc_u32_e32 v159, 8, v159
	s_add_i32 s5, s5, 8
	ds_load_b64 v[163:164], v163
	v_cmp_eq_u32_e32 vcc_lo, 0, v160
	s_or_b32 s1, vcc_lo, s1
	s_waitcnt vmcnt(0) lgkmcnt(0)
	v_fma_f64 v[127:128], v[161:162], v[163:164], v[127:128]
	s_and_not1_b32 exec_lo, exec_lo, s1
	s_cbranch_execnz .LBB62_75
; %bb.76:
	s_or_b32 exec_lo, exec_lo, s1
.LBB62_77:
	s_delay_alu instid0(SALU_CYCLE_1)
	s_or_b32 exec_lo, exec_lo, s4
	v_mov_b32_e32 v159, 0
	ds_load_b64 v[159:160], v159 offset:432
	s_waitcnt lgkmcnt(0)
	v_mul_f64 v[127:128], v[127:128], v[159:160]
	scratch_store_b64 off, v[127:128], off offset:432
.LBB62_78:
	s_or_b32 exec_lo, exec_lo, s2
	scratch_load_b64 v[127:128], off, off offset:424
	v_cmp_lt_u32_e64 s1, 53, v0
	s_waitcnt vmcnt(0)
	ds_store_b64 v130, v[127:128]
	s_waitcnt lgkmcnt(0)
	s_waitcnt_vscnt null, 0x0
	s_barrier
	buffer_gl0_inv
	s_and_saveexec_b32 s2, s1
	s_cbranch_execz .LBB62_88
; %bb.79:
	s_and_not1_b32 vcc_lo, exec_lo, s3
	s_cbranch_vccnz .LBB62_81
; %bb.80:
	scratch_load_b64 v[127:128], v131, off
	ds_load_b64 v[159:160], v130
	s_waitcnt vmcnt(0) lgkmcnt(0)
	v_mul_f64 v[127:128], v[127:128], v[159:160]
	s_cbranch_execz .LBB62_82
	s_branch .LBB62_83
.LBB62_81:
                                        ; implicit-def: $vgpr127_vgpr128
.LBB62_82:
	ds_load_b64 v[127:128], v130
.LBB62_83:
	s_and_saveexec_b32 s4, s0
	s_cbranch_execz .LBB62_87
; %bb.84:
	v_subrev_nc_u32_e32 v159, 54, v0
	s_movk_i32 s5, 0x3b0
	s_mov_b32 s0, 0
.LBB62_85:                              ; =>This Inner Loop Header: Depth=1
	scratch_load_b64 v[160:161], v158, off
	v_dual_mov_b32 v162, s5 :: v_dual_add_nc_u32 v159, -1, v159
	v_add_nc_u32_e32 v158, 8, v158
	s_add_i32 s5, s5, 8
	ds_load_b64 v[162:163], v162
	v_cmp_eq_u32_e32 vcc_lo, 0, v159
	s_or_b32 s0, vcc_lo, s0
	s_waitcnt vmcnt(0) lgkmcnt(0)
	v_fma_f64 v[127:128], v[160:161], v[162:163], v[127:128]
	s_and_not1_b32 exec_lo, exec_lo, s0
	s_cbranch_execnz .LBB62_85
; %bb.86:
	s_or_b32 exec_lo, exec_lo, s0
.LBB62_87:
	s_delay_alu instid0(SALU_CYCLE_1)
	s_or_b32 exec_lo, exec_lo, s4
	v_mov_b32_e32 v158, 0
	ds_load_b64 v[158:159], v158 offset:424
	s_waitcnt lgkmcnt(0)
	v_mul_f64 v[127:128], v[127:128], v[158:159]
	scratch_store_b64 off, v[127:128], off offset:424
.LBB62_88:
	s_or_b32 exec_lo, exec_lo, s2
	scratch_load_b64 v[127:128], off, off offset:416
	v_cmp_lt_u32_e64 s0, 52, v0
	s_waitcnt vmcnt(0)
	ds_store_b64 v130, v[127:128]
	s_waitcnt lgkmcnt(0)
	s_waitcnt_vscnt null, 0x0
	s_barrier
	buffer_gl0_inv
	s_and_saveexec_b32 s2, s0
	s_cbranch_execz .LBB62_98
; %bb.89:
	s_and_not1_b32 vcc_lo, exec_lo, s3
	s_cbranch_vccnz .LBB62_91
; %bb.90:
	scratch_load_b64 v[127:128], v131, off
	ds_load_b64 v[158:159], v130
	s_waitcnt vmcnt(0) lgkmcnt(0)
	v_mul_f64 v[127:128], v[127:128], v[158:159]
	s_cbranch_execz .LBB62_92
	s_branch .LBB62_93
.LBB62_91:
                                        ; implicit-def: $vgpr127_vgpr128
.LBB62_92:
	ds_load_b64 v[127:128], v130
.LBB62_93:
	s_and_saveexec_b32 s4, s1
	s_cbranch_execz .LBB62_97
; %bb.94:
	v_mov_b32_e32 v158, 0
	v_subrev_nc_u32_e32 v159, 53, v0
	s_movk_i32 s5, 0x3a8
	s_mov_b32 s1, 0
	s_delay_alu instid0(VALU_DEP_2)
	v_add_nc_u32_e32 v158, 0x1a8, v158
.LBB62_95:                              ; =>This Inner Loop Header: Depth=1
	scratch_load_b64 v[160:161], v158, off
	v_dual_mov_b32 v162, s5 :: v_dual_add_nc_u32 v159, -1, v159
	v_add_nc_u32_e32 v158, 8, v158
	s_add_i32 s5, s5, 8
	ds_load_b64 v[162:163], v162
	v_cmp_eq_u32_e32 vcc_lo, 0, v159
	s_or_b32 s1, vcc_lo, s1
	s_waitcnt vmcnt(0) lgkmcnt(0)
	v_fma_f64 v[127:128], v[160:161], v[162:163], v[127:128]
	s_and_not1_b32 exec_lo, exec_lo, s1
	s_cbranch_execnz .LBB62_95
; %bb.96:
	s_or_b32 exec_lo, exec_lo, s1
.LBB62_97:
	s_delay_alu instid0(SALU_CYCLE_1)
	s_or_b32 exec_lo, exec_lo, s4
	v_mov_b32_e32 v158, 0
	ds_load_b64 v[158:159], v158 offset:416
	s_waitcnt lgkmcnt(0)
	v_mul_f64 v[127:128], v[127:128], v[158:159]
	scratch_store_b64 off, v[127:128], off offset:416
.LBB62_98:
	s_or_b32 exec_lo, exec_lo, s2
	scratch_load_b64 v[127:128], off, off offset:408
	v_cmp_lt_u32_e64 s1, 51, v0
	s_waitcnt vmcnt(0)
	ds_store_b64 v130, v[127:128]
	s_waitcnt lgkmcnt(0)
	s_waitcnt_vscnt null, 0x0
	s_barrier
	buffer_gl0_inv
	s_and_saveexec_b32 s2, s1
	s_cbranch_execz .LBB62_108
; %bb.99:
	s_and_not1_b32 vcc_lo, exec_lo, s3
	s_cbranch_vccnz .LBB62_101
; %bb.100:
	scratch_load_b64 v[127:128], v131, off
	ds_load_b64 v[158:159], v130
	s_waitcnt vmcnt(0) lgkmcnt(0)
	v_mul_f64 v[127:128], v[127:128], v[158:159]
	s_cbranch_execz .LBB62_102
	s_branch .LBB62_103
.LBB62_101:
                                        ; implicit-def: $vgpr127_vgpr128
.LBB62_102:
	ds_load_b64 v[127:128], v130
.LBB62_103:
	s_and_saveexec_b32 s4, s0
	s_cbranch_execz .LBB62_107
; %bb.104:
	v_subrev_nc_u32_e32 v158, 52, v0
	s_movk_i32 s5, 0x3a0
	s_mov_b32 s0, 0
.LBB62_105:                             ; =>This Inner Loop Header: Depth=1
	scratch_load_b64 v[159:160], v157, off
	v_dual_mov_b32 v161, s5 :: v_dual_add_nc_u32 v158, -1, v158
	v_add_nc_u32_e32 v157, 8, v157
	s_add_i32 s5, s5, 8
	ds_load_b64 v[161:162], v161
	v_cmp_eq_u32_e32 vcc_lo, 0, v158
	s_or_b32 s0, vcc_lo, s0
	s_waitcnt vmcnt(0) lgkmcnt(0)
	v_fma_f64 v[127:128], v[159:160], v[161:162], v[127:128]
	s_and_not1_b32 exec_lo, exec_lo, s0
	s_cbranch_execnz .LBB62_105
; %bb.106:
	s_or_b32 exec_lo, exec_lo, s0
.LBB62_107:
	s_delay_alu instid0(SALU_CYCLE_1)
	s_or_b32 exec_lo, exec_lo, s4
	v_mov_b32_e32 v157, 0
	ds_load_b64 v[157:158], v157 offset:408
	s_waitcnt lgkmcnt(0)
	v_mul_f64 v[127:128], v[127:128], v[157:158]
	scratch_store_b64 off, v[127:128], off offset:408
.LBB62_108:
	s_or_b32 exec_lo, exec_lo, s2
	scratch_load_b64 v[127:128], off, off offset:400
	v_cmp_lt_u32_e64 s0, 50, v0
	s_waitcnt vmcnt(0)
	ds_store_b64 v130, v[127:128]
	s_waitcnt lgkmcnt(0)
	s_waitcnt_vscnt null, 0x0
	s_barrier
	buffer_gl0_inv
	s_and_saveexec_b32 s2, s0
	s_cbranch_execz .LBB62_118
; %bb.109:
	s_and_not1_b32 vcc_lo, exec_lo, s3
	s_cbranch_vccnz .LBB62_111
; %bb.110:
	scratch_load_b64 v[127:128], v131, off
	ds_load_b64 v[157:158], v130
	s_waitcnt vmcnt(0) lgkmcnt(0)
	v_mul_f64 v[127:128], v[127:128], v[157:158]
	s_cbranch_execz .LBB62_112
	s_branch .LBB62_113
.LBB62_111:
                                        ; implicit-def: $vgpr127_vgpr128
.LBB62_112:
	ds_load_b64 v[127:128], v130
.LBB62_113:
	s_and_saveexec_b32 s4, s1
	s_cbranch_execz .LBB62_117
; %bb.114:
	v_mov_b32_e32 v157, 0
	v_subrev_nc_u32_e32 v158, 51, v0
	s_movk_i32 s5, 0x398
	s_mov_b32 s1, 0
	s_delay_alu instid0(VALU_DEP_2)
	v_add_nc_u32_e32 v157, 0x198, v157
.LBB62_115:                             ; =>This Inner Loop Header: Depth=1
	scratch_load_b64 v[159:160], v157, off
	v_dual_mov_b32 v161, s5 :: v_dual_add_nc_u32 v158, -1, v158
	v_add_nc_u32_e32 v157, 8, v157
	s_add_i32 s5, s5, 8
	ds_load_b64 v[161:162], v161
	v_cmp_eq_u32_e32 vcc_lo, 0, v158
	s_or_b32 s1, vcc_lo, s1
	s_waitcnt vmcnt(0) lgkmcnt(0)
	v_fma_f64 v[127:128], v[159:160], v[161:162], v[127:128]
	s_and_not1_b32 exec_lo, exec_lo, s1
	s_cbranch_execnz .LBB62_115
; %bb.116:
	s_or_b32 exec_lo, exec_lo, s1
.LBB62_117:
	s_delay_alu instid0(SALU_CYCLE_1)
	s_or_b32 exec_lo, exec_lo, s4
	v_mov_b32_e32 v157, 0
	ds_load_b64 v[157:158], v157 offset:400
	s_waitcnt lgkmcnt(0)
	v_mul_f64 v[127:128], v[127:128], v[157:158]
	scratch_store_b64 off, v[127:128], off offset:400
.LBB62_118:
	s_or_b32 exec_lo, exec_lo, s2
	scratch_load_b64 v[127:128], off, off offset:392
	v_cmp_lt_u32_e64 s1, 49, v0
	s_waitcnt vmcnt(0)
	ds_store_b64 v130, v[127:128]
	s_waitcnt lgkmcnt(0)
	s_waitcnt_vscnt null, 0x0
	s_barrier
	buffer_gl0_inv
	s_and_saveexec_b32 s2, s1
	s_cbranch_execz .LBB62_128
; %bb.119:
	s_and_not1_b32 vcc_lo, exec_lo, s3
	s_cbranch_vccnz .LBB62_121
; %bb.120:
	scratch_load_b64 v[127:128], v131, off
	ds_load_b64 v[157:158], v130
	s_waitcnt vmcnt(0) lgkmcnt(0)
	v_mul_f64 v[127:128], v[127:128], v[157:158]
	s_cbranch_execz .LBB62_122
	s_branch .LBB62_123
.LBB62_121:
                                        ; implicit-def: $vgpr127_vgpr128
.LBB62_122:
	ds_load_b64 v[127:128], v130
.LBB62_123:
	s_and_saveexec_b32 s4, s0
	s_cbranch_execz .LBB62_127
; %bb.124:
	v_subrev_nc_u32_e32 v157, 50, v0
	s_movk_i32 s5, 0x390
	s_mov_b32 s0, 0
.LBB62_125:                             ; =>This Inner Loop Header: Depth=1
	scratch_load_b64 v[158:159], v156, off
	v_dual_mov_b32 v160, s5 :: v_dual_add_nc_u32 v157, -1, v157
	v_add_nc_u32_e32 v156, 8, v156
	s_add_i32 s5, s5, 8
	ds_load_b64 v[160:161], v160
	v_cmp_eq_u32_e32 vcc_lo, 0, v157
	s_or_b32 s0, vcc_lo, s0
	s_waitcnt vmcnt(0) lgkmcnt(0)
	v_fma_f64 v[127:128], v[158:159], v[160:161], v[127:128]
	s_and_not1_b32 exec_lo, exec_lo, s0
	s_cbranch_execnz .LBB62_125
; %bb.126:
	s_or_b32 exec_lo, exec_lo, s0
.LBB62_127:
	s_delay_alu instid0(SALU_CYCLE_1)
	s_or_b32 exec_lo, exec_lo, s4
	v_mov_b32_e32 v156, 0
	ds_load_b64 v[156:157], v156 offset:392
	s_waitcnt lgkmcnt(0)
	v_mul_f64 v[127:128], v[127:128], v[156:157]
	scratch_store_b64 off, v[127:128], off offset:392
.LBB62_128:
	s_or_b32 exec_lo, exec_lo, s2
	scratch_load_b64 v[127:128], off, off offset:384
	v_cmp_lt_u32_e64 s0, 48, v0
	s_waitcnt vmcnt(0)
	ds_store_b64 v130, v[127:128]
	s_waitcnt lgkmcnt(0)
	s_waitcnt_vscnt null, 0x0
	s_barrier
	buffer_gl0_inv
	s_and_saveexec_b32 s2, s0
	s_cbranch_execz .LBB62_138
; %bb.129:
	s_and_not1_b32 vcc_lo, exec_lo, s3
	s_cbranch_vccnz .LBB62_131
; %bb.130:
	scratch_load_b64 v[127:128], v131, off
	ds_load_b64 v[156:157], v130
	s_waitcnt vmcnt(0) lgkmcnt(0)
	v_mul_f64 v[127:128], v[127:128], v[156:157]
	s_cbranch_execz .LBB62_132
	s_branch .LBB62_133
.LBB62_131:
                                        ; implicit-def: $vgpr127_vgpr128
.LBB62_132:
	ds_load_b64 v[127:128], v130
.LBB62_133:
	s_and_saveexec_b32 s4, s1
	s_cbranch_execz .LBB62_137
; %bb.134:
	v_mov_b32_e32 v156, 0
	v_subrev_nc_u32_e32 v157, 49, v0
	s_movk_i32 s5, 0x388
	s_mov_b32 s1, 0
	s_delay_alu instid0(VALU_DEP_2)
	v_add_nc_u32_e32 v156, 0x188, v156
.LBB62_135:                             ; =>This Inner Loop Header: Depth=1
	scratch_load_b64 v[158:159], v156, off
	v_dual_mov_b32 v160, s5 :: v_dual_add_nc_u32 v157, -1, v157
	v_add_nc_u32_e32 v156, 8, v156
	s_add_i32 s5, s5, 8
	ds_load_b64 v[160:161], v160
	v_cmp_eq_u32_e32 vcc_lo, 0, v157
	s_or_b32 s1, vcc_lo, s1
	s_waitcnt vmcnt(0) lgkmcnt(0)
	v_fma_f64 v[127:128], v[158:159], v[160:161], v[127:128]
	s_and_not1_b32 exec_lo, exec_lo, s1
	s_cbranch_execnz .LBB62_135
; %bb.136:
	s_or_b32 exec_lo, exec_lo, s1
.LBB62_137:
	s_delay_alu instid0(SALU_CYCLE_1)
	s_or_b32 exec_lo, exec_lo, s4
	v_mov_b32_e32 v156, 0
	ds_load_b64 v[156:157], v156 offset:384
	s_waitcnt lgkmcnt(0)
	v_mul_f64 v[127:128], v[127:128], v[156:157]
	scratch_store_b64 off, v[127:128], off offset:384
.LBB62_138:
	s_or_b32 exec_lo, exec_lo, s2
	scratch_load_b64 v[127:128], off, off offset:376
	v_cmp_lt_u32_e64 s1, 47, v0
	s_waitcnt vmcnt(0)
	ds_store_b64 v130, v[127:128]
	s_waitcnt lgkmcnt(0)
	s_waitcnt_vscnt null, 0x0
	s_barrier
	buffer_gl0_inv
	s_and_saveexec_b32 s2, s1
	s_cbranch_execz .LBB62_148
; %bb.139:
	s_and_not1_b32 vcc_lo, exec_lo, s3
	s_cbranch_vccnz .LBB62_141
; %bb.140:
	scratch_load_b64 v[127:128], v131, off
	ds_load_b64 v[156:157], v130
	s_waitcnt vmcnt(0) lgkmcnt(0)
	v_mul_f64 v[127:128], v[127:128], v[156:157]
	s_cbranch_execz .LBB62_142
	s_branch .LBB62_143
.LBB62_141:
                                        ; implicit-def: $vgpr127_vgpr128
.LBB62_142:
	ds_load_b64 v[127:128], v130
.LBB62_143:
	s_and_saveexec_b32 s4, s0
	s_cbranch_execz .LBB62_147
; %bb.144:
	v_subrev_nc_u32_e32 v156, 48, v0
	s_movk_i32 s5, 0x380
	s_mov_b32 s0, 0
.LBB62_145:                             ; =>This Inner Loop Header: Depth=1
	scratch_load_b64 v[157:158], v155, off
	v_dual_mov_b32 v159, s5 :: v_dual_add_nc_u32 v156, -1, v156
	v_add_nc_u32_e32 v155, 8, v155
	s_add_i32 s5, s5, 8
	ds_load_b64 v[159:160], v159
	v_cmp_eq_u32_e32 vcc_lo, 0, v156
	s_or_b32 s0, vcc_lo, s0
	s_waitcnt vmcnt(0) lgkmcnt(0)
	v_fma_f64 v[127:128], v[157:158], v[159:160], v[127:128]
	s_and_not1_b32 exec_lo, exec_lo, s0
	s_cbranch_execnz .LBB62_145
; %bb.146:
	s_or_b32 exec_lo, exec_lo, s0
.LBB62_147:
	s_delay_alu instid0(SALU_CYCLE_1)
	s_or_b32 exec_lo, exec_lo, s4
	v_mov_b32_e32 v155, 0
	ds_load_b64 v[155:156], v155 offset:376
	s_waitcnt lgkmcnt(0)
	v_mul_f64 v[127:128], v[127:128], v[155:156]
	scratch_store_b64 off, v[127:128], off offset:376
.LBB62_148:
	s_or_b32 exec_lo, exec_lo, s2
	scratch_load_b64 v[127:128], off, off offset:368
	v_cmp_lt_u32_e64 s0, 46, v0
	s_waitcnt vmcnt(0)
	ds_store_b64 v130, v[127:128]
	s_waitcnt lgkmcnt(0)
	s_waitcnt_vscnt null, 0x0
	s_barrier
	buffer_gl0_inv
	s_and_saveexec_b32 s2, s0
	s_cbranch_execz .LBB62_158
; %bb.149:
	s_and_not1_b32 vcc_lo, exec_lo, s3
	s_cbranch_vccnz .LBB62_151
; %bb.150:
	scratch_load_b64 v[127:128], v131, off
	ds_load_b64 v[155:156], v130
	s_waitcnt vmcnt(0) lgkmcnt(0)
	v_mul_f64 v[127:128], v[127:128], v[155:156]
	s_cbranch_execz .LBB62_152
	s_branch .LBB62_153
.LBB62_151:
                                        ; implicit-def: $vgpr127_vgpr128
.LBB62_152:
	ds_load_b64 v[127:128], v130
.LBB62_153:
	s_and_saveexec_b32 s4, s1
	s_cbranch_execz .LBB62_157
; %bb.154:
	v_mov_b32_e32 v155, 0
	v_subrev_nc_u32_e32 v156, 47, v0
	s_movk_i32 s5, 0x378
	s_mov_b32 s1, 0
	s_delay_alu instid0(VALU_DEP_2)
	v_add_nc_u32_e32 v155, 0x178, v155
.LBB62_155:                             ; =>This Inner Loop Header: Depth=1
	scratch_load_b64 v[157:158], v155, off
	v_dual_mov_b32 v159, s5 :: v_dual_add_nc_u32 v156, -1, v156
	v_add_nc_u32_e32 v155, 8, v155
	s_add_i32 s5, s5, 8
	ds_load_b64 v[159:160], v159
	v_cmp_eq_u32_e32 vcc_lo, 0, v156
	s_or_b32 s1, vcc_lo, s1
	s_waitcnt vmcnt(0) lgkmcnt(0)
	v_fma_f64 v[127:128], v[157:158], v[159:160], v[127:128]
	s_and_not1_b32 exec_lo, exec_lo, s1
	s_cbranch_execnz .LBB62_155
; %bb.156:
	s_or_b32 exec_lo, exec_lo, s1
.LBB62_157:
	s_delay_alu instid0(SALU_CYCLE_1)
	s_or_b32 exec_lo, exec_lo, s4
	v_mov_b32_e32 v155, 0
	ds_load_b64 v[155:156], v155 offset:368
	s_waitcnt lgkmcnt(0)
	v_mul_f64 v[127:128], v[127:128], v[155:156]
	scratch_store_b64 off, v[127:128], off offset:368
.LBB62_158:
	s_or_b32 exec_lo, exec_lo, s2
	scratch_load_b64 v[127:128], off, off offset:360
	v_cmp_lt_u32_e64 s1, 45, v0
	s_waitcnt vmcnt(0)
	ds_store_b64 v130, v[127:128]
	s_waitcnt lgkmcnt(0)
	s_waitcnt_vscnt null, 0x0
	s_barrier
	buffer_gl0_inv
	s_and_saveexec_b32 s2, s1
	s_cbranch_execz .LBB62_168
; %bb.159:
	s_and_not1_b32 vcc_lo, exec_lo, s3
	s_cbranch_vccnz .LBB62_161
; %bb.160:
	scratch_load_b64 v[127:128], v131, off
	ds_load_b64 v[155:156], v130
	s_waitcnt vmcnt(0) lgkmcnt(0)
	v_mul_f64 v[127:128], v[127:128], v[155:156]
	s_cbranch_execz .LBB62_162
	s_branch .LBB62_163
.LBB62_161:
                                        ; implicit-def: $vgpr127_vgpr128
.LBB62_162:
	ds_load_b64 v[127:128], v130
.LBB62_163:
	s_and_saveexec_b32 s4, s0
	s_cbranch_execz .LBB62_167
; %bb.164:
	v_subrev_nc_u32_e32 v155, 46, v0
	s_movk_i32 s5, 0x370
	s_mov_b32 s0, 0
.LBB62_165:                             ; =>This Inner Loop Header: Depth=1
	scratch_load_b64 v[156:157], v154, off
	v_dual_mov_b32 v158, s5 :: v_dual_add_nc_u32 v155, -1, v155
	v_add_nc_u32_e32 v154, 8, v154
	s_add_i32 s5, s5, 8
	ds_load_b64 v[158:159], v158
	v_cmp_eq_u32_e32 vcc_lo, 0, v155
	s_or_b32 s0, vcc_lo, s0
	s_waitcnt vmcnt(0) lgkmcnt(0)
	v_fma_f64 v[127:128], v[156:157], v[158:159], v[127:128]
	s_and_not1_b32 exec_lo, exec_lo, s0
	s_cbranch_execnz .LBB62_165
; %bb.166:
	s_or_b32 exec_lo, exec_lo, s0
.LBB62_167:
	s_delay_alu instid0(SALU_CYCLE_1)
	s_or_b32 exec_lo, exec_lo, s4
	v_mov_b32_e32 v154, 0
	ds_load_b64 v[154:155], v154 offset:360
	s_waitcnt lgkmcnt(0)
	v_mul_f64 v[127:128], v[127:128], v[154:155]
	scratch_store_b64 off, v[127:128], off offset:360
.LBB62_168:
	s_or_b32 exec_lo, exec_lo, s2
	scratch_load_b64 v[127:128], off, off offset:352
	v_cmp_lt_u32_e64 s0, 44, v0
	s_waitcnt vmcnt(0)
	ds_store_b64 v130, v[127:128]
	s_waitcnt lgkmcnt(0)
	s_waitcnt_vscnt null, 0x0
	s_barrier
	buffer_gl0_inv
	s_and_saveexec_b32 s2, s0
	s_cbranch_execz .LBB62_178
; %bb.169:
	s_and_not1_b32 vcc_lo, exec_lo, s3
	s_cbranch_vccnz .LBB62_171
; %bb.170:
	scratch_load_b64 v[127:128], v131, off
	ds_load_b64 v[154:155], v130
	s_waitcnt vmcnt(0) lgkmcnt(0)
	v_mul_f64 v[127:128], v[127:128], v[154:155]
	s_cbranch_execz .LBB62_172
	s_branch .LBB62_173
.LBB62_171:
                                        ; implicit-def: $vgpr127_vgpr128
.LBB62_172:
	ds_load_b64 v[127:128], v130
.LBB62_173:
	s_and_saveexec_b32 s4, s1
	s_cbranch_execz .LBB62_177
; %bb.174:
	v_mov_b32_e32 v154, 0
	v_subrev_nc_u32_e32 v155, 45, v0
	s_movk_i32 s5, 0x368
	s_mov_b32 s1, 0
	s_delay_alu instid0(VALU_DEP_2)
	v_add_nc_u32_e32 v154, 0x168, v154
.LBB62_175:                             ; =>This Inner Loop Header: Depth=1
	scratch_load_b64 v[156:157], v154, off
	v_dual_mov_b32 v158, s5 :: v_dual_add_nc_u32 v155, -1, v155
	v_add_nc_u32_e32 v154, 8, v154
	s_add_i32 s5, s5, 8
	ds_load_b64 v[158:159], v158
	v_cmp_eq_u32_e32 vcc_lo, 0, v155
	s_or_b32 s1, vcc_lo, s1
	s_waitcnt vmcnt(0) lgkmcnt(0)
	v_fma_f64 v[127:128], v[156:157], v[158:159], v[127:128]
	s_and_not1_b32 exec_lo, exec_lo, s1
	s_cbranch_execnz .LBB62_175
; %bb.176:
	s_or_b32 exec_lo, exec_lo, s1
.LBB62_177:
	s_delay_alu instid0(SALU_CYCLE_1)
	s_or_b32 exec_lo, exec_lo, s4
	v_mov_b32_e32 v154, 0
	ds_load_b64 v[154:155], v154 offset:352
	s_waitcnt lgkmcnt(0)
	v_mul_f64 v[127:128], v[127:128], v[154:155]
	scratch_store_b64 off, v[127:128], off offset:352
.LBB62_178:
	s_or_b32 exec_lo, exec_lo, s2
	scratch_load_b64 v[127:128], off, off offset:344
	v_cmp_lt_u32_e64 s1, 43, v0
	s_waitcnt vmcnt(0)
	ds_store_b64 v130, v[127:128]
	s_waitcnt lgkmcnt(0)
	s_waitcnt_vscnt null, 0x0
	s_barrier
	buffer_gl0_inv
	s_and_saveexec_b32 s2, s1
	s_cbranch_execz .LBB62_188
; %bb.179:
	s_and_not1_b32 vcc_lo, exec_lo, s3
	s_cbranch_vccnz .LBB62_181
; %bb.180:
	scratch_load_b64 v[127:128], v131, off
	ds_load_b64 v[154:155], v130
	s_waitcnt vmcnt(0) lgkmcnt(0)
	v_mul_f64 v[127:128], v[127:128], v[154:155]
	s_cbranch_execz .LBB62_182
	s_branch .LBB62_183
.LBB62_181:
                                        ; implicit-def: $vgpr127_vgpr128
.LBB62_182:
	ds_load_b64 v[127:128], v130
.LBB62_183:
	s_and_saveexec_b32 s4, s0
	s_cbranch_execz .LBB62_187
; %bb.184:
	v_subrev_nc_u32_e32 v154, 44, v0
	s_movk_i32 s5, 0x360
	s_mov_b32 s0, 0
.LBB62_185:                             ; =>This Inner Loop Header: Depth=1
	scratch_load_b64 v[155:156], v153, off
	v_dual_mov_b32 v157, s5 :: v_dual_add_nc_u32 v154, -1, v154
	v_add_nc_u32_e32 v153, 8, v153
	s_add_i32 s5, s5, 8
	ds_load_b64 v[157:158], v157
	v_cmp_eq_u32_e32 vcc_lo, 0, v154
	s_or_b32 s0, vcc_lo, s0
	s_waitcnt vmcnt(0) lgkmcnt(0)
	v_fma_f64 v[127:128], v[155:156], v[157:158], v[127:128]
	s_and_not1_b32 exec_lo, exec_lo, s0
	s_cbranch_execnz .LBB62_185
; %bb.186:
	s_or_b32 exec_lo, exec_lo, s0
.LBB62_187:
	s_delay_alu instid0(SALU_CYCLE_1)
	s_or_b32 exec_lo, exec_lo, s4
	v_mov_b32_e32 v153, 0
	ds_load_b64 v[153:154], v153 offset:344
	s_waitcnt lgkmcnt(0)
	v_mul_f64 v[127:128], v[127:128], v[153:154]
	scratch_store_b64 off, v[127:128], off offset:344
.LBB62_188:
	s_or_b32 exec_lo, exec_lo, s2
	scratch_load_b64 v[127:128], off, off offset:336
	v_cmp_lt_u32_e64 s0, 42, v0
	s_waitcnt vmcnt(0)
	ds_store_b64 v130, v[127:128]
	s_waitcnt lgkmcnt(0)
	s_waitcnt_vscnt null, 0x0
	s_barrier
	buffer_gl0_inv
	s_and_saveexec_b32 s2, s0
	s_cbranch_execz .LBB62_198
; %bb.189:
	s_and_not1_b32 vcc_lo, exec_lo, s3
	s_cbranch_vccnz .LBB62_191
; %bb.190:
	scratch_load_b64 v[127:128], v131, off
	ds_load_b64 v[153:154], v130
	s_waitcnt vmcnt(0) lgkmcnt(0)
	v_mul_f64 v[127:128], v[127:128], v[153:154]
	s_cbranch_execz .LBB62_192
	s_branch .LBB62_193
.LBB62_191:
                                        ; implicit-def: $vgpr127_vgpr128
.LBB62_192:
	ds_load_b64 v[127:128], v130
.LBB62_193:
	s_and_saveexec_b32 s4, s1
	s_cbranch_execz .LBB62_197
; %bb.194:
	v_mov_b32_e32 v153, 0
	v_subrev_nc_u32_e32 v154, 43, v0
	s_movk_i32 s5, 0x358
	s_mov_b32 s1, 0
	s_delay_alu instid0(VALU_DEP_2)
	v_add_nc_u32_e32 v153, 0x158, v153
.LBB62_195:                             ; =>This Inner Loop Header: Depth=1
	scratch_load_b64 v[155:156], v153, off
	v_dual_mov_b32 v157, s5 :: v_dual_add_nc_u32 v154, -1, v154
	v_add_nc_u32_e32 v153, 8, v153
	s_add_i32 s5, s5, 8
	ds_load_b64 v[157:158], v157
	v_cmp_eq_u32_e32 vcc_lo, 0, v154
	s_or_b32 s1, vcc_lo, s1
	s_waitcnt vmcnt(0) lgkmcnt(0)
	v_fma_f64 v[127:128], v[155:156], v[157:158], v[127:128]
	s_and_not1_b32 exec_lo, exec_lo, s1
	s_cbranch_execnz .LBB62_195
; %bb.196:
	s_or_b32 exec_lo, exec_lo, s1
.LBB62_197:
	s_delay_alu instid0(SALU_CYCLE_1)
	s_or_b32 exec_lo, exec_lo, s4
	v_mov_b32_e32 v153, 0
	ds_load_b64 v[153:154], v153 offset:336
	s_waitcnt lgkmcnt(0)
	v_mul_f64 v[127:128], v[127:128], v[153:154]
	scratch_store_b64 off, v[127:128], off offset:336
.LBB62_198:
	s_or_b32 exec_lo, exec_lo, s2
	scratch_load_b64 v[127:128], off, off offset:328
	v_cmp_lt_u32_e64 s1, 41, v0
	s_waitcnt vmcnt(0)
	ds_store_b64 v130, v[127:128]
	s_waitcnt lgkmcnt(0)
	s_waitcnt_vscnt null, 0x0
	s_barrier
	buffer_gl0_inv
	s_and_saveexec_b32 s2, s1
	s_cbranch_execz .LBB62_208
; %bb.199:
	s_and_not1_b32 vcc_lo, exec_lo, s3
	s_cbranch_vccnz .LBB62_201
; %bb.200:
	scratch_load_b64 v[127:128], v131, off
	ds_load_b64 v[153:154], v130
	s_waitcnt vmcnt(0) lgkmcnt(0)
	v_mul_f64 v[127:128], v[127:128], v[153:154]
	s_cbranch_execz .LBB62_202
	s_branch .LBB62_203
.LBB62_201:
                                        ; implicit-def: $vgpr127_vgpr128
.LBB62_202:
	ds_load_b64 v[127:128], v130
.LBB62_203:
	s_and_saveexec_b32 s4, s0
	s_cbranch_execz .LBB62_207
; %bb.204:
	v_subrev_nc_u32_e32 v153, 42, v0
	s_movk_i32 s5, 0x350
	s_mov_b32 s0, 0
.LBB62_205:                             ; =>This Inner Loop Header: Depth=1
	scratch_load_b64 v[154:155], v152, off
	v_dual_mov_b32 v156, s5 :: v_dual_add_nc_u32 v153, -1, v153
	v_add_nc_u32_e32 v152, 8, v152
	s_add_i32 s5, s5, 8
	ds_load_b64 v[156:157], v156
	v_cmp_eq_u32_e32 vcc_lo, 0, v153
	s_or_b32 s0, vcc_lo, s0
	s_waitcnt vmcnt(0) lgkmcnt(0)
	v_fma_f64 v[127:128], v[154:155], v[156:157], v[127:128]
	s_and_not1_b32 exec_lo, exec_lo, s0
	s_cbranch_execnz .LBB62_205
; %bb.206:
	s_or_b32 exec_lo, exec_lo, s0
.LBB62_207:
	s_delay_alu instid0(SALU_CYCLE_1)
	s_or_b32 exec_lo, exec_lo, s4
	v_mov_b32_e32 v152, 0
	ds_load_b64 v[152:153], v152 offset:328
	s_waitcnt lgkmcnt(0)
	v_mul_f64 v[127:128], v[127:128], v[152:153]
	scratch_store_b64 off, v[127:128], off offset:328
.LBB62_208:
	s_or_b32 exec_lo, exec_lo, s2
	scratch_load_b64 v[127:128], off, off offset:320
	v_cmp_lt_u32_e64 s0, 40, v0
	s_waitcnt vmcnt(0)
	ds_store_b64 v130, v[127:128]
	s_waitcnt lgkmcnt(0)
	s_waitcnt_vscnt null, 0x0
	s_barrier
	buffer_gl0_inv
	s_and_saveexec_b32 s2, s0
	s_cbranch_execz .LBB62_218
; %bb.209:
	s_and_not1_b32 vcc_lo, exec_lo, s3
	s_cbranch_vccnz .LBB62_211
; %bb.210:
	scratch_load_b64 v[127:128], v131, off
	ds_load_b64 v[152:153], v130
	s_waitcnt vmcnt(0) lgkmcnt(0)
	v_mul_f64 v[127:128], v[127:128], v[152:153]
	s_cbranch_execz .LBB62_212
	s_branch .LBB62_213
.LBB62_211:
                                        ; implicit-def: $vgpr127_vgpr128
.LBB62_212:
	ds_load_b64 v[127:128], v130
.LBB62_213:
	s_and_saveexec_b32 s4, s1
	s_cbranch_execz .LBB62_217
; %bb.214:
	v_mov_b32_e32 v152, 0
	v_subrev_nc_u32_e32 v153, 41, v0
	s_movk_i32 s5, 0x348
	s_mov_b32 s1, 0
	s_delay_alu instid0(VALU_DEP_2)
	v_add_nc_u32_e32 v152, 0x148, v152
.LBB62_215:                             ; =>This Inner Loop Header: Depth=1
	scratch_load_b64 v[154:155], v152, off
	v_dual_mov_b32 v156, s5 :: v_dual_add_nc_u32 v153, -1, v153
	v_add_nc_u32_e32 v152, 8, v152
	s_add_i32 s5, s5, 8
	ds_load_b64 v[156:157], v156
	v_cmp_eq_u32_e32 vcc_lo, 0, v153
	s_or_b32 s1, vcc_lo, s1
	s_waitcnt vmcnt(0) lgkmcnt(0)
	v_fma_f64 v[127:128], v[154:155], v[156:157], v[127:128]
	s_and_not1_b32 exec_lo, exec_lo, s1
	s_cbranch_execnz .LBB62_215
; %bb.216:
	s_or_b32 exec_lo, exec_lo, s1
.LBB62_217:
	s_delay_alu instid0(SALU_CYCLE_1)
	s_or_b32 exec_lo, exec_lo, s4
	v_mov_b32_e32 v152, 0
	ds_load_b64 v[152:153], v152 offset:320
	s_waitcnt lgkmcnt(0)
	v_mul_f64 v[127:128], v[127:128], v[152:153]
	scratch_store_b64 off, v[127:128], off offset:320
.LBB62_218:
	s_or_b32 exec_lo, exec_lo, s2
	scratch_load_b64 v[127:128], off, off offset:312
	v_cmp_lt_u32_e64 s1, 39, v0
	s_waitcnt vmcnt(0)
	ds_store_b64 v130, v[127:128]
	s_waitcnt lgkmcnt(0)
	s_waitcnt_vscnt null, 0x0
	s_barrier
	buffer_gl0_inv
	s_and_saveexec_b32 s2, s1
	s_cbranch_execz .LBB62_228
; %bb.219:
	s_and_not1_b32 vcc_lo, exec_lo, s3
	s_cbranch_vccnz .LBB62_221
; %bb.220:
	scratch_load_b64 v[127:128], v131, off
	ds_load_b64 v[152:153], v130
	s_waitcnt vmcnt(0) lgkmcnt(0)
	v_mul_f64 v[127:128], v[127:128], v[152:153]
	s_cbranch_execz .LBB62_222
	s_branch .LBB62_223
.LBB62_221:
                                        ; implicit-def: $vgpr127_vgpr128
.LBB62_222:
	ds_load_b64 v[127:128], v130
.LBB62_223:
	s_and_saveexec_b32 s4, s0
	s_cbranch_execz .LBB62_227
; %bb.224:
	v_subrev_nc_u32_e32 v152, 40, v0
	s_movk_i32 s5, 0x340
	s_mov_b32 s0, 0
.LBB62_225:                             ; =>This Inner Loop Header: Depth=1
	scratch_load_b64 v[153:154], v151, off
	v_dual_mov_b32 v155, s5 :: v_dual_add_nc_u32 v152, -1, v152
	v_add_nc_u32_e32 v151, 8, v151
	s_add_i32 s5, s5, 8
	ds_load_b64 v[155:156], v155
	v_cmp_eq_u32_e32 vcc_lo, 0, v152
	s_or_b32 s0, vcc_lo, s0
	s_waitcnt vmcnt(0) lgkmcnt(0)
	v_fma_f64 v[127:128], v[153:154], v[155:156], v[127:128]
	s_and_not1_b32 exec_lo, exec_lo, s0
	s_cbranch_execnz .LBB62_225
; %bb.226:
	s_or_b32 exec_lo, exec_lo, s0
.LBB62_227:
	s_delay_alu instid0(SALU_CYCLE_1)
	s_or_b32 exec_lo, exec_lo, s4
	v_mov_b32_e32 v151, 0
	ds_load_b64 v[151:152], v151 offset:312
	s_waitcnt lgkmcnt(0)
	v_mul_f64 v[127:128], v[127:128], v[151:152]
	scratch_store_b64 off, v[127:128], off offset:312
.LBB62_228:
	s_or_b32 exec_lo, exec_lo, s2
	scratch_load_b64 v[127:128], off, off offset:304
	v_cmp_lt_u32_e64 s0, 38, v0
	s_waitcnt vmcnt(0)
	ds_store_b64 v130, v[127:128]
	s_waitcnt lgkmcnt(0)
	s_waitcnt_vscnt null, 0x0
	s_barrier
	buffer_gl0_inv
	s_and_saveexec_b32 s2, s0
	s_cbranch_execz .LBB62_238
; %bb.229:
	s_and_not1_b32 vcc_lo, exec_lo, s3
	s_cbranch_vccnz .LBB62_231
; %bb.230:
	scratch_load_b64 v[127:128], v131, off
	ds_load_b64 v[151:152], v130
	s_waitcnt vmcnt(0) lgkmcnt(0)
	v_mul_f64 v[127:128], v[127:128], v[151:152]
	s_cbranch_execz .LBB62_232
	s_branch .LBB62_233
.LBB62_231:
                                        ; implicit-def: $vgpr127_vgpr128
.LBB62_232:
	ds_load_b64 v[127:128], v130
.LBB62_233:
	s_and_saveexec_b32 s4, s1
	s_cbranch_execz .LBB62_237
; %bb.234:
	v_mov_b32_e32 v151, 0
	v_subrev_nc_u32_e32 v152, 39, v0
	s_movk_i32 s5, 0x338
	s_mov_b32 s1, 0
	s_delay_alu instid0(VALU_DEP_2)
	v_add_nc_u32_e32 v151, 0x138, v151
.LBB62_235:                             ; =>This Inner Loop Header: Depth=1
	scratch_load_b64 v[153:154], v151, off
	v_dual_mov_b32 v155, s5 :: v_dual_add_nc_u32 v152, -1, v152
	v_add_nc_u32_e32 v151, 8, v151
	s_add_i32 s5, s5, 8
	ds_load_b64 v[155:156], v155
	v_cmp_eq_u32_e32 vcc_lo, 0, v152
	s_or_b32 s1, vcc_lo, s1
	s_waitcnt vmcnt(0) lgkmcnt(0)
	v_fma_f64 v[127:128], v[153:154], v[155:156], v[127:128]
	s_and_not1_b32 exec_lo, exec_lo, s1
	s_cbranch_execnz .LBB62_235
; %bb.236:
	s_or_b32 exec_lo, exec_lo, s1
.LBB62_237:
	s_delay_alu instid0(SALU_CYCLE_1)
	s_or_b32 exec_lo, exec_lo, s4
	v_mov_b32_e32 v151, 0
	ds_load_b64 v[151:152], v151 offset:304
	s_waitcnt lgkmcnt(0)
	v_mul_f64 v[127:128], v[127:128], v[151:152]
	scratch_store_b64 off, v[127:128], off offset:304
.LBB62_238:
	s_or_b32 exec_lo, exec_lo, s2
	scratch_load_b64 v[127:128], off, off offset:296
	v_cmp_lt_u32_e64 s1, 37, v0
	s_waitcnt vmcnt(0)
	ds_store_b64 v130, v[127:128]
	s_waitcnt lgkmcnt(0)
	s_waitcnt_vscnt null, 0x0
	s_barrier
	buffer_gl0_inv
	s_and_saveexec_b32 s2, s1
	s_cbranch_execz .LBB62_248
; %bb.239:
	s_and_not1_b32 vcc_lo, exec_lo, s3
	s_cbranch_vccnz .LBB62_241
; %bb.240:
	scratch_load_b64 v[127:128], v131, off
	ds_load_b64 v[151:152], v130
	s_waitcnt vmcnt(0) lgkmcnt(0)
	v_mul_f64 v[127:128], v[127:128], v[151:152]
	s_cbranch_execz .LBB62_242
	s_branch .LBB62_243
.LBB62_241:
                                        ; implicit-def: $vgpr127_vgpr128
.LBB62_242:
	ds_load_b64 v[127:128], v130
.LBB62_243:
	s_and_saveexec_b32 s4, s0
	s_cbranch_execz .LBB62_247
; %bb.244:
	v_subrev_nc_u32_e32 v151, 38, v0
	s_movk_i32 s5, 0x330
	s_mov_b32 s0, 0
.LBB62_245:                             ; =>This Inner Loop Header: Depth=1
	scratch_load_b64 v[152:153], v150, off
	v_dual_mov_b32 v154, s5 :: v_dual_add_nc_u32 v151, -1, v151
	v_add_nc_u32_e32 v150, 8, v150
	s_add_i32 s5, s5, 8
	ds_load_b64 v[154:155], v154
	v_cmp_eq_u32_e32 vcc_lo, 0, v151
	s_or_b32 s0, vcc_lo, s0
	s_waitcnt vmcnt(0) lgkmcnt(0)
	v_fma_f64 v[127:128], v[152:153], v[154:155], v[127:128]
	s_and_not1_b32 exec_lo, exec_lo, s0
	s_cbranch_execnz .LBB62_245
; %bb.246:
	s_or_b32 exec_lo, exec_lo, s0
.LBB62_247:
	s_delay_alu instid0(SALU_CYCLE_1)
	s_or_b32 exec_lo, exec_lo, s4
	v_mov_b32_e32 v150, 0
	ds_load_b64 v[150:151], v150 offset:296
	s_waitcnt lgkmcnt(0)
	v_mul_f64 v[127:128], v[127:128], v[150:151]
	scratch_store_b64 off, v[127:128], off offset:296
.LBB62_248:
	s_or_b32 exec_lo, exec_lo, s2
	scratch_load_b64 v[127:128], off, off offset:288
	v_cmp_lt_u32_e64 s0, 36, v0
	s_waitcnt vmcnt(0)
	ds_store_b64 v130, v[127:128]
	s_waitcnt lgkmcnt(0)
	s_waitcnt_vscnt null, 0x0
	s_barrier
	buffer_gl0_inv
	s_and_saveexec_b32 s2, s0
	s_cbranch_execz .LBB62_258
; %bb.249:
	s_and_not1_b32 vcc_lo, exec_lo, s3
	s_cbranch_vccnz .LBB62_251
; %bb.250:
	scratch_load_b64 v[127:128], v131, off
	ds_load_b64 v[150:151], v130
	s_waitcnt vmcnt(0) lgkmcnt(0)
	v_mul_f64 v[127:128], v[127:128], v[150:151]
	s_cbranch_execz .LBB62_252
	s_branch .LBB62_253
.LBB62_251:
                                        ; implicit-def: $vgpr127_vgpr128
.LBB62_252:
	ds_load_b64 v[127:128], v130
.LBB62_253:
	s_and_saveexec_b32 s4, s1
	s_cbranch_execz .LBB62_257
; %bb.254:
	v_mov_b32_e32 v150, 0
	v_subrev_nc_u32_e32 v151, 37, v0
	s_movk_i32 s5, 0x328
	s_mov_b32 s1, 0
	s_delay_alu instid0(VALU_DEP_2)
	v_add_nc_u32_e32 v150, 0x128, v150
.LBB62_255:                             ; =>This Inner Loop Header: Depth=1
	scratch_load_b64 v[152:153], v150, off
	v_dual_mov_b32 v154, s5 :: v_dual_add_nc_u32 v151, -1, v151
	v_add_nc_u32_e32 v150, 8, v150
	s_add_i32 s5, s5, 8
	ds_load_b64 v[154:155], v154
	v_cmp_eq_u32_e32 vcc_lo, 0, v151
	s_or_b32 s1, vcc_lo, s1
	s_waitcnt vmcnt(0) lgkmcnt(0)
	v_fma_f64 v[127:128], v[152:153], v[154:155], v[127:128]
	s_and_not1_b32 exec_lo, exec_lo, s1
	s_cbranch_execnz .LBB62_255
; %bb.256:
	s_or_b32 exec_lo, exec_lo, s1
.LBB62_257:
	s_delay_alu instid0(SALU_CYCLE_1)
	s_or_b32 exec_lo, exec_lo, s4
	v_mov_b32_e32 v150, 0
	ds_load_b64 v[150:151], v150 offset:288
	s_waitcnt lgkmcnt(0)
	v_mul_f64 v[127:128], v[127:128], v[150:151]
	scratch_store_b64 off, v[127:128], off offset:288
.LBB62_258:
	s_or_b32 exec_lo, exec_lo, s2
	scratch_load_b64 v[127:128], off, off offset:280
	v_cmp_lt_u32_e64 s1, 35, v0
	s_waitcnt vmcnt(0)
	ds_store_b64 v130, v[127:128]
	s_waitcnt lgkmcnt(0)
	s_waitcnt_vscnt null, 0x0
	s_barrier
	buffer_gl0_inv
	s_and_saveexec_b32 s2, s1
	s_cbranch_execz .LBB62_268
; %bb.259:
	s_and_not1_b32 vcc_lo, exec_lo, s3
	s_cbranch_vccnz .LBB62_261
; %bb.260:
	scratch_load_b64 v[127:128], v131, off
	ds_load_b64 v[150:151], v130
	s_waitcnt vmcnt(0) lgkmcnt(0)
	v_mul_f64 v[127:128], v[127:128], v[150:151]
	s_cbranch_execz .LBB62_262
	s_branch .LBB62_263
.LBB62_261:
                                        ; implicit-def: $vgpr127_vgpr128
.LBB62_262:
	ds_load_b64 v[127:128], v130
.LBB62_263:
	s_and_saveexec_b32 s4, s0
	s_cbranch_execz .LBB62_267
; %bb.264:
	v_subrev_nc_u32_e32 v150, 36, v0
	s_movk_i32 s5, 0x320
	s_mov_b32 s0, 0
.LBB62_265:                             ; =>This Inner Loop Header: Depth=1
	scratch_load_b64 v[151:152], v149, off
	v_dual_mov_b32 v153, s5 :: v_dual_add_nc_u32 v150, -1, v150
	v_add_nc_u32_e32 v149, 8, v149
	s_add_i32 s5, s5, 8
	ds_load_b64 v[153:154], v153
	v_cmp_eq_u32_e32 vcc_lo, 0, v150
	s_or_b32 s0, vcc_lo, s0
	s_waitcnt vmcnt(0) lgkmcnt(0)
	v_fma_f64 v[127:128], v[151:152], v[153:154], v[127:128]
	s_and_not1_b32 exec_lo, exec_lo, s0
	s_cbranch_execnz .LBB62_265
; %bb.266:
	s_or_b32 exec_lo, exec_lo, s0
.LBB62_267:
	s_delay_alu instid0(SALU_CYCLE_1)
	s_or_b32 exec_lo, exec_lo, s4
	v_mov_b32_e32 v149, 0
	ds_load_b64 v[149:150], v149 offset:280
	s_waitcnt lgkmcnt(0)
	v_mul_f64 v[127:128], v[127:128], v[149:150]
	scratch_store_b64 off, v[127:128], off offset:280
.LBB62_268:
	s_or_b32 exec_lo, exec_lo, s2
	scratch_load_b64 v[127:128], off, off offset:272
	v_cmp_lt_u32_e64 s0, 34, v0
	s_waitcnt vmcnt(0)
	ds_store_b64 v130, v[127:128]
	s_waitcnt lgkmcnt(0)
	s_waitcnt_vscnt null, 0x0
	s_barrier
	buffer_gl0_inv
	s_and_saveexec_b32 s2, s0
	s_cbranch_execz .LBB62_278
; %bb.269:
	s_and_not1_b32 vcc_lo, exec_lo, s3
	s_cbranch_vccnz .LBB62_271
; %bb.270:
	scratch_load_b64 v[127:128], v131, off
	ds_load_b64 v[149:150], v130
	s_waitcnt vmcnt(0) lgkmcnt(0)
	v_mul_f64 v[127:128], v[127:128], v[149:150]
	s_cbranch_execz .LBB62_272
	s_branch .LBB62_273
.LBB62_271:
                                        ; implicit-def: $vgpr127_vgpr128
.LBB62_272:
	ds_load_b64 v[127:128], v130
.LBB62_273:
	s_and_saveexec_b32 s4, s1
	s_cbranch_execz .LBB62_277
; %bb.274:
	v_mov_b32_e32 v149, 0
	v_subrev_nc_u32_e32 v150, 35, v0
	s_movk_i32 s5, 0x318
	s_mov_b32 s1, 0
	s_delay_alu instid0(VALU_DEP_2)
	v_add_nc_u32_e32 v149, 0x118, v149
.LBB62_275:                             ; =>This Inner Loop Header: Depth=1
	scratch_load_b64 v[151:152], v149, off
	v_dual_mov_b32 v153, s5 :: v_dual_add_nc_u32 v150, -1, v150
	v_add_nc_u32_e32 v149, 8, v149
	s_add_i32 s5, s5, 8
	ds_load_b64 v[153:154], v153
	v_cmp_eq_u32_e32 vcc_lo, 0, v150
	s_or_b32 s1, vcc_lo, s1
	s_waitcnt vmcnt(0) lgkmcnt(0)
	v_fma_f64 v[127:128], v[151:152], v[153:154], v[127:128]
	s_and_not1_b32 exec_lo, exec_lo, s1
	s_cbranch_execnz .LBB62_275
; %bb.276:
	s_or_b32 exec_lo, exec_lo, s1
.LBB62_277:
	s_delay_alu instid0(SALU_CYCLE_1)
	s_or_b32 exec_lo, exec_lo, s4
	v_mov_b32_e32 v149, 0
	ds_load_b64 v[149:150], v149 offset:272
	s_waitcnt lgkmcnt(0)
	v_mul_f64 v[127:128], v[127:128], v[149:150]
	scratch_store_b64 off, v[127:128], off offset:272
.LBB62_278:
	s_or_b32 exec_lo, exec_lo, s2
	scratch_load_b64 v[127:128], off, off offset:264
	v_cmp_lt_u32_e64 s1, 33, v0
	s_waitcnt vmcnt(0)
	ds_store_b64 v130, v[127:128]
	s_waitcnt lgkmcnt(0)
	s_waitcnt_vscnt null, 0x0
	s_barrier
	buffer_gl0_inv
	s_and_saveexec_b32 s2, s1
	s_cbranch_execz .LBB62_288
; %bb.279:
	s_and_not1_b32 vcc_lo, exec_lo, s3
	s_cbranch_vccnz .LBB62_281
; %bb.280:
	scratch_load_b64 v[127:128], v131, off
	ds_load_b64 v[149:150], v130
	s_waitcnt vmcnt(0) lgkmcnt(0)
	v_mul_f64 v[127:128], v[127:128], v[149:150]
	s_cbranch_execz .LBB62_282
	s_branch .LBB62_283
.LBB62_281:
                                        ; implicit-def: $vgpr127_vgpr128
.LBB62_282:
	ds_load_b64 v[127:128], v130
.LBB62_283:
	s_and_saveexec_b32 s4, s0
	s_cbranch_execz .LBB62_287
; %bb.284:
	v_subrev_nc_u32_e32 v149, 34, v0
	s_movk_i32 s5, 0x310
	s_mov_b32 s0, 0
.LBB62_285:                             ; =>This Inner Loop Header: Depth=1
	scratch_load_b64 v[150:151], v148, off
	v_dual_mov_b32 v152, s5 :: v_dual_add_nc_u32 v149, -1, v149
	v_add_nc_u32_e32 v148, 8, v148
	s_add_i32 s5, s5, 8
	ds_load_b64 v[152:153], v152
	v_cmp_eq_u32_e32 vcc_lo, 0, v149
	s_or_b32 s0, vcc_lo, s0
	s_waitcnt vmcnt(0) lgkmcnt(0)
	v_fma_f64 v[127:128], v[150:151], v[152:153], v[127:128]
	s_and_not1_b32 exec_lo, exec_lo, s0
	s_cbranch_execnz .LBB62_285
; %bb.286:
	s_or_b32 exec_lo, exec_lo, s0
.LBB62_287:
	s_delay_alu instid0(SALU_CYCLE_1)
	s_or_b32 exec_lo, exec_lo, s4
	v_mov_b32_e32 v148, 0
	ds_load_b64 v[148:149], v148 offset:264
	s_waitcnt lgkmcnt(0)
	v_mul_f64 v[127:128], v[127:128], v[148:149]
	scratch_store_b64 off, v[127:128], off offset:264
.LBB62_288:
	s_or_b32 exec_lo, exec_lo, s2
	scratch_load_b64 v[127:128], off, off offset:256
	v_cmp_lt_u32_e64 s0, 32, v0
	s_waitcnt vmcnt(0)
	ds_store_b64 v130, v[127:128]
	s_waitcnt lgkmcnt(0)
	s_waitcnt_vscnt null, 0x0
	s_barrier
	buffer_gl0_inv
	s_and_saveexec_b32 s2, s0
	s_cbranch_execz .LBB62_298
; %bb.289:
	s_and_not1_b32 vcc_lo, exec_lo, s3
	s_cbranch_vccnz .LBB62_291
; %bb.290:
	scratch_load_b64 v[127:128], v131, off
	ds_load_b64 v[148:149], v130
	s_waitcnt vmcnt(0) lgkmcnt(0)
	v_mul_f64 v[127:128], v[127:128], v[148:149]
	s_cbranch_execz .LBB62_292
	s_branch .LBB62_293
.LBB62_291:
                                        ; implicit-def: $vgpr127_vgpr128
.LBB62_292:
	ds_load_b64 v[127:128], v130
.LBB62_293:
	s_and_saveexec_b32 s4, s1
	s_cbranch_execz .LBB62_297
; %bb.294:
	v_mov_b32_e32 v148, 0
	v_subrev_nc_u32_e32 v149, 33, v0
	s_movk_i32 s5, 0x308
	s_mov_b32 s1, 0
	s_delay_alu instid0(VALU_DEP_2)
	v_add_nc_u32_e32 v148, 0x108, v148
.LBB62_295:                             ; =>This Inner Loop Header: Depth=1
	scratch_load_b64 v[150:151], v148, off
	v_dual_mov_b32 v152, s5 :: v_dual_add_nc_u32 v149, -1, v149
	v_add_nc_u32_e32 v148, 8, v148
	s_add_i32 s5, s5, 8
	ds_load_b64 v[152:153], v152
	v_cmp_eq_u32_e32 vcc_lo, 0, v149
	s_or_b32 s1, vcc_lo, s1
	s_waitcnt vmcnt(0) lgkmcnt(0)
	v_fma_f64 v[127:128], v[150:151], v[152:153], v[127:128]
	s_and_not1_b32 exec_lo, exec_lo, s1
	s_cbranch_execnz .LBB62_295
; %bb.296:
	s_or_b32 exec_lo, exec_lo, s1
.LBB62_297:
	s_delay_alu instid0(SALU_CYCLE_1)
	s_or_b32 exec_lo, exec_lo, s4
	v_mov_b32_e32 v148, 0
	ds_load_b64 v[148:149], v148 offset:256
	s_waitcnt lgkmcnt(0)
	v_mul_f64 v[127:128], v[127:128], v[148:149]
	scratch_store_b64 off, v[127:128], off offset:256
.LBB62_298:
	s_or_b32 exec_lo, exec_lo, s2
	scratch_load_b64 v[127:128], off, off offset:248
	v_cmp_lt_u32_e64 s1, 31, v0
	s_waitcnt vmcnt(0)
	ds_store_b64 v130, v[127:128]
	s_waitcnt lgkmcnt(0)
	s_waitcnt_vscnt null, 0x0
	s_barrier
	buffer_gl0_inv
	s_and_saveexec_b32 s2, s1
	s_cbranch_execz .LBB62_308
; %bb.299:
	s_and_not1_b32 vcc_lo, exec_lo, s3
	s_cbranch_vccnz .LBB62_301
; %bb.300:
	scratch_load_b64 v[127:128], v131, off
	ds_load_b64 v[148:149], v130
	s_waitcnt vmcnt(0) lgkmcnt(0)
	v_mul_f64 v[127:128], v[127:128], v[148:149]
	s_cbranch_execz .LBB62_302
	s_branch .LBB62_303
.LBB62_301:
                                        ; implicit-def: $vgpr127_vgpr128
.LBB62_302:
	ds_load_b64 v[127:128], v130
.LBB62_303:
	s_and_saveexec_b32 s4, s0
	s_cbranch_execz .LBB62_307
; %bb.304:
	v_subrev_nc_u32_e32 v148, 32, v0
	s_movk_i32 s5, 0x300
	s_mov_b32 s0, 0
.LBB62_305:                             ; =>This Inner Loop Header: Depth=1
	scratch_load_b64 v[149:150], v147, off
	v_dual_mov_b32 v151, s5 :: v_dual_add_nc_u32 v148, -1, v148
	v_add_nc_u32_e32 v147, 8, v147
	s_add_i32 s5, s5, 8
	ds_load_b64 v[151:152], v151
	v_cmp_eq_u32_e32 vcc_lo, 0, v148
	s_or_b32 s0, vcc_lo, s0
	s_waitcnt vmcnt(0) lgkmcnt(0)
	v_fma_f64 v[127:128], v[149:150], v[151:152], v[127:128]
	s_and_not1_b32 exec_lo, exec_lo, s0
	s_cbranch_execnz .LBB62_305
; %bb.306:
	s_or_b32 exec_lo, exec_lo, s0
.LBB62_307:
	s_delay_alu instid0(SALU_CYCLE_1)
	s_or_b32 exec_lo, exec_lo, s4
	v_mov_b32_e32 v147, 0
	ds_load_b64 v[147:148], v147 offset:248
	s_waitcnt lgkmcnt(0)
	v_mul_f64 v[127:128], v[127:128], v[147:148]
	scratch_store_b64 off, v[127:128], off offset:248
.LBB62_308:
	s_or_b32 exec_lo, exec_lo, s2
	scratch_load_b64 v[127:128], off, off offset:240
	v_cmp_lt_u32_e64 s0, 30, v0
	s_waitcnt vmcnt(0)
	ds_store_b64 v130, v[127:128]
	s_waitcnt lgkmcnt(0)
	s_waitcnt_vscnt null, 0x0
	s_barrier
	buffer_gl0_inv
	s_and_saveexec_b32 s2, s0
	s_cbranch_execz .LBB62_318
; %bb.309:
	s_and_not1_b32 vcc_lo, exec_lo, s3
	s_cbranch_vccnz .LBB62_311
; %bb.310:
	scratch_load_b64 v[127:128], v131, off
	ds_load_b64 v[147:148], v130
	s_waitcnt vmcnt(0) lgkmcnt(0)
	v_mul_f64 v[127:128], v[127:128], v[147:148]
	s_cbranch_execz .LBB62_312
	s_branch .LBB62_313
.LBB62_311:
                                        ; implicit-def: $vgpr127_vgpr128
.LBB62_312:
	ds_load_b64 v[127:128], v130
.LBB62_313:
	s_and_saveexec_b32 s4, s1
	s_cbranch_execz .LBB62_317
; %bb.314:
	v_mov_b32_e32 v147, 0
	v_subrev_nc_u32_e32 v148, 31, v0
	s_movk_i32 s5, 0x2f8
	s_mov_b32 s1, 0
	s_delay_alu instid0(VALU_DEP_2)
	v_add_nc_u32_e32 v147, 0xf8, v147
.LBB62_315:                             ; =>This Inner Loop Header: Depth=1
	scratch_load_b64 v[149:150], v147, off
	v_dual_mov_b32 v151, s5 :: v_dual_add_nc_u32 v148, -1, v148
	v_add_nc_u32_e32 v147, 8, v147
	s_add_i32 s5, s5, 8
	ds_load_b64 v[151:152], v151
	v_cmp_eq_u32_e32 vcc_lo, 0, v148
	s_or_b32 s1, vcc_lo, s1
	s_waitcnt vmcnt(0) lgkmcnt(0)
	v_fma_f64 v[127:128], v[149:150], v[151:152], v[127:128]
	s_and_not1_b32 exec_lo, exec_lo, s1
	s_cbranch_execnz .LBB62_315
; %bb.316:
	s_or_b32 exec_lo, exec_lo, s1
.LBB62_317:
	s_delay_alu instid0(SALU_CYCLE_1)
	s_or_b32 exec_lo, exec_lo, s4
	v_mov_b32_e32 v147, 0
	ds_load_b64 v[147:148], v147 offset:240
	s_waitcnt lgkmcnt(0)
	v_mul_f64 v[127:128], v[127:128], v[147:148]
	scratch_store_b64 off, v[127:128], off offset:240
.LBB62_318:
	s_or_b32 exec_lo, exec_lo, s2
	scratch_load_b64 v[127:128], off, off offset:232
	v_cmp_lt_u32_e64 s1, 29, v0
	s_waitcnt vmcnt(0)
	ds_store_b64 v130, v[127:128]
	s_waitcnt lgkmcnt(0)
	s_waitcnt_vscnt null, 0x0
	s_barrier
	buffer_gl0_inv
	s_and_saveexec_b32 s2, s1
	s_cbranch_execz .LBB62_328
; %bb.319:
	s_and_not1_b32 vcc_lo, exec_lo, s3
	s_cbranch_vccnz .LBB62_321
; %bb.320:
	scratch_load_b64 v[127:128], v131, off
	ds_load_b64 v[147:148], v130
	s_waitcnt vmcnt(0) lgkmcnt(0)
	v_mul_f64 v[127:128], v[127:128], v[147:148]
	s_cbranch_execz .LBB62_322
	s_branch .LBB62_323
.LBB62_321:
                                        ; implicit-def: $vgpr127_vgpr128
.LBB62_322:
	ds_load_b64 v[127:128], v130
.LBB62_323:
	s_and_saveexec_b32 s4, s0
	s_cbranch_execz .LBB62_327
; %bb.324:
	v_subrev_nc_u32_e32 v147, 30, v0
	s_movk_i32 s5, 0x2f0
	s_mov_b32 s0, 0
.LBB62_325:                             ; =>This Inner Loop Header: Depth=1
	scratch_load_b64 v[148:149], v146, off
	v_dual_mov_b32 v150, s5 :: v_dual_add_nc_u32 v147, -1, v147
	v_add_nc_u32_e32 v146, 8, v146
	s_add_i32 s5, s5, 8
	ds_load_b64 v[150:151], v150
	v_cmp_eq_u32_e32 vcc_lo, 0, v147
	s_or_b32 s0, vcc_lo, s0
	s_waitcnt vmcnt(0) lgkmcnt(0)
	v_fma_f64 v[127:128], v[148:149], v[150:151], v[127:128]
	s_and_not1_b32 exec_lo, exec_lo, s0
	s_cbranch_execnz .LBB62_325
; %bb.326:
	s_or_b32 exec_lo, exec_lo, s0
.LBB62_327:
	s_delay_alu instid0(SALU_CYCLE_1)
	s_or_b32 exec_lo, exec_lo, s4
	v_mov_b32_e32 v146, 0
	ds_load_b64 v[146:147], v146 offset:232
	s_waitcnt lgkmcnt(0)
	v_mul_f64 v[127:128], v[127:128], v[146:147]
	scratch_store_b64 off, v[127:128], off offset:232
.LBB62_328:
	s_or_b32 exec_lo, exec_lo, s2
	scratch_load_b64 v[127:128], off, off offset:224
	v_cmp_lt_u32_e64 s0, 28, v0
	s_waitcnt vmcnt(0)
	ds_store_b64 v130, v[127:128]
	s_waitcnt lgkmcnt(0)
	s_waitcnt_vscnt null, 0x0
	s_barrier
	buffer_gl0_inv
	s_and_saveexec_b32 s2, s0
	s_cbranch_execz .LBB62_338
; %bb.329:
	s_and_not1_b32 vcc_lo, exec_lo, s3
	s_cbranch_vccnz .LBB62_331
; %bb.330:
	scratch_load_b64 v[127:128], v131, off
	ds_load_b64 v[146:147], v130
	s_waitcnt vmcnt(0) lgkmcnt(0)
	v_mul_f64 v[127:128], v[127:128], v[146:147]
	s_cbranch_execz .LBB62_332
	s_branch .LBB62_333
.LBB62_331:
                                        ; implicit-def: $vgpr127_vgpr128
.LBB62_332:
	ds_load_b64 v[127:128], v130
.LBB62_333:
	s_and_saveexec_b32 s4, s1
	s_cbranch_execz .LBB62_337
; %bb.334:
	v_mov_b32_e32 v146, 0
	v_subrev_nc_u32_e32 v147, 29, v0
	s_movk_i32 s5, 0x2e8
	s_mov_b32 s1, 0
	s_delay_alu instid0(VALU_DEP_2)
	v_add_nc_u32_e32 v146, 0xe8, v146
.LBB62_335:                             ; =>This Inner Loop Header: Depth=1
	scratch_load_b64 v[148:149], v146, off
	v_dual_mov_b32 v150, s5 :: v_dual_add_nc_u32 v147, -1, v147
	v_add_nc_u32_e32 v146, 8, v146
	s_add_i32 s5, s5, 8
	ds_load_b64 v[150:151], v150
	v_cmp_eq_u32_e32 vcc_lo, 0, v147
	s_or_b32 s1, vcc_lo, s1
	s_waitcnt vmcnt(0) lgkmcnt(0)
	v_fma_f64 v[127:128], v[148:149], v[150:151], v[127:128]
	s_and_not1_b32 exec_lo, exec_lo, s1
	s_cbranch_execnz .LBB62_335
; %bb.336:
	s_or_b32 exec_lo, exec_lo, s1
.LBB62_337:
	s_delay_alu instid0(SALU_CYCLE_1)
	s_or_b32 exec_lo, exec_lo, s4
	v_mov_b32_e32 v146, 0
	ds_load_b64 v[146:147], v146 offset:224
	s_waitcnt lgkmcnt(0)
	v_mul_f64 v[127:128], v[127:128], v[146:147]
	scratch_store_b64 off, v[127:128], off offset:224
.LBB62_338:
	s_or_b32 exec_lo, exec_lo, s2
	scratch_load_b64 v[127:128], off, off offset:216
	v_cmp_lt_u32_e64 s1, 27, v0
	s_waitcnt vmcnt(0)
	ds_store_b64 v130, v[127:128]
	s_waitcnt lgkmcnt(0)
	s_waitcnt_vscnt null, 0x0
	s_barrier
	buffer_gl0_inv
	s_and_saveexec_b32 s2, s1
	s_cbranch_execz .LBB62_348
; %bb.339:
	s_and_not1_b32 vcc_lo, exec_lo, s3
	s_cbranch_vccnz .LBB62_341
; %bb.340:
	scratch_load_b64 v[127:128], v131, off
	ds_load_b64 v[146:147], v130
	s_waitcnt vmcnt(0) lgkmcnt(0)
	v_mul_f64 v[127:128], v[127:128], v[146:147]
	s_cbranch_execz .LBB62_342
	s_branch .LBB62_343
.LBB62_341:
                                        ; implicit-def: $vgpr127_vgpr128
.LBB62_342:
	ds_load_b64 v[127:128], v130
.LBB62_343:
	s_and_saveexec_b32 s4, s0
	s_cbranch_execz .LBB62_347
; %bb.344:
	v_subrev_nc_u32_e32 v146, 28, v0
	s_movk_i32 s5, 0x2e0
	s_mov_b32 s0, 0
.LBB62_345:                             ; =>This Inner Loop Header: Depth=1
	scratch_load_b64 v[147:148], v145, off
	v_dual_mov_b32 v149, s5 :: v_dual_add_nc_u32 v146, -1, v146
	v_add_nc_u32_e32 v145, 8, v145
	s_add_i32 s5, s5, 8
	ds_load_b64 v[149:150], v149
	v_cmp_eq_u32_e32 vcc_lo, 0, v146
	s_or_b32 s0, vcc_lo, s0
	s_waitcnt vmcnt(0) lgkmcnt(0)
	v_fma_f64 v[127:128], v[147:148], v[149:150], v[127:128]
	s_and_not1_b32 exec_lo, exec_lo, s0
	s_cbranch_execnz .LBB62_345
; %bb.346:
	s_or_b32 exec_lo, exec_lo, s0
.LBB62_347:
	s_delay_alu instid0(SALU_CYCLE_1)
	s_or_b32 exec_lo, exec_lo, s4
	v_mov_b32_e32 v145, 0
	ds_load_b64 v[145:146], v145 offset:216
	s_waitcnt lgkmcnt(0)
	v_mul_f64 v[127:128], v[127:128], v[145:146]
	scratch_store_b64 off, v[127:128], off offset:216
.LBB62_348:
	s_or_b32 exec_lo, exec_lo, s2
	scratch_load_b64 v[127:128], off, off offset:208
	v_cmp_lt_u32_e64 s0, 26, v0
	s_waitcnt vmcnt(0)
	ds_store_b64 v130, v[127:128]
	s_waitcnt lgkmcnt(0)
	s_waitcnt_vscnt null, 0x0
	s_barrier
	buffer_gl0_inv
	s_and_saveexec_b32 s2, s0
	s_cbranch_execz .LBB62_358
; %bb.349:
	s_and_not1_b32 vcc_lo, exec_lo, s3
	s_cbranch_vccnz .LBB62_351
; %bb.350:
	scratch_load_b64 v[127:128], v131, off
	ds_load_b64 v[145:146], v130
	s_waitcnt vmcnt(0) lgkmcnt(0)
	v_mul_f64 v[127:128], v[127:128], v[145:146]
	s_cbranch_execz .LBB62_352
	s_branch .LBB62_353
.LBB62_351:
                                        ; implicit-def: $vgpr127_vgpr128
.LBB62_352:
	ds_load_b64 v[127:128], v130
.LBB62_353:
	s_and_saveexec_b32 s4, s1
	s_cbranch_execz .LBB62_357
; %bb.354:
	v_mov_b32_e32 v145, 0
	v_subrev_nc_u32_e32 v146, 27, v0
	s_movk_i32 s5, 0x2d8
	s_mov_b32 s1, 0
	s_delay_alu instid0(VALU_DEP_2)
	v_add_nc_u32_e32 v145, 0xd8, v145
.LBB62_355:                             ; =>This Inner Loop Header: Depth=1
	scratch_load_b64 v[147:148], v145, off
	v_dual_mov_b32 v149, s5 :: v_dual_add_nc_u32 v146, -1, v146
	v_add_nc_u32_e32 v145, 8, v145
	s_add_i32 s5, s5, 8
	ds_load_b64 v[149:150], v149
	v_cmp_eq_u32_e32 vcc_lo, 0, v146
	s_or_b32 s1, vcc_lo, s1
	s_waitcnt vmcnt(0) lgkmcnt(0)
	v_fma_f64 v[127:128], v[147:148], v[149:150], v[127:128]
	s_and_not1_b32 exec_lo, exec_lo, s1
	s_cbranch_execnz .LBB62_355
; %bb.356:
	s_or_b32 exec_lo, exec_lo, s1
.LBB62_357:
	s_delay_alu instid0(SALU_CYCLE_1)
	s_or_b32 exec_lo, exec_lo, s4
	v_mov_b32_e32 v145, 0
	ds_load_b64 v[145:146], v145 offset:208
	s_waitcnt lgkmcnt(0)
	v_mul_f64 v[127:128], v[127:128], v[145:146]
	scratch_store_b64 off, v[127:128], off offset:208
.LBB62_358:
	s_or_b32 exec_lo, exec_lo, s2
	scratch_load_b64 v[127:128], off, off offset:200
	v_cmp_lt_u32_e64 s1, 25, v0
	s_waitcnt vmcnt(0)
	ds_store_b64 v130, v[127:128]
	s_waitcnt lgkmcnt(0)
	s_waitcnt_vscnt null, 0x0
	s_barrier
	buffer_gl0_inv
	s_and_saveexec_b32 s2, s1
	s_cbranch_execz .LBB62_368
; %bb.359:
	s_and_not1_b32 vcc_lo, exec_lo, s3
	s_cbranch_vccnz .LBB62_361
; %bb.360:
	scratch_load_b64 v[127:128], v131, off
	ds_load_b64 v[145:146], v130
	s_waitcnt vmcnt(0) lgkmcnt(0)
	v_mul_f64 v[127:128], v[127:128], v[145:146]
	s_cbranch_execz .LBB62_362
	s_branch .LBB62_363
.LBB62_361:
                                        ; implicit-def: $vgpr127_vgpr128
.LBB62_362:
	ds_load_b64 v[127:128], v130
.LBB62_363:
	s_and_saveexec_b32 s4, s0
	s_cbranch_execz .LBB62_367
; %bb.364:
	v_subrev_nc_u32_e32 v145, 26, v0
	s_movk_i32 s5, 0x2d0
	s_mov_b32 s0, 0
.LBB62_365:                             ; =>This Inner Loop Header: Depth=1
	scratch_load_b64 v[146:147], v144, off
	v_dual_mov_b32 v148, s5 :: v_dual_add_nc_u32 v145, -1, v145
	v_add_nc_u32_e32 v144, 8, v144
	s_add_i32 s5, s5, 8
	ds_load_b64 v[148:149], v148
	v_cmp_eq_u32_e32 vcc_lo, 0, v145
	s_or_b32 s0, vcc_lo, s0
	s_waitcnt vmcnt(0) lgkmcnt(0)
	v_fma_f64 v[127:128], v[146:147], v[148:149], v[127:128]
	s_and_not1_b32 exec_lo, exec_lo, s0
	s_cbranch_execnz .LBB62_365
; %bb.366:
	s_or_b32 exec_lo, exec_lo, s0
.LBB62_367:
	s_delay_alu instid0(SALU_CYCLE_1)
	s_or_b32 exec_lo, exec_lo, s4
	v_mov_b32_e32 v144, 0
	ds_load_b64 v[144:145], v144 offset:200
	s_waitcnt lgkmcnt(0)
	v_mul_f64 v[127:128], v[127:128], v[144:145]
	scratch_store_b64 off, v[127:128], off offset:200
.LBB62_368:
	s_or_b32 exec_lo, exec_lo, s2
	scratch_load_b64 v[127:128], off, off offset:192
	v_cmp_lt_u32_e64 s0, 24, v0
	s_waitcnt vmcnt(0)
	ds_store_b64 v130, v[127:128]
	s_waitcnt lgkmcnt(0)
	s_waitcnt_vscnt null, 0x0
	s_barrier
	buffer_gl0_inv
	s_and_saveexec_b32 s2, s0
	s_cbranch_execz .LBB62_378
; %bb.369:
	s_and_not1_b32 vcc_lo, exec_lo, s3
	s_cbranch_vccnz .LBB62_371
; %bb.370:
	scratch_load_b64 v[127:128], v131, off
	ds_load_b64 v[144:145], v130
	s_waitcnt vmcnt(0) lgkmcnt(0)
	v_mul_f64 v[127:128], v[127:128], v[144:145]
	s_cbranch_execz .LBB62_372
	s_branch .LBB62_373
.LBB62_371:
                                        ; implicit-def: $vgpr127_vgpr128
.LBB62_372:
	ds_load_b64 v[127:128], v130
.LBB62_373:
	s_and_saveexec_b32 s4, s1
	s_cbranch_execz .LBB62_377
; %bb.374:
	v_mov_b32_e32 v144, 0
	v_subrev_nc_u32_e32 v145, 25, v0
	s_movk_i32 s5, 0x2c8
	s_mov_b32 s1, 0
	s_delay_alu instid0(VALU_DEP_2)
	v_add_nc_u32_e32 v144, 0xc8, v144
.LBB62_375:                             ; =>This Inner Loop Header: Depth=1
	scratch_load_b64 v[146:147], v144, off
	v_dual_mov_b32 v148, s5 :: v_dual_add_nc_u32 v145, -1, v145
	v_add_nc_u32_e32 v144, 8, v144
	s_add_i32 s5, s5, 8
	ds_load_b64 v[148:149], v148
	v_cmp_eq_u32_e32 vcc_lo, 0, v145
	s_or_b32 s1, vcc_lo, s1
	s_waitcnt vmcnt(0) lgkmcnt(0)
	v_fma_f64 v[127:128], v[146:147], v[148:149], v[127:128]
	s_and_not1_b32 exec_lo, exec_lo, s1
	s_cbranch_execnz .LBB62_375
; %bb.376:
	s_or_b32 exec_lo, exec_lo, s1
.LBB62_377:
	s_delay_alu instid0(SALU_CYCLE_1)
	s_or_b32 exec_lo, exec_lo, s4
	v_mov_b32_e32 v144, 0
	ds_load_b64 v[144:145], v144 offset:192
	s_waitcnt lgkmcnt(0)
	v_mul_f64 v[127:128], v[127:128], v[144:145]
	scratch_store_b64 off, v[127:128], off offset:192
.LBB62_378:
	s_or_b32 exec_lo, exec_lo, s2
	scratch_load_b64 v[127:128], off, off offset:184
	v_cmp_lt_u32_e64 s1, 23, v0
	s_waitcnt vmcnt(0)
	ds_store_b64 v130, v[127:128]
	s_waitcnt lgkmcnt(0)
	s_waitcnt_vscnt null, 0x0
	s_barrier
	buffer_gl0_inv
	s_and_saveexec_b32 s2, s1
	s_cbranch_execz .LBB62_388
; %bb.379:
	s_and_not1_b32 vcc_lo, exec_lo, s3
	s_cbranch_vccnz .LBB62_381
; %bb.380:
	scratch_load_b64 v[127:128], v131, off
	ds_load_b64 v[144:145], v130
	s_waitcnt vmcnt(0) lgkmcnt(0)
	v_mul_f64 v[127:128], v[127:128], v[144:145]
	s_cbranch_execz .LBB62_382
	s_branch .LBB62_383
.LBB62_381:
                                        ; implicit-def: $vgpr127_vgpr128
.LBB62_382:
	ds_load_b64 v[127:128], v130
.LBB62_383:
	s_and_saveexec_b32 s4, s0
	s_cbranch_execz .LBB62_387
; %bb.384:
	v_subrev_nc_u32_e32 v144, 24, v0
	s_movk_i32 s5, 0x2c0
	s_mov_b32 s0, 0
.LBB62_385:                             ; =>This Inner Loop Header: Depth=1
	scratch_load_b64 v[145:146], v143, off
	v_dual_mov_b32 v147, s5 :: v_dual_add_nc_u32 v144, -1, v144
	v_add_nc_u32_e32 v143, 8, v143
	s_add_i32 s5, s5, 8
	ds_load_b64 v[147:148], v147
	v_cmp_eq_u32_e32 vcc_lo, 0, v144
	s_or_b32 s0, vcc_lo, s0
	s_waitcnt vmcnt(0) lgkmcnt(0)
	v_fma_f64 v[127:128], v[145:146], v[147:148], v[127:128]
	s_and_not1_b32 exec_lo, exec_lo, s0
	s_cbranch_execnz .LBB62_385
; %bb.386:
	s_or_b32 exec_lo, exec_lo, s0
.LBB62_387:
	s_delay_alu instid0(SALU_CYCLE_1)
	s_or_b32 exec_lo, exec_lo, s4
	v_mov_b32_e32 v143, 0
	ds_load_b64 v[143:144], v143 offset:184
	s_waitcnt lgkmcnt(0)
	v_mul_f64 v[127:128], v[127:128], v[143:144]
	scratch_store_b64 off, v[127:128], off offset:184
.LBB62_388:
	s_or_b32 exec_lo, exec_lo, s2
	scratch_load_b64 v[127:128], off, off offset:176
	v_cmp_lt_u32_e64 s0, 22, v0
	s_waitcnt vmcnt(0)
	ds_store_b64 v130, v[127:128]
	s_waitcnt lgkmcnt(0)
	s_waitcnt_vscnt null, 0x0
	s_barrier
	buffer_gl0_inv
	s_and_saveexec_b32 s2, s0
	s_cbranch_execz .LBB62_398
; %bb.389:
	s_and_not1_b32 vcc_lo, exec_lo, s3
	s_cbranch_vccnz .LBB62_391
; %bb.390:
	scratch_load_b64 v[127:128], v131, off
	ds_load_b64 v[143:144], v130
	s_waitcnt vmcnt(0) lgkmcnt(0)
	v_mul_f64 v[127:128], v[127:128], v[143:144]
	s_cbranch_execz .LBB62_392
	s_branch .LBB62_393
.LBB62_391:
                                        ; implicit-def: $vgpr127_vgpr128
.LBB62_392:
	ds_load_b64 v[127:128], v130
.LBB62_393:
	s_and_saveexec_b32 s4, s1
	s_cbranch_execz .LBB62_397
; %bb.394:
	v_mov_b32_e32 v143, 0
	v_subrev_nc_u32_e32 v144, 23, v0
	s_movk_i32 s5, 0x2b8
	s_mov_b32 s1, 0
	s_delay_alu instid0(VALU_DEP_2)
	v_add_nc_u32_e32 v143, 0xb8, v143
.LBB62_395:                             ; =>This Inner Loop Header: Depth=1
	scratch_load_b64 v[145:146], v143, off
	v_dual_mov_b32 v147, s5 :: v_dual_add_nc_u32 v144, -1, v144
	v_add_nc_u32_e32 v143, 8, v143
	s_add_i32 s5, s5, 8
	ds_load_b64 v[147:148], v147
	v_cmp_eq_u32_e32 vcc_lo, 0, v144
	s_or_b32 s1, vcc_lo, s1
	s_waitcnt vmcnt(0) lgkmcnt(0)
	v_fma_f64 v[127:128], v[145:146], v[147:148], v[127:128]
	s_and_not1_b32 exec_lo, exec_lo, s1
	s_cbranch_execnz .LBB62_395
; %bb.396:
	s_or_b32 exec_lo, exec_lo, s1
.LBB62_397:
	s_delay_alu instid0(SALU_CYCLE_1)
	s_or_b32 exec_lo, exec_lo, s4
	v_mov_b32_e32 v143, 0
	ds_load_b64 v[143:144], v143 offset:176
	s_waitcnt lgkmcnt(0)
	v_mul_f64 v[127:128], v[127:128], v[143:144]
	scratch_store_b64 off, v[127:128], off offset:176
.LBB62_398:
	s_or_b32 exec_lo, exec_lo, s2
	scratch_load_b64 v[127:128], off, off offset:168
	v_cmp_lt_u32_e64 s1, 21, v0
	s_waitcnt vmcnt(0)
	ds_store_b64 v130, v[127:128]
	s_waitcnt lgkmcnt(0)
	s_waitcnt_vscnt null, 0x0
	s_barrier
	buffer_gl0_inv
	s_and_saveexec_b32 s2, s1
	s_cbranch_execz .LBB62_408
; %bb.399:
	s_and_not1_b32 vcc_lo, exec_lo, s3
	s_cbranch_vccnz .LBB62_401
; %bb.400:
	scratch_load_b64 v[127:128], v131, off
	ds_load_b64 v[143:144], v130
	s_waitcnt vmcnt(0) lgkmcnt(0)
	v_mul_f64 v[127:128], v[127:128], v[143:144]
	s_cbranch_execz .LBB62_402
	s_branch .LBB62_403
.LBB62_401:
                                        ; implicit-def: $vgpr127_vgpr128
.LBB62_402:
	ds_load_b64 v[127:128], v130
.LBB62_403:
	s_and_saveexec_b32 s4, s0
	s_cbranch_execz .LBB62_407
; %bb.404:
	v_subrev_nc_u32_e32 v143, 22, v0
	s_movk_i32 s5, 0x2b0
	s_mov_b32 s0, 0
.LBB62_405:                             ; =>This Inner Loop Header: Depth=1
	scratch_load_b64 v[144:145], v142, off
	v_dual_mov_b32 v146, s5 :: v_dual_add_nc_u32 v143, -1, v143
	v_add_nc_u32_e32 v142, 8, v142
	s_add_i32 s5, s5, 8
	ds_load_b64 v[146:147], v146
	v_cmp_eq_u32_e32 vcc_lo, 0, v143
	s_or_b32 s0, vcc_lo, s0
	s_waitcnt vmcnt(0) lgkmcnt(0)
	v_fma_f64 v[127:128], v[144:145], v[146:147], v[127:128]
	s_and_not1_b32 exec_lo, exec_lo, s0
	s_cbranch_execnz .LBB62_405
; %bb.406:
	s_or_b32 exec_lo, exec_lo, s0
.LBB62_407:
	s_delay_alu instid0(SALU_CYCLE_1)
	s_or_b32 exec_lo, exec_lo, s4
	v_mov_b32_e32 v142, 0
	ds_load_b64 v[142:143], v142 offset:168
	s_waitcnt lgkmcnt(0)
	v_mul_f64 v[127:128], v[127:128], v[142:143]
	scratch_store_b64 off, v[127:128], off offset:168
.LBB62_408:
	s_or_b32 exec_lo, exec_lo, s2
	scratch_load_b64 v[127:128], off, off offset:160
	v_cmp_lt_u32_e64 s0, 20, v0
	s_waitcnt vmcnt(0)
	ds_store_b64 v130, v[127:128]
	s_waitcnt lgkmcnt(0)
	s_waitcnt_vscnt null, 0x0
	s_barrier
	buffer_gl0_inv
	s_and_saveexec_b32 s2, s0
	s_cbranch_execz .LBB62_418
; %bb.409:
	s_and_not1_b32 vcc_lo, exec_lo, s3
	s_cbranch_vccnz .LBB62_411
; %bb.410:
	scratch_load_b64 v[127:128], v131, off
	ds_load_b64 v[142:143], v130
	s_waitcnt vmcnt(0) lgkmcnt(0)
	v_mul_f64 v[127:128], v[127:128], v[142:143]
	s_cbranch_execz .LBB62_412
	s_branch .LBB62_413
.LBB62_411:
                                        ; implicit-def: $vgpr127_vgpr128
.LBB62_412:
	ds_load_b64 v[127:128], v130
.LBB62_413:
	s_and_saveexec_b32 s4, s1
	s_cbranch_execz .LBB62_417
; %bb.414:
	v_mov_b32_e32 v142, 0
	v_subrev_nc_u32_e32 v143, 21, v0
	s_movk_i32 s5, 0x2a8
	s_mov_b32 s1, 0
	s_delay_alu instid0(VALU_DEP_2)
	v_add_nc_u32_e32 v142, 0xa8, v142
.LBB62_415:                             ; =>This Inner Loop Header: Depth=1
	scratch_load_b64 v[144:145], v142, off
	v_dual_mov_b32 v146, s5 :: v_dual_add_nc_u32 v143, -1, v143
	v_add_nc_u32_e32 v142, 8, v142
	s_add_i32 s5, s5, 8
	ds_load_b64 v[146:147], v146
	v_cmp_eq_u32_e32 vcc_lo, 0, v143
	s_or_b32 s1, vcc_lo, s1
	s_waitcnt vmcnt(0) lgkmcnt(0)
	v_fma_f64 v[127:128], v[144:145], v[146:147], v[127:128]
	s_and_not1_b32 exec_lo, exec_lo, s1
	s_cbranch_execnz .LBB62_415
; %bb.416:
	s_or_b32 exec_lo, exec_lo, s1
.LBB62_417:
	s_delay_alu instid0(SALU_CYCLE_1)
	s_or_b32 exec_lo, exec_lo, s4
	v_mov_b32_e32 v142, 0
	ds_load_b64 v[142:143], v142 offset:160
	s_waitcnt lgkmcnt(0)
	v_mul_f64 v[127:128], v[127:128], v[142:143]
	scratch_store_b64 off, v[127:128], off offset:160
.LBB62_418:
	s_or_b32 exec_lo, exec_lo, s2
	scratch_load_b64 v[127:128], off, off offset:152
	v_cmp_lt_u32_e64 s1, 19, v0
	s_waitcnt vmcnt(0)
	ds_store_b64 v130, v[127:128]
	s_waitcnt lgkmcnt(0)
	s_waitcnt_vscnt null, 0x0
	s_barrier
	buffer_gl0_inv
	s_and_saveexec_b32 s2, s1
	s_cbranch_execz .LBB62_428
; %bb.419:
	s_and_not1_b32 vcc_lo, exec_lo, s3
	s_cbranch_vccnz .LBB62_421
; %bb.420:
	scratch_load_b64 v[127:128], v131, off
	ds_load_b64 v[142:143], v130
	s_waitcnt vmcnt(0) lgkmcnt(0)
	v_mul_f64 v[127:128], v[127:128], v[142:143]
	s_cbranch_execz .LBB62_422
	s_branch .LBB62_423
.LBB62_421:
                                        ; implicit-def: $vgpr127_vgpr128
.LBB62_422:
	ds_load_b64 v[127:128], v130
.LBB62_423:
	s_and_saveexec_b32 s4, s0
	s_cbranch_execz .LBB62_427
; %bb.424:
	v_subrev_nc_u32_e32 v142, 20, v0
	s_movk_i32 s5, 0x2a0
	s_mov_b32 s0, 0
.LBB62_425:                             ; =>This Inner Loop Header: Depth=1
	scratch_load_b64 v[143:144], v141, off
	v_dual_mov_b32 v145, s5 :: v_dual_add_nc_u32 v142, -1, v142
	v_add_nc_u32_e32 v141, 8, v141
	s_add_i32 s5, s5, 8
	ds_load_b64 v[145:146], v145
	v_cmp_eq_u32_e32 vcc_lo, 0, v142
	s_or_b32 s0, vcc_lo, s0
	s_waitcnt vmcnt(0) lgkmcnt(0)
	v_fma_f64 v[127:128], v[143:144], v[145:146], v[127:128]
	s_and_not1_b32 exec_lo, exec_lo, s0
	s_cbranch_execnz .LBB62_425
; %bb.426:
	s_or_b32 exec_lo, exec_lo, s0
.LBB62_427:
	s_delay_alu instid0(SALU_CYCLE_1)
	s_or_b32 exec_lo, exec_lo, s4
	v_mov_b32_e32 v141, 0
	ds_load_b64 v[141:142], v141 offset:152
	s_waitcnt lgkmcnt(0)
	v_mul_f64 v[127:128], v[127:128], v[141:142]
	scratch_store_b64 off, v[127:128], off offset:152
.LBB62_428:
	s_or_b32 exec_lo, exec_lo, s2
	scratch_load_b64 v[127:128], off, off offset:144
	v_cmp_lt_u32_e64 s0, 18, v0
	s_waitcnt vmcnt(0)
	ds_store_b64 v130, v[127:128]
	s_waitcnt lgkmcnt(0)
	s_waitcnt_vscnt null, 0x0
	s_barrier
	buffer_gl0_inv
	s_and_saveexec_b32 s2, s0
	s_cbranch_execz .LBB62_438
; %bb.429:
	s_and_not1_b32 vcc_lo, exec_lo, s3
	s_cbranch_vccnz .LBB62_431
; %bb.430:
	scratch_load_b64 v[127:128], v131, off
	ds_load_b64 v[141:142], v130
	s_waitcnt vmcnt(0) lgkmcnt(0)
	v_mul_f64 v[127:128], v[127:128], v[141:142]
	s_cbranch_execz .LBB62_432
	s_branch .LBB62_433
.LBB62_431:
                                        ; implicit-def: $vgpr127_vgpr128
.LBB62_432:
	ds_load_b64 v[127:128], v130
.LBB62_433:
	s_and_saveexec_b32 s4, s1
	s_cbranch_execz .LBB62_437
; %bb.434:
	v_mov_b32_e32 v141, 0
	v_subrev_nc_u32_e32 v142, 19, v0
	s_movk_i32 s5, 0x298
	s_mov_b32 s1, 0
	s_delay_alu instid0(VALU_DEP_2)
	v_add_nc_u32_e32 v141, 0x98, v141
.LBB62_435:                             ; =>This Inner Loop Header: Depth=1
	scratch_load_b64 v[143:144], v141, off
	v_dual_mov_b32 v145, s5 :: v_dual_add_nc_u32 v142, -1, v142
	v_add_nc_u32_e32 v141, 8, v141
	s_add_i32 s5, s5, 8
	ds_load_b64 v[145:146], v145
	v_cmp_eq_u32_e32 vcc_lo, 0, v142
	s_or_b32 s1, vcc_lo, s1
	s_waitcnt vmcnt(0) lgkmcnt(0)
	v_fma_f64 v[127:128], v[143:144], v[145:146], v[127:128]
	s_and_not1_b32 exec_lo, exec_lo, s1
	s_cbranch_execnz .LBB62_435
; %bb.436:
	s_or_b32 exec_lo, exec_lo, s1
.LBB62_437:
	s_delay_alu instid0(SALU_CYCLE_1)
	s_or_b32 exec_lo, exec_lo, s4
	v_mov_b32_e32 v141, 0
	ds_load_b64 v[141:142], v141 offset:144
	s_waitcnt lgkmcnt(0)
	v_mul_f64 v[127:128], v[127:128], v[141:142]
	scratch_store_b64 off, v[127:128], off offset:144
.LBB62_438:
	s_or_b32 exec_lo, exec_lo, s2
	scratch_load_b64 v[127:128], off, off offset:136
	v_cmp_lt_u32_e64 s1, 17, v0
	s_waitcnt vmcnt(0)
	ds_store_b64 v130, v[127:128]
	s_waitcnt lgkmcnt(0)
	s_waitcnt_vscnt null, 0x0
	s_barrier
	buffer_gl0_inv
	s_and_saveexec_b32 s2, s1
	s_cbranch_execz .LBB62_448
; %bb.439:
	s_and_not1_b32 vcc_lo, exec_lo, s3
	s_cbranch_vccnz .LBB62_441
; %bb.440:
	scratch_load_b64 v[127:128], v131, off
	ds_load_b64 v[141:142], v130
	s_waitcnt vmcnt(0) lgkmcnt(0)
	v_mul_f64 v[127:128], v[127:128], v[141:142]
	s_cbranch_execz .LBB62_442
	s_branch .LBB62_443
.LBB62_441:
                                        ; implicit-def: $vgpr127_vgpr128
.LBB62_442:
	ds_load_b64 v[127:128], v130
.LBB62_443:
	s_and_saveexec_b32 s4, s0
	s_cbranch_execz .LBB62_447
; %bb.444:
	v_subrev_nc_u32_e32 v141, 18, v0
	s_movk_i32 s5, 0x290
	s_mov_b32 s0, 0
.LBB62_445:                             ; =>This Inner Loop Header: Depth=1
	scratch_load_b64 v[142:143], v140, off
	v_dual_mov_b32 v144, s5 :: v_dual_add_nc_u32 v141, -1, v141
	v_add_nc_u32_e32 v140, 8, v140
	s_add_i32 s5, s5, 8
	ds_load_b64 v[144:145], v144
	v_cmp_eq_u32_e32 vcc_lo, 0, v141
	s_or_b32 s0, vcc_lo, s0
	s_waitcnt vmcnt(0) lgkmcnt(0)
	v_fma_f64 v[127:128], v[142:143], v[144:145], v[127:128]
	s_and_not1_b32 exec_lo, exec_lo, s0
	s_cbranch_execnz .LBB62_445
; %bb.446:
	s_or_b32 exec_lo, exec_lo, s0
.LBB62_447:
	s_delay_alu instid0(SALU_CYCLE_1)
	s_or_b32 exec_lo, exec_lo, s4
	v_mov_b32_e32 v140, 0
	ds_load_b64 v[140:141], v140 offset:136
	s_waitcnt lgkmcnt(0)
	v_mul_f64 v[127:128], v[127:128], v[140:141]
	scratch_store_b64 off, v[127:128], off offset:136
.LBB62_448:
	s_or_b32 exec_lo, exec_lo, s2
	scratch_load_b64 v[127:128], off, off offset:128
	v_cmp_lt_u32_e64 s0, 16, v0
	s_waitcnt vmcnt(0)
	ds_store_b64 v130, v[127:128]
	s_waitcnt lgkmcnt(0)
	s_waitcnt_vscnt null, 0x0
	s_barrier
	buffer_gl0_inv
	s_and_saveexec_b32 s2, s0
	s_cbranch_execz .LBB62_458
; %bb.449:
	s_and_not1_b32 vcc_lo, exec_lo, s3
	s_cbranch_vccnz .LBB62_451
; %bb.450:
	scratch_load_b64 v[127:128], v131, off
	ds_load_b64 v[140:141], v130
	s_waitcnt vmcnt(0) lgkmcnt(0)
	v_mul_f64 v[127:128], v[127:128], v[140:141]
	s_cbranch_execz .LBB62_452
	s_branch .LBB62_453
.LBB62_451:
                                        ; implicit-def: $vgpr127_vgpr128
.LBB62_452:
	ds_load_b64 v[127:128], v130
.LBB62_453:
	s_and_saveexec_b32 s4, s1
	s_cbranch_execz .LBB62_457
; %bb.454:
	v_mov_b32_e32 v140, 0
	v_subrev_nc_u32_e32 v141, 17, v0
	s_movk_i32 s5, 0x288
	s_mov_b32 s1, 0
	s_delay_alu instid0(VALU_DEP_2)
	v_add_nc_u32_e32 v140, 0x88, v140
.LBB62_455:                             ; =>This Inner Loop Header: Depth=1
	scratch_load_b64 v[142:143], v140, off
	v_dual_mov_b32 v144, s5 :: v_dual_add_nc_u32 v141, -1, v141
	v_add_nc_u32_e32 v140, 8, v140
	s_add_i32 s5, s5, 8
	ds_load_b64 v[144:145], v144
	v_cmp_eq_u32_e32 vcc_lo, 0, v141
	s_or_b32 s1, vcc_lo, s1
	s_waitcnt vmcnt(0) lgkmcnt(0)
	v_fma_f64 v[127:128], v[142:143], v[144:145], v[127:128]
	s_and_not1_b32 exec_lo, exec_lo, s1
	s_cbranch_execnz .LBB62_455
; %bb.456:
	s_or_b32 exec_lo, exec_lo, s1
.LBB62_457:
	s_delay_alu instid0(SALU_CYCLE_1)
	s_or_b32 exec_lo, exec_lo, s4
	v_mov_b32_e32 v140, 0
	ds_load_b64 v[140:141], v140 offset:128
	s_waitcnt lgkmcnt(0)
	v_mul_f64 v[127:128], v[127:128], v[140:141]
	scratch_store_b64 off, v[127:128], off offset:128
.LBB62_458:
	s_or_b32 exec_lo, exec_lo, s2
	scratch_load_b64 v[127:128], off, off offset:120
	v_cmp_lt_u32_e64 s1, 15, v0
	s_waitcnt vmcnt(0)
	ds_store_b64 v130, v[127:128]
	s_waitcnt lgkmcnt(0)
	s_waitcnt_vscnt null, 0x0
	s_barrier
	buffer_gl0_inv
	s_and_saveexec_b32 s2, s1
	s_cbranch_execz .LBB62_468
; %bb.459:
	s_and_not1_b32 vcc_lo, exec_lo, s3
	s_cbranch_vccnz .LBB62_461
; %bb.460:
	scratch_load_b64 v[127:128], v131, off
	ds_load_b64 v[140:141], v130
	s_waitcnt vmcnt(0) lgkmcnt(0)
	v_mul_f64 v[127:128], v[127:128], v[140:141]
	s_cbranch_execz .LBB62_462
	s_branch .LBB62_463
.LBB62_461:
                                        ; implicit-def: $vgpr127_vgpr128
.LBB62_462:
	ds_load_b64 v[127:128], v130
.LBB62_463:
	s_and_saveexec_b32 s4, s0
	s_cbranch_execz .LBB62_467
; %bb.464:
	v_add_nc_u32_e32 v140, -16, v0
	s_movk_i32 s5, 0x280
	s_mov_b32 s0, 0
.LBB62_465:                             ; =>This Inner Loop Header: Depth=1
	scratch_load_b64 v[141:142], v139, off
	v_dual_mov_b32 v143, s5 :: v_dual_add_nc_u32 v140, -1, v140
	v_add_nc_u32_e32 v139, 8, v139
	s_add_i32 s5, s5, 8
	ds_load_b64 v[143:144], v143
	v_cmp_eq_u32_e32 vcc_lo, 0, v140
	s_or_b32 s0, vcc_lo, s0
	s_waitcnt vmcnt(0) lgkmcnt(0)
	v_fma_f64 v[127:128], v[141:142], v[143:144], v[127:128]
	s_and_not1_b32 exec_lo, exec_lo, s0
	s_cbranch_execnz .LBB62_465
; %bb.466:
	s_or_b32 exec_lo, exec_lo, s0
.LBB62_467:
	s_delay_alu instid0(SALU_CYCLE_1)
	s_or_b32 exec_lo, exec_lo, s4
	v_mov_b32_e32 v139, 0
	ds_load_b64 v[139:140], v139 offset:120
	s_waitcnt lgkmcnt(0)
	v_mul_f64 v[127:128], v[127:128], v[139:140]
	scratch_store_b64 off, v[127:128], off offset:120
.LBB62_468:
	s_or_b32 exec_lo, exec_lo, s2
	scratch_load_b64 v[127:128], off, off offset:112
	v_cmp_lt_u32_e64 s0, 14, v0
	s_waitcnt vmcnt(0)
	ds_store_b64 v130, v[127:128]
	s_waitcnt lgkmcnt(0)
	s_waitcnt_vscnt null, 0x0
	s_barrier
	buffer_gl0_inv
	s_and_saveexec_b32 s2, s0
	s_cbranch_execz .LBB62_478
; %bb.469:
	s_and_not1_b32 vcc_lo, exec_lo, s3
	s_cbranch_vccnz .LBB62_471
; %bb.470:
	scratch_load_b64 v[127:128], v131, off
	ds_load_b64 v[139:140], v130
	s_waitcnt vmcnt(0) lgkmcnt(0)
	v_mul_f64 v[127:128], v[127:128], v[139:140]
	s_cbranch_execz .LBB62_472
	s_branch .LBB62_473
.LBB62_471:
                                        ; implicit-def: $vgpr127_vgpr128
.LBB62_472:
	ds_load_b64 v[127:128], v130
.LBB62_473:
	s_and_saveexec_b32 s4, s1
	s_cbranch_execz .LBB62_477
; %bb.474:
	v_dual_mov_b32 v139, 0 :: v_dual_add_nc_u32 v140, -15, v0
	s_movk_i32 s5, 0x278
	s_mov_b32 s1, 0
	s_delay_alu instid0(VALU_DEP_1)
	v_add_nc_u32_e32 v139, 0x78, v139
.LBB62_475:                             ; =>This Inner Loop Header: Depth=1
	scratch_load_b64 v[141:142], v139, off
	v_dual_mov_b32 v143, s5 :: v_dual_add_nc_u32 v140, -1, v140
	v_add_nc_u32_e32 v139, 8, v139
	s_add_i32 s5, s5, 8
	ds_load_b64 v[143:144], v143
	v_cmp_eq_u32_e32 vcc_lo, 0, v140
	s_or_b32 s1, vcc_lo, s1
	s_waitcnt vmcnt(0) lgkmcnt(0)
	v_fma_f64 v[127:128], v[141:142], v[143:144], v[127:128]
	s_and_not1_b32 exec_lo, exec_lo, s1
	s_cbranch_execnz .LBB62_475
; %bb.476:
	s_or_b32 exec_lo, exec_lo, s1
.LBB62_477:
	s_delay_alu instid0(SALU_CYCLE_1)
	s_or_b32 exec_lo, exec_lo, s4
	v_mov_b32_e32 v139, 0
	ds_load_b64 v[139:140], v139 offset:112
	s_waitcnt lgkmcnt(0)
	v_mul_f64 v[127:128], v[127:128], v[139:140]
	scratch_store_b64 off, v[127:128], off offset:112
.LBB62_478:
	s_or_b32 exec_lo, exec_lo, s2
	scratch_load_b64 v[127:128], off, off offset:104
	v_cmp_lt_u32_e64 s1, 13, v0
	s_waitcnt vmcnt(0)
	ds_store_b64 v130, v[127:128]
	s_waitcnt lgkmcnt(0)
	s_waitcnt_vscnt null, 0x0
	s_barrier
	buffer_gl0_inv
	s_and_saveexec_b32 s2, s1
	s_cbranch_execz .LBB62_488
; %bb.479:
	s_and_not1_b32 vcc_lo, exec_lo, s3
	s_cbranch_vccnz .LBB62_481
; %bb.480:
	scratch_load_b64 v[127:128], v131, off
	ds_load_b64 v[139:140], v130
	s_waitcnt vmcnt(0) lgkmcnt(0)
	v_mul_f64 v[127:128], v[127:128], v[139:140]
	s_cbranch_execz .LBB62_482
	s_branch .LBB62_483
.LBB62_481:
                                        ; implicit-def: $vgpr127_vgpr128
.LBB62_482:
	ds_load_b64 v[127:128], v130
.LBB62_483:
	s_and_saveexec_b32 s4, s0
	s_cbranch_execz .LBB62_487
; %bb.484:
	v_add_nc_u32_e32 v139, -14, v0
	s_movk_i32 s5, 0x270
	s_mov_b32 s0, 0
.LBB62_485:                             ; =>This Inner Loop Header: Depth=1
	scratch_load_b64 v[140:141], v138, off
	v_dual_mov_b32 v142, s5 :: v_dual_add_nc_u32 v139, -1, v139
	v_add_nc_u32_e32 v138, 8, v138
	s_add_i32 s5, s5, 8
	ds_load_b64 v[142:143], v142
	v_cmp_eq_u32_e32 vcc_lo, 0, v139
	s_or_b32 s0, vcc_lo, s0
	s_waitcnt vmcnt(0) lgkmcnt(0)
	v_fma_f64 v[127:128], v[140:141], v[142:143], v[127:128]
	s_and_not1_b32 exec_lo, exec_lo, s0
	s_cbranch_execnz .LBB62_485
; %bb.486:
	s_or_b32 exec_lo, exec_lo, s0
.LBB62_487:
	s_delay_alu instid0(SALU_CYCLE_1)
	s_or_b32 exec_lo, exec_lo, s4
	v_mov_b32_e32 v138, 0
	ds_load_b64 v[138:139], v138 offset:104
	s_waitcnt lgkmcnt(0)
	v_mul_f64 v[127:128], v[127:128], v[138:139]
	scratch_store_b64 off, v[127:128], off offset:104
.LBB62_488:
	s_or_b32 exec_lo, exec_lo, s2
	scratch_load_b64 v[127:128], off, off offset:96
	v_cmp_lt_u32_e64 s0, 12, v0
	s_waitcnt vmcnt(0)
	ds_store_b64 v130, v[127:128]
	s_waitcnt lgkmcnt(0)
	s_waitcnt_vscnt null, 0x0
	s_barrier
	buffer_gl0_inv
	s_and_saveexec_b32 s2, s0
	s_cbranch_execz .LBB62_498
; %bb.489:
	s_and_not1_b32 vcc_lo, exec_lo, s3
	s_cbranch_vccnz .LBB62_491
; %bb.490:
	scratch_load_b64 v[127:128], v131, off
	ds_load_b64 v[138:139], v130
	s_waitcnt vmcnt(0) lgkmcnt(0)
	v_mul_f64 v[127:128], v[127:128], v[138:139]
	s_cbranch_execz .LBB62_492
	s_branch .LBB62_493
.LBB62_491:
                                        ; implicit-def: $vgpr127_vgpr128
.LBB62_492:
	ds_load_b64 v[127:128], v130
.LBB62_493:
	s_and_saveexec_b32 s4, s1
	s_cbranch_execz .LBB62_497
; %bb.494:
	v_dual_mov_b32 v138, 0 :: v_dual_add_nc_u32 v139, -13, v0
	s_movk_i32 s5, 0x268
	s_mov_b32 s1, 0
	s_delay_alu instid0(VALU_DEP_1)
	v_add_nc_u32_e32 v138, 0x68, v138
.LBB62_495:                             ; =>This Inner Loop Header: Depth=1
	scratch_load_b64 v[140:141], v138, off
	v_dual_mov_b32 v142, s5 :: v_dual_add_nc_u32 v139, -1, v139
	v_add_nc_u32_e32 v138, 8, v138
	s_add_i32 s5, s5, 8
	ds_load_b64 v[142:143], v142
	v_cmp_eq_u32_e32 vcc_lo, 0, v139
	s_or_b32 s1, vcc_lo, s1
	s_waitcnt vmcnt(0) lgkmcnt(0)
	v_fma_f64 v[127:128], v[140:141], v[142:143], v[127:128]
	s_and_not1_b32 exec_lo, exec_lo, s1
	s_cbranch_execnz .LBB62_495
; %bb.496:
	s_or_b32 exec_lo, exec_lo, s1
.LBB62_497:
	s_delay_alu instid0(SALU_CYCLE_1)
	s_or_b32 exec_lo, exec_lo, s4
	v_mov_b32_e32 v138, 0
	ds_load_b64 v[138:139], v138 offset:96
	s_waitcnt lgkmcnt(0)
	v_mul_f64 v[127:128], v[127:128], v[138:139]
	scratch_store_b64 off, v[127:128], off offset:96
.LBB62_498:
	s_or_b32 exec_lo, exec_lo, s2
	scratch_load_b64 v[127:128], off, off offset:88
	v_cmp_lt_u32_e64 s1, 11, v0
	s_waitcnt vmcnt(0)
	ds_store_b64 v130, v[127:128]
	s_waitcnt lgkmcnt(0)
	s_waitcnt_vscnt null, 0x0
	s_barrier
	buffer_gl0_inv
	s_and_saveexec_b32 s2, s1
	s_cbranch_execz .LBB62_508
; %bb.499:
	s_and_not1_b32 vcc_lo, exec_lo, s3
	s_cbranch_vccnz .LBB62_501
; %bb.500:
	scratch_load_b64 v[127:128], v131, off
	ds_load_b64 v[138:139], v130
	s_waitcnt vmcnt(0) lgkmcnt(0)
	v_mul_f64 v[127:128], v[127:128], v[138:139]
	s_cbranch_execz .LBB62_502
	s_branch .LBB62_503
.LBB62_501:
                                        ; implicit-def: $vgpr127_vgpr128
.LBB62_502:
	ds_load_b64 v[127:128], v130
.LBB62_503:
	s_and_saveexec_b32 s4, s0
	s_cbranch_execz .LBB62_507
; %bb.504:
	v_add_nc_u32_e32 v138, -12, v0
	s_movk_i32 s5, 0x260
	s_mov_b32 s0, 0
.LBB62_505:                             ; =>This Inner Loop Header: Depth=1
	scratch_load_b64 v[139:140], v137, off
	v_dual_mov_b32 v141, s5 :: v_dual_add_nc_u32 v138, -1, v138
	v_add_nc_u32_e32 v137, 8, v137
	s_add_i32 s5, s5, 8
	ds_load_b64 v[141:142], v141
	v_cmp_eq_u32_e32 vcc_lo, 0, v138
	s_or_b32 s0, vcc_lo, s0
	s_waitcnt vmcnt(0) lgkmcnt(0)
	v_fma_f64 v[127:128], v[139:140], v[141:142], v[127:128]
	s_and_not1_b32 exec_lo, exec_lo, s0
	s_cbranch_execnz .LBB62_505
; %bb.506:
	s_or_b32 exec_lo, exec_lo, s0
.LBB62_507:
	s_delay_alu instid0(SALU_CYCLE_1)
	s_or_b32 exec_lo, exec_lo, s4
	v_mov_b32_e32 v137, 0
	ds_load_b64 v[137:138], v137 offset:88
	s_waitcnt lgkmcnt(0)
	v_mul_f64 v[127:128], v[127:128], v[137:138]
	scratch_store_b64 off, v[127:128], off offset:88
.LBB62_508:
	s_or_b32 exec_lo, exec_lo, s2
	scratch_load_b64 v[127:128], off, off offset:80
	v_cmp_lt_u32_e64 s0, 10, v0
	s_waitcnt vmcnt(0)
	ds_store_b64 v130, v[127:128]
	s_waitcnt lgkmcnt(0)
	s_waitcnt_vscnt null, 0x0
	s_barrier
	buffer_gl0_inv
	s_and_saveexec_b32 s2, s0
	s_cbranch_execz .LBB62_518
; %bb.509:
	s_and_not1_b32 vcc_lo, exec_lo, s3
	s_cbranch_vccnz .LBB62_511
; %bb.510:
	scratch_load_b64 v[127:128], v131, off
	ds_load_b64 v[137:138], v130
	s_waitcnt vmcnt(0) lgkmcnt(0)
	v_mul_f64 v[127:128], v[127:128], v[137:138]
	s_cbranch_execz .LBB62_512
	s_branch .LBB62_513
.LBB62_511:
                                        ; implicit-def: $vgpr127_vgpr128
.LBB62_512:
	ds_load_b64 v[127:128], v130
.LBB62_513:
	s_and_saveexec_b32 s4, s1
	s_cbranch_execz .LBB62_517
; %bb.514:
	v_dual_mov_b32 v137, 0 :: v_dual_add_nc_u32 v138, -11, v0
	s_movk_i32 s5, 0x258
	s_mov_b32 s1, 0
	s_delay_alu instid0(VALU_DEP_1)
	v_add_nc_u32_e32 v137, 0x58, v137
.LBB62_515:                             ; =>This Inner Loop Header: Depth=1
	scratch_load_b64 v[139:140], v137, off
	v_dual_mov_b32 v141, s5 :: v_dual_add_nc_u32 v138, -1, v138
	v_add_nc_u32_e32 v137, 8, v137
	s_add_i32 s5, s5, 8
	ds_load_b64 v[141:142], v141
	v_cmp_eq_u32_e32 vcc_lo, 0, v138
	s_or_b32 s1, vcc_lo, s1
	s_waitcnt vmcnt(0) lgkmcnt(0)
	v_fma_f64 v[127:128], v[139:140], v[141:142], v[127:128]
	s_and_not1_b32 exec_lo, exec_lo, s1
	s_cbranch_execnz .LBB62_515
; %bb.516:
	s_or_b32 exec_lo, exec_lo, s1
.LBB62_517:
	s_delay_alu instid0(SALU_CYCLE_1)
	s_or_b32 exec_lo, exec_lo, s4
	v_mov_b32_e32 v137, 0
	ds_load_b64 v[137:138], v137 offset:80
	s_waitcnt lgkmcnt(0)
	v_mul_f64 v[127:128], v[127:128], v[137:138]
	scratch_store_b64 off, v[127:128], off offset:80
.LBB62_518:
	s_or_b32 exec_lo, exec_lo, s2
	scratch_load_b64 v[127:128], off, off offset:72
	v_cmp_lt_u32_e64 s1, 9, v0
	s_waitcnt vmcnt(0)
	ds_store_b64 v130, v[127:128]
	s_waitcnt lgkmcnt(0)
	s_waitcnt_vscnt null, 0x0
	s_barrier
	buffer_gl0_inv
	s_and_saveexec_b32 s2, s1
	s_cbranch_execz .LBB62_528
; %bb.519:
	s_and_not1_b32 vcc_lo, exec_lo, s3
	s_cbranch_vccnz .LBB62_521
; %bb.520:
	scratch_load_b64 v[127:128], v131, off
	ds_load_b64 v[137:138], v130
	s_waitcnt vmcnt(0) lgkmcnt(0)
	v_mul_f64 v[127:128], v[127:128], v[137:138]
	s_cbranch_execz .LBB62_522
	s_branch .LBB62_523
.LBB62_521:
                                        ; implicit-def: $vgpr127_vgpr128
.LBB62_522:
	ds_load_b64 v[127:128], v130
.LBB62_523:
	s_and_saveexec_b32 s4, s0
	s_cbranch_execz .LBB62_527
; %bb.524:
	v_add_nc_u32_e32 v137, -10, v0
	s_movk_i32 s5, 0x250
	s_mov_b32 s0, 0
.LBB62_525:                             ; =>This Inner Loop Header: Depth=1
	scratch_load_b64 v[138:139], v136, off
	v_dual_mov_b32 v140, s5 :: v_dual_add_nc_u32 v137, -1, v137
	v_add_nc_u32_e32 v136, 8, v136
	s_add_i32 s5, s5, 8
	ds_load_b64 v[140:141], v140
	v_cmp_eq_u32_e32 vcc_lo, 0, v137
	s_or_b32 s0, vcc_lo, s0
	s_waitcnt vmcnt(0) lgkmcnt(0)
	v_fma_f64 v[127:128], v[138:139], v[140:141], v[127:128]
	s_and_not1_b32 exec_lo, exec_lo, s0
	s_cbranch_execnz .LBB62_525
; %bb.526:
	s_or_b32 exec_lo, exec_lo, s0
.LBB62_527:
	s_delay_alu instid0(SALU_CYCLE_1)
	s_or_b32 exec_lo, exec_lo, s4
	v_mov_b32_e32 v136, 0
	ds_load_b64 v[136:137], v136 offset:72
	s_waitcnt lgkmcnt(0)
	v_mul_f64 v[127:128], v[127:128], v[136:137]
	scratch_store_b64 off, v[127:128], off offset:72
.LBB62_528:
	s_or_b32 exec_lo, exec_lo, s2
	scratch_load_b64 v[127:128], off, off offset:64
	v_cmp_lt_u32_e64 s0, 8, v0
	s_waitcnt vmcnt(0)
	ds_store_b64 v130, v[127:128]
	s_waitcnt lgkmcnt(0)
	s_waitcnt_vscnt null, 0x0
	s_barrier
	buffer_gl0_inv
	s_and_saveexec_b32 s2, s0
	s_cbranch_execz .LBB62_538
; %bb.529:
	s_and_not1_b32 vcc_lo, exec_lo, s3
	s_cbranch_vccnz .LBB62_531
; %bb.530:
	scratch_load_b64 v[127:128], v131, off
	ds_load_b64 v[136:137], v130
	s_waitcnt vmcnt(0) lgkmcnt(0)
	v_mul_f64 v[127:128], v[127:128], v[136:137]
	s_cbranch_execz .LBB62_532
	s_branch .LBB62_533
.LBB62_531:
                                        ; implicit-def: $vgpr127_vgpr128
.LBB62_532:
	ds_load_b64 v[127:128], v130
.LBB62_533:
	s_and_saveexec_b32 s4, s1
	s_cbranch_execz .LBB62_537
; %bb.534:
	v_dual_mov_b32 v136, 0 :: v_dual_add_nc_u32 v137, -9, v0
	s_movk_i32 s5, 0x248
	s_mov_b32 s1, 0
	s_delay_alu instid0(VALU_DEP_1)
	v_add_nc_u32_e32 v136, 0x48, v136
.LBB62_535:                             ; =>This Inner Loop Header: Depth=1
	scratch_load_b64 v[138:139], v136, off
	v_dual_mov_b32 v140, s5 :: v_dual_add_nc_u32 v137, -1, v137
	v_add_nc_u32_e32 v136, 8, v136
	s_add_i32 s5, s5, 8
	ds_load_b64 v[140:141], v140
	v_cmp_eq_u32_e32 vcc_lo, 0, v137
	s_or_b32 s1, vcc_lo, s1
	s_waitcnt vmcnt(0) lgkmcnt(0)
	v_fma_f64 v[127:128], v[138:139], v[140:141], v[127:128]
	s_and_not1_b32 exec_lo, exec_lo, s1
	s_cbranch_execnz .LBB62_535
; %bb.536:
	s_or_b32 exec_lo, exec_lo, s1
.LBB62_537:
	s_delay_alu instid0(SALU_CYCLE_1)
	s_or_b32 exec_lo, exec_lo, s4
	v_mov_b32_e32 v136, 0
	ds_load_b64 v[136:137], v136 offset:64
	s_waitcnt lgkmcnt(0)
	v_mul_f64 v[127:128], v[127:128], v[136:137]
	scratch_store_b64 off, v[127:128], off offset:64
.LBB62_538:
	s_or_b32 exec_lo, exec_lo, s2
	scratch_load_b64 v[127:128], off, off offset:56
	v_cmp_lt_u32_e64 s1, 7, v0
	s_waitcnt vmcnt(0)
	ds_store_b64 v130, v[127:128]
	s_waitcnt lgkmcnt(0)
	s_waitcnt_vscnt null, 0x0
	s_barrier
	buffer_gl0_inv
	s_and_saveexec_b32 s2, s1
	s_cbranch_execz .LBB62_548
; %bb.539:
	s_and_not1_b32 vcc_lo, exec_lo, s3
	s_cbranch_vccnz .LBB62_541
; %bb.540:
	scratch_load_b64 v[127:128], v131, off
	ds_load_b64 v[136:137], v130
	s_waitcnt vmcnt(0) lgkmcnt(0)
	v_mul_f64 v[127:128], v[127:128], v[136:137]
	s_cbranch_execz .LBB62_542
	s_branch .LBB62_543
.LBB62_541:
                                        ; implicit-def: $vgpr127_vgpr128
.LBB62_542:
	ds_load_b64 v[127:128], v130
.LBB62_543:
	s_and_saveexec_b32 s4, s0
	s_cbranch_execz .LBB62_547
; %bb.544:
	v_add_nc_u32_e32 v136, -8, v0
	s_movk_i32 s5, 0x240
	s_mov_b32 s0, 0
.LBB62_545:                             ; =>This Inner Loop Header: Depth=1
	scratch_load_b64 v[137:138], v135, off
	v_dual_mov_b32 v139, s5 :: v_dual_add_nc_u32 v136, -1, v136
	v_add_nc_u32_e32 v135, 8, v135
	s_add_i32 s5, s5, 8
	ds_load_b64 v[139:140], v139
	v_cmp_eq_u32_e32 vcc_lo, 0, v136
	s_or_b32 s0, vcc_lo, s0
	s_waitcnt vmcnt(0) lgkmcnt(0)
	v_fma_f64 v[127:128], v[137:138], v[139:140], v[127:128]
	s_and_not1_b32 exec_lo, exec_lo, s0
	s_cbranch_execnz .LBB62_545
; %bb.546:
	s_or_b32 exec_lo, exec_lo, s0
.LBB62_547:
	s_delay_alu instid0(SALU_CYCLE_1)
	s_or_b32 exec_lo, exec_lo, s4
	v_mov_b32_e32 v135, 0
	ds_load_b64 v[135:136], v135 offset:56
	s_waitcnt lgkmcnt(0)
	v_mul_f64 v[127:128], v[127:128], v[135:136]
	scratch_store_b64 off, v[127:128], off offset:56
.LBB62_548:
	s_or_b32 exec_lo, exec_lo, s2
	scratch_load_b64 v[127:128], off, off offset:48
	v_cmp_lt_u32_e64 s0, 6, v0
	s_waitcnt vmcnt(0)
	ds_store_b64 v130, v[127:128]
	s_waitcnt lgkmcnt(0)
	s_waitcnt_vscnt null, 0x0
	s_barrier
	buffer_gl0_inv
	s_and_saveexec_b32 s2, s0
	s_cbranch_execz .LBB62_558
; %bb.549:
	s_and_not1_b32 vcc_lo, exec_lo, s3
	s_cbranch_vccnz .LBB62_551
; %bb.550:
	scratch_load_b64 v[127:128], v131, off
	ds_load_b64 v[135:136], v130
	s_waitcnt vmcnt(0) lgkmcnt(0)
	v_mul_f64 v[127:128], v[127:128], v[135:136]
	s_cbranch_execz .LBB62_552
	s_branch .LBB62_553
.LBB62_551:
                                        ; implicit-def: $vgpr127_vgpr128
.LBB62_552:
	ds_load_b64 v[127:128], v130
.LBB62_553:
	s_and_saveexec_b32 s4, s1
	s_cbranch_execz .LBB62_557
; %bb.554:
	v_add_nc_u32_e64 v135, 0, 56
	v_add_nc_u32_e32 v136, -7, v0
	s_movk_i32 s5, 0x238
	s_mov_b32 s1, 0
.LBB62_555:                             ; =>This Inner Loop Header: Depth=1
	scratch_load_b64 v[137:138], v135, off
	v_dual_mov_b32 v139, s5 :: v_dual_add_nc_u32 v136, -1, v136
	v_add_nc_u32_e32 v135, 8, v135
	s_add_i32 s5, s5, 8
	ds_load_b64 v[139:140], v139
	v_cmp_eq_u32_e32 vcc_lo, 0, v136
	s_or_b32 s1, vcc_lo, s1
	s_waitcnt vmcnt(0) lgkmcnt(0)
	v_fma_f64 v[127:128], v[137:138], v[139:140], v[127:128]
	s_and_not1_b32 exec_lo, exec_lo, s1
	s_cbranch_execnz .LBB62_555
; %bb.556:
	s_or_b32 exec_lo, exec_lo, s1
.LBB62_557:
	s_delay_alu instid0(SALU_CYCLE_1)
	s_or_b32 exec_lo, exec_lo, s4
	v_mov_b32_e32 v135, 0
	ds_load_b64 v[135:136], v135 offset:48
	s_waitcnt lgkmcnt(0)
	v_mul_f64 v[127:128], v[127:128], v[135:136]
	scratch_store_b64 off, v[127:128], off offset:48
.LBB62_558:
	s_or_b32 exec_lo, exec_lo, s2
	scratch_load_b64 v[127:128], off, off offset:40
	v_cmp_lt_u32_e64 s1, 5, v0
	s_waitcnt vmcnt(0)
	ds_store_b64 v130, v[127:128]
	s_waitcnt lgkmcnt(0)
	s_waitcnt_vscnt null, 0x0
	s_barrier
	buffer_gl0_inv
	s_and_saveexec_b32 s2, s1
	s_cbranch_execz .LBB62_568
; %bb.559:
	s_and_not1_b32 vcc_lo, exec_lo, s3
	s_cbranch_vccnz .LBB62_561
; %bb.560:
	scratch_load_b64 v[127:128], v131, off
	ds_load_b64 v[135:136], v130
	s_waitcnt vmcnt(0) lgkmcnt(0)
	v_mul_f64 v[127:128], v[127:128], v[135:136]
	s_cbranch_execz .LBB62_562
	s_branch .LBB62_563
.LBB62_561:
                                        ; implicit-def: $vgpr127_vgpr128
.LBB62_562:
	ds_load_b64 v[127:128], v130
.LBB62_563:
	s_and_saveexec_b32 s4, s0
	s_cbranch_execz .LBB62_567
; %bb.564:
	v_add_nc_u32_e32 v135, -6, v0
	s_movk_i32 s5, 0x230
	s_mov_b32 s0, 0
.LBB62_565:                             ; =>This Inner Loop Header: Depth=1
	scratch_load_b64 v[136:137], v134, off
	v_dual_mov_b32 v138, s5 :: v_dual_add_nc_u32 v135, -1, v135
	v_add_nc_u32_e32 v134, 8, v134
	s_add_i32 s5, s5, 8
	ds_load_b64 v[138:139], v138
	v_cmp_eq_u32_e32 vcc_lo, 0, v135
	s_or_b32 s0, vcc_lo, s0
	s_waitcnt vmcnt(0) lgkmcnt(0)
	v_fma_f64 v[127:128], v[136:137], v[138:139], v[127:128]
	s_and_not1_b32 exec_lo, exec_lo, s0
	s_cbranch_execnz .LBB62_565
; %bb.566:
	s_or_b32 exec_lo, exec_lo, s0
.LBB62_567:
	s_delay_alu instid0(SALU_CYCLE_1)
	s_or_b32 exec_lo, exec_lo, s4
	v_mov_b32_e32 v134, 0
	ds_load_b64 v[134:135], v134 offset:40
	s_waitcnt lgkmcnt(0)
	v_mul_f64 v[127:128], v[127:128], v[134:135]
	scratch_store_b64 off, v[127:128], off offset:40
.LBB62_568:
	s_or_b32 exec_lo, exec_lo, s2
	scratch_load_b64 v[127:128], off, off offset:32
	v_cmp_lt_u32_e64 s0, 4, v0
	s_waitcnt vmcnt(0)
	ds_store_b64 v130, v[127:128]
	s_waitcnt lgkmcnt(0)
	s_waitcnt_vscnt null, 0x0
	s_barrier
	buffer_gl0_inv
	s_and_saveexec_b32 s2, s0
	s_cbranch_execz .LBB62_578
; %bb.569:
	s_and_not1_b32 vcc_lo, exec_lo, s3
	s_cbranch_vccnz .LBB62_571
; %bb.570:
	scratch_load_b64 v[127:128], v131, off
	ds_load_b64 v[134:135], v130
	s_waitcnt vmcnt(0) lgkmcnt(0)
	v_mul_f64 v[127:128], v[127:128], v[134:135]
	s_cbranch_execz .LBB62_572
	s_branch .LBB62_573
.LBB62_571:
                                        ; implicit-def: $vgpr127_vgpr128
.LBB62_572:
	ds_load_b64 v[127:128], v130
.LBB62_573:
	s_and_saveexec_b32 s4, s1
	s_cbranch_execz .LBB62_577
; %bb.574:
	v_add_nc_u32_e64 v134, 0, 40
	v_add_nc_u32_e32 v135, -5, v0
	s_movk_i32 s5, 0x228
	s_mov_b32 s1, 0
.LBB62_575:                             ; =>This Inner Loop Header: Depth=1
	scratch_load_b64 v[136:137], v134, off
	v_dual_mov_b32 v138, s5 :: v_dual_add_nc_u32 v135, -1, v135
	v_add_nc_u32_e32 v134, 8, v134
	s_add_i32 s5, s5, 8
	ds_load_b64 v[138:139], v138
	v_cmp_eq_u32_e32 vcc_lo, 0, v135
	s_or_b32 s1, vcc_lo, s1
	s_waitcnt vmcnt(0) lgkmcnt(0)
	v_fma_f64 v[127:128], v[136:137], v[138:139], v[127:128]
	s_and_not1_b32 exec_lo, exec_lo, s1
	s_cbranch_execnz .LBB62_575
; %bb.576:
	s_or_b32 exec_lo, exec_lo, s1
.LBB62_577:
	s_delay_alu instid0(SALU_CYCLE_1)
	s_or_b32 exec_lo, exec_lo, s4
	v_mov_b32_e32 v134, 0
	ds_load_b64 v[134:135], v134 offset:32
	s_waitcnt lgkmcnt(0)
	v_mul_f64 v[127:128], v[127:128], v[134:135]
	scratch_store_b64 off, v[127:128], off offset:32
.LBB62_578:
	s_or_b32 exec_lo, exec_lo, s2
	scratch_load_b64 v[127:128], off, off offset:24
	v_cmp_lt_u32_e64 s1, 3, v0
	s_waitcnt vmcnt(0)
	ds_store_b64 v130, v[127:128]
	s_waitcnt lgkmcnt(0)
	s_waitcnt_vscnt null, 0x0
	s_barrier
	buffer_gl0_inv
	s_and_saveexec_b32 s2, s1
	s_cbranch_execz .LBB62_588
; %bb.579:
	s_and_not1_b32 vcc_lo, exec_lo, s3
	s_cbranch_vccnz .LBB62_581
; %bb.580:
	scratch_load_b64 v[127:128], v131, off
	ds_load_b64 v[134:135], v130
	s_waitcnt vmcnt(0) lgkmcnt(0)
	v_mul_f64 v[127:128], v[127:128], v[134:135]
	s_cbranch_execz .LBB62_582
	s_branch .LBB62_583
.LBB62_581:
                                        ; implicit-def: $vgpr127_vgpr128
.LBB62_582:
	ds_load_b64 v[127:128], v130
.LBB62_583:
	s_and_saveexec_b32 s4, s0
	s_cbranch_execz .LBB62_587
; %bb.584:
	v_add_nc_u32_e32 v134, -4, v0
	s_movk_i32 s5, 0x220
	s_mov_b32 s0, 0
.LBB62_585:                             ; =>This Inner Loop Header: Depth=1
	scratch_load_b64 v[135:136], v133, off
	v_dual_mov_b32 v137, s5 :: v_dual_add_nc_u32 v134, -1, v134
	v_add_nc_u32_e32 v133, 8, v133
	s_add_i32 s5, s5, 8
	ds_load_b64 v[137:138], v137
	v_cmp_eq_u32_e32 vcc_lo, 0, v134
	s_or_b32 s0, vcc_lo, s0
	s_waitcnt vmcnt(0) lgkmcnt(0)
	v_fma_f64 v[127:128], v[135:136], v[137:138], v[127:128]
	s_and_not1_b32 exec_lo, exec_lo, s0
	s_cbranch_execnz .LBB62_585
; %bb.586:
	s_or_b32 exec_lo, exec_lo, s0
.LBB62_587:
	s_delay_alu instid0(SALU_CYCLE_1)
	s_or_b32 exec_lo, exec_lo, s4
	v_mov_b32_e32 v133, 0
	ds_load_b64 v[133:134], v133 offset:24
	s_waitcnt lgkmcnt(0)
	v_mul_f64 v[127:128], v[127:128], v[133:134]
	scratch_store_b64 off, v[127:128], off offset:24
.LBB62_588:
	s_or_b32 exec_lo, exec_lo, s2
	scratch_load_b64 v[127:128], off, off offset:16
	v_cmp_lt_u32_e64 s0, 2, v0
	s_waitcnt vmcnt(0)
	ds_store_b64 v130, v[127:128]
	s_waitcnt lgkmcnt(0)
	s_waitcnt_vscnt null, 0x0
	s_barrier
	buffer_gl0_inv
	s_and_saveexec_b32 s2, s0
	s_cbranch_execz .LBB62_598
; %bb.589:
	s_and_not1_b32 vcc_lo, exec_lo, s3
	s_cbranch_vccnz .LBB62_591
; %bb.590:
	scratch_load_b64 v[127:128], v131, off
	ds_load_b64 v[133:134], v130
	s_waitcnt vmcnt(0) lgkmcnt(0)
	v_mul_f64 v[127:128], v[127:128], v[133:134]
	s_cbranch_execz .LBB62_592
	s_branch .LBB62_593
.LBB62_591:
                                        ; implicit-def: $vgpr127_vgpr128
.LBB62_592:
	ds_load_b64 v[127:128], v130
.LBB62_593:
	s_and_saveexec_b32 s4, s1
	s_cbranch_execz .LBB62_597
; %bb.594:
	v_add_nc_u32_e64 v133, 0, 24
	v_add_nc_u32_e32 v134, -3, v0
	s_movk_i32 s5, 0x218
	s_mov_b32 s1, 0
.LBB62_595:                             ; =>This Inner Loop Header: Depth=1
	scratch_load_b64 v[135:136], v133, off
	v_dual_mov_b32 v137, s5 :: v_dual_add_nc_u32 v134, -1, v134
	v_add_nc_u32_e32 v133, 8, v133
	s_add_i32 s5, s5, 8
	ds_load_b64 v[137:138], v137
	v_cmp_eq_u32_e32 vcc_lo, 0, v134
	s_or_b32 s1, vcc_lo, s1
	s_waitcnt vmcnt(0) lgkmcnt(0)
	v_fma_f64 v[127:128], v[135:136], v[137:138], v[127:128]
	s_and_not1_b32 exec_lo, exec_lo, s1
	s_cbranch_execnz .LBB62_595
; %bb.596:
	s_or_b32 exec_lo, exec_lo, s1
.LBB62_597:
	s_delay_alu instid0(SALU_CYCLE_1)
	s_or_b32 exec_lo, exec_lo, s4
	v_mov_b32_e32 v133, 0
	ds_load_b64 v[133:134], v133 offset:16
	s_waitcnt lgkmcnt(0)
	v_mul_f64 v[127:128], v[127:128], v[133:134]
	scratch_store_b64 off, v[127:128], off offset:16
.LBB62_598:
	s_or_b32 exec_lo, exec_lo, s2
	scratch_load_b64 v[127:128], off, off offset:8
	v_cmp_lt_u32_e64 s1, 1, v0
	s_waitcnt vmcnt(0)
	ds_store_b64 v130, v[127:128]
	s_waitcnt lgkmcnt(0)
	s_waitcnt_vscnt null, 0x0
	s_barrier
	buffer_gl0_inv
	s_and_saveexec_b32 s2, s1
	s_cbranch_execz .LBB62_608
; %bb.599:
	s_and_not1_b32 vcc_lo, exec_lo, s3
	s_cbranch_vccnz .LBB62_601
; %bb.600:
	scratch_load_b64 v[127:128], v131, off
	ds_load_b64 v[133:134], v130
	s_waitcnt vmcnt(0) lgkmcnt(0)
	v_mul_f64 v[127:128], v[127:128], v[133:134]
	s_cbranch_execz .LBB62_602
	s_branch .LBB62_603
.LBB62_601:
                                        ; implicit-def: $vgpr127_vgpr128
.LBB62_602:
	ds_load_b64 v[127:128], v130
.LBB62_603:
	s_and_saveexec_b32 s4, s0
	s_cbranch_execz .LBB62_607
; %bb.604:
	v_add_nc_u32_e32 v133, -2, v0
	s_movk_i32 s5, 0x210
	s_mov_b32 s0, 0
.LBB62_605:                             ; =>This Inner Loop Header: Depth=1
	scratch_load_b64 v[134:135], v132, off
	v_dual_mov_b32 v136, s5 :: v_dual_add_nc_u32 v133, -1, v133
	v_add_nc_u32_e32 v132, 8, v132
	s_add_i32 s5, s5, 8
	ds_load_b64 v[136:137], v136
	v_cmp_eq_u32_e32 vcc_lo, 0, v133
	s_or_b32 s0, vcc_lo, s0
	s_waitcnt vmcnt(0) lgkmcnt(0)
	v_fma_f64 v[127:128], v[134:135], v[136:137], v[127:128]
	s_and_not1_b32 exec_lo, exec_lo, s0
	s_cbranch_execnz .LBB62_605
; %bb.606:
	s_or_b32 exec_lo, exec_lo, s0
.LBB62_607:
	s_delay_alu instid0(SALU_CYCLE_1)
	s_or_b32 exec_lo, exec_lo, s4
	v_mov_b32_e32 v132, 0
	ds_load_b64 v[132:133], v132 offset:8
	s_waitcnt lgkmcnt(0)
	v_mul_f64 v[127:128], v[127:128], v[132:133]
	scratch_store_b64 off, v[127:128], off offset:8
.LBB62_608:
	s_or_b32 exec_lo, exec_lo, s2
	scratch_load_b64 v[127:128], off, off
	s_mov_b32 s0, 0
	s_mov_b32 s2, exec_lo
	s_waitcnt vmcnt(0)
	ds_store_b64 v130, v[127:128]
	s_waitcnt lgkmcnt(0)
	s_waitcnt_vscnt null, 0x0
	s_barrier
	buffer_gl0_inv
	v_cmpx_ne_u32_e32 0, v0
	s_cbranch_execz .LBB62_618
; %bb.609:
	s_and_not1_b32 vcc_lo, exec_lo, s3
	s_cbranch_vccnz .LBB62_611
; %bb.610:
	scratch_load_b64 v[127:128], v131, off
	ds_load_b64 v[132:133], v130
	s_waitcnt vmcnt(0) lgkmcnt(0)
	v_mul_f64 v[127:128], v[127:128], v[132:133]
	s_cbranch_execz .LBB62_612
	s_branch .LBB62_613
.LBB62_611:
                                        ; implicit-def: $vgpr127_vgpr128
.LBB62_612:
	ds_load_b64 v[127:128], v130
.LBB62_613:
	s_and_saveexec_b32 s4, s1
	s_cbranch_execz .LBB62_617
; %bb.614:
	v_or_b32_e64 v132, 0, 8
	v_add_nc_u32_e32 v133, -1, v0
	s_movk_i32 s5, 0x208
	s_mov_b32 s1, 0
.LBB62_615:                             ; =>This Inner Loop Header: Depth=1
	scratch_load_b64 v[134:135], v132, off
	v_dual_mov_b32 v136, s5 :: v_dual_add_nc_u32 v133, -1, v133
	v_add_nc_u32_e32 v132, 8, v132
	s_add_i32 s5, s5, 8
	ds_load_b64 v[136:137], v136
	v_cmp_eq_u32_e32 vcc_lo, 0, v133
	s_or_b32 s1, vcc_lo, s1
	s_waitcnt vmcnt(0) lgkmcnt(0)
	v_fma_f64 v[127:128], v[134:135], v[136:137], v[127:128]
	s_and_not1_b32 exec_lo, exec_lo, s1
	s_cbranch_execnz .LBB62_615
; %bb.616:
	s_or_b32 exec_lo, exec_lo, s1
.LBB62_617:
	s_delay_alu instid0(SALU_CYCLE_1)
	s_or_b32 exec_lo, exec_lo, s4
	v_mov_b32_e32 v132, 0
	ds_load_b64 v[132:133], v132
	s_waitcnt lgkmcnt(0)
	v_mul_f64 v[127:128], v[127:128], v[132:133]
	scratch_store_b64 off, v[127:128], off
.LBB62_618:
	s_or_b32 exec_lo, exec_lo, s2
.LBB62_619:
	s_delay_alu instid0(SALU_CYCLE_1)
	s_and_b32 vcc_lo, exec_lo, s0
	s_cbranch_vccz .LBB62_1235
; %bb.620:
	scratch_load_b64 v[127:128], off, off offset:8
	v_cmp_eq_u32_e64 s0, 0, v0
	s_waitcnt vmcnt(0)
	ds_store_b64 v130, v[127:128]
	s_waitcnt lgkmcnt(0)
	s_waitcnt_vscnt null, 0x0
	s_barrier
	buffer_gl0_inv
	s_and_saveexec_b32 s1, s0
	s_cbranch_execz .LBB62_626
; %bb.621:
	s_and_b32 vcc_lo, exec_lo, s3
	s_cbranch_vccz .LBB62_623
; %bb.622:
	scratch_load_b64 v[127:128], v131, off
	ds_load_b64 v[132:133], v130
	s_waitcnt vmcnt(0) lgkmcnt(0)
	v_mul_f64 v[127:128], v[127:128], v[132:133]
	s_cbranch_execz .LBB62_624
	s_branch .LBB62_625
.LBB62_623:
                                        ; implicit-def: $vgpr127_vgpr128
.LBB62_624:
	ds_load_b64 v[127:128], v130
.LBB62_625:
	v_mov_b32_e32 v132, 0
	ds_load_b64 v[132:133], v132 offset:8
	s_waitcnt lgkmcnt(0)
	v_mul_f64 v[127:128], v[127:128], v[132:133]
	scratch_store_b64 off, v[127:128], off offset:8
.LBB62_626:
	s_or_b32 exec_lo, exec_lo, s1
	scratch_load_b64 v[127:128], off, off offset:16
	v_cndmask_b32_e64 v132, 0, 1, s3
	s_mov_b32 s1, exec_lo
	s_waitcnt vmcnt(0)
	ds_store_b64 v130, v[127:128]
	s_waitcnt lgkmcnt(0)
	s_waitcnt_vscnt null, 0x0
	s_barrier
	buffer_gl0_inv
	v_cmpx_gt_u32_e32 2, v0
	s_cbranch_execz .LBB62_634
; %bb.627:
	s_and_not1_b32 vcc_lo, exec_lo, s3
	s_cbranch_vccnz .LBB62_629
; %bb.628:
	scratch_load_b64 v[127:128], v131, off
	ds_load_b64 v[133:134], v130
	s_waitcnt vmcnt(0) lgkmcnt(0)
	v_mul_f64 v[127:128], v[127:128], v[133:134]
	s_cbranch_execz .LBB62_630
	s_branch .LBB62_631
.LBB62_629:
                                        ; implicit-def: $vgpr127_vgpr128
.LBB62_630:
	ds_load_b64 v[127:128], v130
.LBB62_631:
	s_and_saveexec_b32 s2, s0
	s_cbranch_execz .LBB62_633
; %bb.632:
	scratch_load_b64 v[133:134], v131, off offset:8
	ds_load_b64 v[135:136], v130 offset:8
	s_waitcnt vmcnt(0) lgkmcnt(0)
	v_fma_f64 v[127:128], v[133:134], v[135:136], v[127:128]
.LBB62_633:
	s_or_b32 exec_lo, exec_lo, s2
	v_mov_b32_e32 v133, 0
	ds_load_b64 v[133:134], v133 offset:16
	s_waitcnt lgkmcnt(0)
	v_mul_f64 v[127:128], v[127:128], v[133:134]
	scratch_store_b64 off, v[127:128], off offset:16
.LBB62_634:
	s_or_b32 exec_lo, exec_lo, s1
	scratch_load_b64 v[127:128], off, off offset:24
	s_mov_b32 s1, exec_lo
	s_waitcnt vmcnt(0)
	ds_store_b64 v130, v[127:128]
	s_waitcnt lgkmcnt(0)
	s_waitcnt_vscnt null, 0x0
	s_barrier
	buffer_gl0_inv
	v_cmpx_gt_u32_e32 3, v0
	s_cbranch_execz .LBB62_644
; %bb.635:
	v_cmp_ne_u32_e32 vcc_lo, 1, v132
	s_cbranch_vccnz .LBB62_637
; %bb.636:
	scratch_load_b64 v[127:128], v131, off
	ds_load_b64 v[133:134], v130
	s_waitcnt vmcnt(0) lgkmcnt(0)
	v_mul_f64 v[127:128], v[127:128], v[133:134]
	s_cbranch_execz .LBB62_638
	s_branch .LBB62_639
.LBB62_637:
                                        ; implicit-def: $vgpr127_vgpr128
.LBB62_638:
	ds_load_b64 v[127:128], v130
.LBB62_639:
	s_mov_b32 s2, exec_lo
	v_cmpx_ne_u32_e32 2, v0
	s_cbranch_execz .LBB62_643
; %bb.640:
	scratch_load_b64 v[133:134], v131, off offset:8
	ds_load_b64 v[135:136], v130 offset:8
	s_waitcnt vmcnt(0) lgkmcnt(0)
	v_fma_f64 v[127:128], v[133:134], v[135:136], v[127:128]
	s_and_saveexec_b32 s3, s0
	s_cbranch_execz .LBB62_642
; %bb.641:
	scratch_load_b64 v[133:134], off, off offset:16
	v_mov_b32_e32 v135, 0
	ds_load_b64 v[135:136], v135 offset:528
	s_waitcnt vmcnt(0) lgkmcnt(0)
	v_fma_f64 v[127:128], v[133:134], v[135:136], v[127:128]
.LBB62_642:
	s_or_b32 exec_lo, exec_lo, s3
.LBB62_643:
	s_delay_alu instid0(SALU_CYCLE_1)
	s_or_b32 exec_lo, exec_lo, s2
	v_mov_b32_e32 v133, 0
	ds_load_b64 v[133:134], v133 offset:24
	s_waitcnt lgkmcnt(0)
	v_mul_f64 v[127:128], v[127:128], v[133:134]
	scratch_store_b64 off, v[127:128], off offset:24
.LBB62_644:
	s_or_b32 exec_lo, exec_lo, s1
	scratch_load_b64 v[127:128], off, off offset:32
	s_mov_b32 s0, exec_lo
	s_waitcnt vmcnt(0)
	ds_store_b64 v130, v[127:128]
	s_waitcnt lgkmcnt(0)
	s_waitcnt_vscnt null, 0x0
	s_barrier
	buffer_gl0_inv
	v_cmpx_gt_u32_e32 4, v0
	s_cbranch_execz .LBB62_654
; %bb.645:
	v_cmp_ne_u32_e32 vcc_lo, 1, v132
	s_cbranch_vccnz .LBB62_647
; %bb.646:
	scratch_load_b64 v[127:128], v131, off
	ds_load_b64 v[133:134], v130
	s_waitcnt vmcnt(0) lgkmcnt(0)
	v_mul_f64 v[127:128], v[127:128], v[133:134]
	s_cbranch_execz .LBB62_648
	s_branch .LBB62_649
.LBB62_647:
                                        ; implicit-def: $vgpr127_vgpr128
.LBB62_648:
	ds_load_b64 v[127:128], v130
.LBB62_649:
	s_mov_b32 s1, exec_lo
	v_cmpx_ne_u32_e32 3, v0
	s_cbranch_execz .LBB62_653
; %bb.650:
	v_add_nc_u32_e32 v133, 0x208, v129
	v_add3_u32 v134, 0, v129, 8
	v_mov_b32_e32 v135, v0
	s_mov_b32 s2, 0
.LBB62_651:                             ; =>This Inner Loop Header: Depth=1
	scratch_load_b64 v[136:137], v134, off
	ds_load_b64 v[138:139], v133
	v_add_nc_u32_e32 v135, 1, v135
	v_add_nc_u32_e32 v133, 8, v133
	v_add_nc_u32_e32 v134, 8, v134
	s_delay_alu instid0(VALU_DEP_3)
	v_cmp_lt_u32_e32 vcc_lo, 2, v135
	s_or_b32 s2, vcc_lo, s2
	s_waitcnt vmcnt(0) lgkmcnt(0)
	v_fma_f64 v[127:128], v[136:137], v[138:139], v[127:128]
	s_and_not1_b32 exec_lo, exec_lo, s2
	s_cbranch_execnz .LBB62_651
; %bb.652:
	s_or_b32 exec_lo, exec_lo, s2
.LBB62_653:
	s_delay_alu instid0(SALU_CYCLE_1)
	s_or_b32 exec_lo, exec_lo, s1
	v_mov_b32_e32 v133, 0
	ds_load_b64 v[133:134], v133 offset:32
	s_waitcnt lgkmcnt(0)
	v_mul_f64 v[127:128], v[127:128], v[133:134]
	scratch_store_b64 off, v[127:128], off offset:32
.LBB62_654:
	s_or_b32 exec_lo, exec_lo, s0
	scratch_load_b64 v[127:128], off, off offset:40
	s_mov_b32 s0, exec_lo
	s_waitcnt vmcnt(0)
	ds_store_b64 v130, v[127:128]
	s_waitcnt lgkmcnt(0)
	s_waitcnt_vscnt null, 0x0
	s_barrier
	buffer_gl0_inv
	v_cmpx_gt_u32_e32 5, v0
	s_cbranch_execz .LBB62_664
; %bb.655:
	v_cmp_ne_u32_e32 vcc_lo, 1, v132
	s_cbranch_vccnz .LBB62_657
; %bb.656:
	scratch_load_b64 v[127:128], v131, off
	ds_load_b64 v[133:134], v130
	s_waitcnt vmcnt(0) lgkmcnt(0)
	v_mul_f64 v[127:128], v[127:128], v[133:134]
	s_cbranch_execz .LBB62_658
	s_branch .LBB62_659
.LBB62_657:
                                        ; implicit-def: $vgpr127_vgpr128
.LBB62_658:
	ds_load_b64 v[127:128], v130
.LBB62_659:
	s_mov_b32 s1, exec_lo
	v_cmpx_ne_u32_e32 4, v0
	s_cbranch_execz .LBB62_663
; %bb.660:
	v_add_nc_u32_e32 v133, 0x208, v129
	v_add3_u32 v134, 0, v129, 8
	v_mov_b32_e32 v135, v0
	s_mov_b32 s2, 0
.LBB62_661:                             ; =>This Inner Loop Header: Depth=1
	scratch_load_b64 v[136:137], v134, off
	ds_load_b64 v[138:139], v133
	v_add_nc_u32_e32 v135, 1, v135
	v_add_nc_u32_e32 v133, 8, v133
	v_add_nc_u32_e32 v134, 8, v134
	s_delay_alu instid0(VALU_DEP_3)
	v_cmp_lt_u32_e32 vcc_lo, 3, v135
	s_or_b32 s2, vcc_lo, s2
	s_waitcnt vmcnt(0) lgkmcnt(0)
	v_fma_f64 v[127:128], v[136:137], v[138:139], v[127:128]
	s_and_not1_b32 exec_lo, exec_lo, s2
	s_cbranch_execnz .LBB62_661
; %bb.662:
	s_or_b32 exec_lo, exec_lo, s2
.LBB62_663:
	s_delay_alu instid0(SALU_CYCLE_1)
	s_or_b32 exec_lo, exec_lo, s1
	v_mov_b32_e32 v133, 0
	ds_load_b64 v[133:134], v133 offset:40
	s_waitcnt lgkmcnt(0)
	v_mul_f64 v[127:128], v[127:128], v[133:134]
	scratch_store_b64 off, v[127:128], off offset:40
.LBB62_664:
	;; [unrolled: 58-line block ×35, first 2 shown]
	s_or_b32 exec_lo, exec_lo, s0
	scratch_load_b64 v[127:128], off, off offset:312
	s_mov_b32 s0, exec_lo
	s_waitcnt vmcnt(0)
	ds_store_b64 v130, v[127:128]
	s_waitcnt lgkmcnt(0)
	s_waitcnt_vscnt null, 0x0
	s_barrier
	buffer_gl0_inv
	v_cmpx_gt_u32_e32 39, v0
	s_cbranch_execz .LBB62_1004
; %bb.995:
	v_cmp_ne_u32_e32 vcc_lo, 1, v132
	s_cbranch_vccnz .LBB62_997
; %bb.996:
	scratch_load_b64 v[127:128], v131, off
	ds_load_b64 v[133:134], v130
	s_waitcnt vmcnt(0) lgkmcnt(0)
	v_mul_f64 v[127:128], v[127:128], v[133:134]
	s_cbranch_execz .LBB62_998
	s_branch .LBB62_999
.LBB62_997:
                                        ; implicit-def: $vgpr127_vgpr128
.LBB62_998:
	ds_load_b64 v[127:128], v130
.LBB62_999:
	s_mov_b32 s1, exec_lo
	v_cmpx_ne_u32_e32 38, v0
	s_cbranch_execz .LBB62_1003
; %bb.1000:
	v_add_nc_u32_e32 v133, 0x208, v129
	v_add3_u32 v134, 0, v129, 8
	v_mov_b32_e32 v135, v0
	s_mov_b32 s2, 0
.LBB62_1001:                            ; =>This Inner Loop Header: Depth=1
	scratch_load_b64 v[136:137], v134, off
	ds_load_b64 v[138:139], v133
	v_add_nc_u32_e32 v135, 1, v135
	v_add_nc_u32_e32 v133, 8, v133
	v_add_nc_u32_e32 v134, 8, v134
	s_delay_alu instid0(VALU_DEP_3)
	v_cmp_lt_u32_e32 vcc_lo, 37, v135
	s_or_b32 s2, vcc_lo, s2
	s_waitcnt vmcnt(0) lgkmcnt(0)
	v_fma_f64 v[127:128], v[136:137], v[138:139], v[127:128]
	s_and_not1_b32 exec_lo, exec_lo, s2
	s_cbranch_execnz .LBB62_1001
; %bb.1002:
	s_or_b32 exec_lo, exec_lo, s2
.LBB62_1003:
	s_delay_alu instid0(SALU_CYCLE_1)
	s_or_b32 exec_lo, exec_lo, s1
	v_mov_b32_e32 v133, 0
	ds_load_b64 v[133:134], v133 offset:312
	s_waitcnt lgkmcnt(0)
	v_mul_f64 v[127:128], v[127:128], v[133:134]
	scratch_store_b64 off, v[127:128], off offset:312
.LBB62_1004:
	s_or_b32 exec_lo, exec_lo, s0
	scratch_load_b64 v[127:128], off, off offset:320
	s_mov_b32 s0, exec_lo
	s_waitcnt vmcnt(0)
	ds_store_b64 v130, v[127:128]
	s_waitcnt lgkmcnt(0)
	s_waitcnt_vscnt null, 0x0
	s_barrier
	buffer_gl0_inv
	v_cmpx_gt_u32_e32 40, v0
	s_cbranch_execz .LBB62_1014
; %bb.1005:
	v_cmp_ne_u32_e32 vcc_lo, 1, v132
	s_cbranch_vccnz .LBB62_1007
; %bb.1006:
	scratch_load_b64 v[127:128], v131, off
	ds_load_b64 v[133:134], v130
	s_waitcnt vmcnt(0) lgkmcnt(0)
	v_mul_f64 v[127:128], v[127:128], v[133:134]
	s_cbranch_execz .LBB62_1008
	s_branch .LBB62_1009
.LBB62_1007:
                                        ; implicit-def: $vgpr127_vgpr128
.LBB62_1008:
	ds_load_b64 v[127:128], v130
.LBB62_1009:
	s_mov_b32 s1, exec_lo
	v_cmpx_ne_u32_e32 39, v0
	s_cbranch_execz .LBB62_1013
; %bb.1010:
	v_add_nc_u32_e32 v133, 0x208, v129
	v_add3_u32 v134, 0, v129, 8
	v_mov_b32_e32 v135, v0
	s_mov_b32 s2, 0
.LBB62_1011:                            ; =>This Inner Loop Header: Depth=1
	scratch_load_b64 v[136:137], v134, off
	ds_load_b64 v[138:139], v133
	v_add_nc_u32_e32 v135, 1, v135
	v_add_nc_u32_e32 v133, 8, v133
	v_add_nc_u32_e32 v134, 8, v134
	s_delay_alu instid0(VALU_DEP_3)
	v_cmp_lt_u32_e32 vcc_lo, 38, v135
	s_or_b32 s2, vcc_lo, s2
	s_waitcnt vmcnt(0) lgkmcnt(0)
	v_fma_f64 v[127:128], v[136:137], v[138:139], v[127:128]
	s_and_not1_b32 exec_lo, exec_lo, s2
	s_cbranch_execnz .LBB62_1011
; %bb.1012:
	s_or_b32 exec_lo, exec_lo, s2
.LBB62_1013:
	s_delay_alu instid0(SALU_CYCLE_1)
	s_or_b32 exec_lo, exec_lo, s1
	v_mov_b32_e32 v133, 0
	ds_load_b64 v[133:134], v133 offset:320
	s_waitcnt lgkmcnt(0)
	v_mul_f64 v[127:128], v[127:128], v[133:134]
	scratch_store_b64 off, v[127:128], off offset:320
.LBB62_1014:
	;; [unrolled: 58-line block ×22, first 2 shown]
	s_or_b32 exec_lo, exec_lo, s0
	scratch_load_b64 v[127:128], off, off offset:488
	v_cmp_gt_u32_e64 s0, 61, v0
	s_waitcnt vmcnt(0)
	ds_store_b64 v130, v[127:128]
	s_waitcnt lgkmcnt(0)
	s_waitcnt_vscnt null, 0x0
	s_barrier
	buffer_gl0_inv
	s_and_saveexec_b32 s1, s0
	s_cbranch_execz .LBB62_1224
; %bb.1215:
	v_cmp_ne_u32_e32 vcc_lo, 1, v132
	s_cbranch_vccnz .LBB62_1217
; %bb.1216:
	scratch_load_b64 v[127:128], v131, off
	ds_load_b64 v[133:134], v130
	s_waitcnt vmcnt(0) lgkmcnt(0)
	v_mul_f64 v[127:128], v[127:128], v[133:134]
	s_cbranch_execz .LBB62_1218
	s_branch .LBB62_1219
.LBB62_1217:
                                        ; implicit-def: $vgpr127_vgpr128
.LBB62_1218:
	ds_load_b64 v[127:128], v130
.LBB62_1219:
	s_mov_b32 s2, exec_lo
	v_cmpx_ne_u32_e32 60, v0
	s_cbranch_execz .LBB62_1223
; %bb.1220:
	v_add_nc_u32_e32 v133, 0x208, v129
	v_add3_u32 v134, 0, v129, 8
	v_mov_b32_e32 v135, v0
	s_mov_b32 s3, 0
.LBB62_1221:                            ; =>This Inner Loop Header: Depth=1
	scratch_load_b64 v[136:137], v134, off
	ds_load_b64 v[138:139], v133
	v_add_nc_u32_e32 v135, 1, v135
	v_add_nc_u32_e32 v133, 8, v133
	;; [unrolled: 1-line block ×3, first 2 shown]
	s_delay_alu instid0(VALU_DEP_3)
	v_cmp_lt_u32_e32 vcc_lo, 59, v135
	s_or_b32 s3, vcc_lo, s3
	s_waitcnt vmcnt(0) lgkmcnt(0)
	v_fma_f64 v[127:128], v[136:137], v[138:139], v[127:128]
	s_and_not1_b32 exec_lo, exec_lo, s3
	s_cbranch_execnz .LBB62_1221
; %bb.1222:
	s_or_b32 exec_lo, exec_lo, s3
.LBB62_1223:
	s_delay_alu instid0(SALU_CYCLE_1)
	s_or_b32 exec_lo, exec_lo, s2
	v_mov_b32_e32 v133, 0
	ds_load_b64 v[133:134], v133 offset:488
	s_waitcnt lgkmcnt(0)
	v_mul_f64 v[127:128], v[127:128], v[133:134]
	scratch_store_b64 off, v[127:128], off offset:488
.LBB62_1224:
	s_or_b32 exec_lo, exec_lo, s1
	scratch_load_b64 v[127:128], off, off offset:496
	s_mov_b32 s1, exec_lo
	s_waitcnt vmcnt(0)
	ds_store_b64 v130, v[127:128]
	s_waitcnt lgkmcnt(0)
	s_waitcnt_vscnt null, 0x0
	s_barrier
	buffer_gl0_inv
	v_cmpx_ne_u32_e32 62, v0
	s_cbranch_execz .LBB62_1234
; %bb.1225:
	v_cmp_ne_u32_e32 vcc_lo, 1, v132
	s_cbranch_vccnz .LBB62_1227
; %bb.1226:
	scratch_load_b64 v[127:128], v131, off
	ds_load_b64 v[131:132], v130
	s_waitcnt vmcnt(0) lgkmcnt(0)
	v_mul_f64 v[127:128], v[127:128], v[131:132]
	s_cbranch_execz .LBB62_1228
	s_branch .LBB62_1229
.LBB62_1227:
                                        ; implicit-def: $vgpr127_vgpr128
.LBB62_1228:
	ds_load_b64 v[127:128], v130
.LBB62_1229:
	s_and_saveexec_b32 s2, s0
	s_cbranch_execz .LBB62_1233
; %bb.1230:
	v_add_nc_u32_e32 v130, 0x208, v129
	v_add3_u32 v129, 0, v129, 8
	s_mov_b32 s0, 0
.LBB62_1231:                            ; =>This Inner Loop Header: Depth=1
	scratch_load_b64 v[131:132], v129, off
	ds_load_b64 v[133:134], v130
	v_add_nc_u32_e32 v0, 1, v0
	v_add_nc_u32_e32 v130, 8, v130
	;; [unrolled: 1-line block ×3, first 2 shown]
	s_delay_alu instid0(VALU_DEP_3)
	v_cmp_lt_u32_e32 vcc_lo, 60, v0
	s_or_b32 s0, vcc_lo, s0
	s_waitcnt vmcnt(0) lgkmcnt(0)
	v_fma_f64 v[127:128], v[131:132], v[133:134], v[127:128]
	s_and_not1_b32 exec_lo, exec_lo, s0
	s_cbranch_execnz .LBB62_1231
; %bb.1232:
	s_or_b32 exec_lo, exec_lo, s0
.LBB62_1233:
	s_delay_alu instid0(SALU_CYCLE_1)
	s_or_b32 exec_lo, exec_lo, s2
	v_mov_b32_e32 v0, 0
	ds_load_b64 v[129:130], v0 offset:496
	s_waitcnt lgkmcnt(0)
	v_mul_f64 v[127:128], v[127:128], v[129:130]
	scratch_store_b64 off, v[127:128], off offset:496
.LBB62_1234:
	s_or_b32 exec_lo, exec_lo, s1
.LBB62_1235:
	s_clause 0xa
	scratch_load_b128 v[127:130], off, off
	scratch_load_b128 v[131:134], off, off offset:16
	scratch_load_b128 v[135:138], off, off offset:32
	;; [unrolled: 1-line block ×10, first 2 shown]
	s_waitcnt vmcnt(10)
	s_clause 0x1
	global_store_b64 v[45:46], v[127:128], off
	global_store_b64 v[33:34], v[129:130], off
	scratch_load_b128 v[127:130], off, off offset:160
	s_waitcnt vmcnt(10)
	s_clause 0x1
	global_store_b64 v[27:28], v[131:132], off
	global_store_b64 v[29:30], v[133:134], off
	scratch_load_b128 v[27:30], off, off offset:192
	s_waitcnt vmcnt(10)
	s_clause 0x1
	global_store_b64 v[23:24], v[135:136], off
	global_store_b64 v[15:16], v[137:138], off
	s_waitcnt vmcnt(9)
	s_clause 0x1
	global_store_b64 v[21:22], v[139:140], off
	global_store_b64 v[17:18], v[141:142], off
	;; [unrolled: 4-line block ×8, first 2 shown]
	s_clause 0xf
	scratch_load_b128 v[131:134], off, off offset:208
	scratch_load_b128 v[135:138], off, off offset:224
	;; [unrolled: 1-line block ×16, first 2 shown]
	s_waitcnt vmcnt(17)
	s_clause 0x1
	global_store_b64 v[35:36], v[127:128], off
	global_store_b64 v[25:26], v[129:130], off
	s_clause 0x2
	scratch_load_b128 v[33:36], off, off offset:464
	scratch_load_b128 v[127:130], off, off offset:480
	scratch_load_b64 v[25:26], off, off offset:496
	s_clause 0x1
	global_store_b64 v[19:20], v[167:168], off
	global_store_b64 v[31:32], v[169:170], off
	s_waitcnt vmcnt(19)
	s_clause 0x1
	global_store_b64 v[37:38], v[27:28], off
	global_store_b64 v[43:44], v[29:30], off
	s_waitcnt vmcnt(18)
	;; [unrolled: 4-line block ×20, first 2 shown]
	global_store_b64 v[1:2], v[25:26], off
.LBB62_1236:
	s_endpgm
	.section	.rodata,"a",@progbits
	.p2align	6, 0x0
	.amdhsa_kernel _ZN9rocsolver6v33100L18trti2_kernel_smallILi63EdPdEEv13rocblas_fill_17rocblas_diagonal_T1_iil
		.amdhsa_group_segment_fixed_size 1016
		.amdhsa_private_segment_fixed_size 512
		.amdhsa_kernarg_size 32
		.amdhsa_user_sgpr_count 15
		.amdhsa_user_sgpr_dispatch_ptr 0
		.amdhsa_user_sgpr_queue_ptr 0
		.amdhsa_user_sgpr_kernarg_segment_ptr 1
		.amdhsa_user_sgpr_dispatch_id 0
		.amdhsa_user_sgpr_private_segment_size 0
		.amdhsa_wavefront_size32 1
		.amdhsa_uses_dynamic_stack 0
		.amdhsa_enable_private_segment 1
		.amdhsa_system_sgpr_workgroup_id_x 1
		.amdhsa_system_sgpr_workgroup_id_y 0
		.amdhsa_system_sgpr_workgroup_id_z 0
		.amdhsa_system_sgpr_workgroup_info 0
		.amdhsa_system_vgpr_workitem_id 0
		.amdhsa_next_free_vgpr 180
		.amdhsa_next_free_sgpr 29
		.amdhsa_reserve_vcc 1
		.amdhsa_float_round_mode_32 0
		.amdhsa_float_round_mode_16_64 0
		.amdhsa_float_denorm_mode_32 3
		.amdhsa_float_denorm_mode_16_64 3
		.amdhsa_dx10_clamp 1
		.amdhsa_ieee_mode 1
		.amdhsa_fp16_overflow 0
		.amdhsa_workgroup_processor_mode 1
		.amdhsa_memory_ordered 1
		.amdhsa_forward_progress 0
		.amdhsa_shared_vgpr_count 0
		.amdhsa_exception_fp_ieee_invalid_op 0
		.amdhsa_exception_fp_denorm_src 0
		.amdhsa_exception_fp_ieee_div_zero 0
		.amdhsa_exception_fp_ieee_overflow 0
		.amdhsa_exception_fp_ieee_underflow 0
		.amdhsa_exception_fp_ieee_inexact 0
		.amdhsa_exception_int_div_zero 0
	.end_amdhsa_kernel
	.section	.text._ZN9rocsolver6v33100L18trti2_kernel_smallILi63EdPdEEv13rocblas_fill_17rocblas_diagonal_T1_iil,"axG",@progbits,_ZN9rocsolver6v33100L18trti2_kernel_smallILi63EdPdEEv13rocblas_fill_17rocblas_diagonal_T1_iil,comdat
.Lfunc_end62:
	.size	_ZN9rocsolver6v33100L18trti2_kernel_smallILi63EdPdEEv13rocblas_fill_17rocblas_diagonal_T1_iil, .Lfunc_end62-_ZN9rocsolver6v33100L18trti2_kernel_smallILi63EdPdEEv13rocblas_fill_17rocblas_diagonal_T1_iil
                                        ; -- End function
	.section	.AMDGPU.csdata,"",@progbits
; Kernel info:
; codeLenInByte = 34640
; NumSgprs: 31
; NumVgprs: 180
; ScratchSize: 512
; MemoryBound: 0
; FloatMode: 240
; IeeeMode: 1
; LDSByteSize: 1016 bytes/workgroup (compile time only)
; SGPRBlocks: 3
; VGPRBlocks: 22
; NumSGPRsForWavesPerEU: 31
; NumVGPRsForWavesPerEU: 180
; Occupancy: 8
; WaveLimiterHint : 0
; COMPUTE_PGM_RSRC2:SCRATCH_EN: 1
; COMPUTE_PGM_RSRC2:USER_SGPR: 15
; COMPUTE_PGM_RSRC2:TRAP_HANDLER: 0
; COMPUTE_PGM_RSRC2:TGID_X_EN: 1
; COMPUTE_PGM_RSRC2:TGID_Y_EN: 0
; COMPUTE_PGM_RSRC2:TGID_Z_EN: 0
; COMPUTE_PGM_RSRC2:TIDIG_COMP_CNT: 0
	.section	.text._ZN9rocsolver6v33100L18trti2_kernel_smallILi64EdPdEEv13rocblas_fill_17rocblas_diagonal_T1_iil,"axG",@progbits,_ZN9rocsolver6v33100L18trti2_kernel_smallILi64EdPdEEv13rocblas_fill_17rocblas_diagonal_T1_iil,comdat
	.globl	_ZN9rocsolver6v33100L18trti2_kernel_smallILi64EdPdEEv13rocblas_fill_17rocblas_diagonal_T1_iil ; -- Begin function _ZN9rocsolver6v33100L18trti2_kernel_smallILi64EdPdEEv13rocblas_fill_17rocblas_diagonal_T1_iil
	.p2align	8
	.type	_ZN9rocsolver6v33100L18trti2_kernel_smallILi64EdPdEEv13rocblas_fill_17rocblas_diagonal_T1_iil,@function
_ZN9rocsolver6v33100L18trti2_kernel_smallILi64EdPdEEv13rocblas_fill_17rocblas_diagonal_T1_iil: ; @_ZN9rocsolver6v33100L18trti2_kernel_smallILi64EdPdEEv13rocblas_fill_17rocblas_diagonal_T1_iil
; %bb.0:
	s_mov_b32 s2, exec_lo
	v_cmpx_gt_u32_e32 64, v0
	s_cbranch_execz .LBB63_1256
; %bb.1:
	s_load_b256 s[0:7], s[0:1], 0x0
	s_ashr_i32 s8, s15, 31
	v_lshlrev_b32_e32 v131, 3, v0
	s_waitcnt lgkmcnt(0)
	s_mul_i32 s7, s15, s7
	s_mul_hi_u32 s10, s15, s6
	v_add3_u32 v1, s5, s5, v0
	s_ashr_i32 s9, s4, 31
	s_mul_i32 s11, s8, s6
	s_mov_b32 s8, s4
	s_add_i32 s4, s10, s7
	s_mul_i32 s6, s15, s6
	s_add_i32 s7, s4, s11
	v_add_nc_u32_e32 v3, s5, v1
	s_lshl_b64 s[6:7], s[6:7], 3
	v_ashrrev_i32_e32 v2, 31, v1
	s_add_u32 s4, s2, s6
	s_addc_u32 s6, s3, s7
	s_lshl_b64 s[2:3], s[8:9], 3
	v_add_nc_u32_e32 v5, s5, v3
	s_add_u32 s2, s4, s2
	s_addc_u32 s3, s6, s3
	v_add_co_u32 v39, s4, s2, v131
	s_mov_b32 s10, s5
	v_ashrrev_i32_e32 v4, 31, v3
	s_ashr_i32 s11, s5, 31
	v_add_co_ci_u32_e64 v40, null, s3, 0, s4
	v_lshlrev_b64 v[1:2], 3, v[1:2]
	s_lshl_b64 s[6:7], s[10:11], 3
	v_add_nc_u32_e32 v9, s5, v5
	v_add_co_u32 v29, vcc_lo, v39, s6
	v_lshlrev_b64 v[3:4], 3, v[3:4]
	v_ashrrev_i32_e32 v6, 31, v5
	v_add_co_ci_u32_e32 v30, vcc_lo, s7, v40, vcc_lo
	v_add_nc_u32_e32 v11, s5, v9
	v_add_co_u32 v21, vcc_lo, s2, v1
	v_ashrrev_i32_e32 v10, 31, v9
	v_add_co_ci_u32_e32 v22, vcc_lo, s3, v2, vcc_lo
	v_lshlrev_b64 v[1:2], 3, v[5:6]
	s_clause 0x1
	global_load_b64 v[59:60], v131, s[2:3]
	global_load_b64 v[61:62], v[29:30], off
	v_add_co_u32 v7, vcc_lo, s2, v3
	v_add_nc_u32_e32 v13, s5, v11
	v_add_co_ci_u32_e32 v8, vcc_lo, s3, v4, vcc_lo
	v_lshlrev_b64 v[3:4], 3, v[9:10]
	v_ashrrev_i32_e32 v12, 31, v11
	v_add_co_u32 v19, vcc_lo, s2, v1
	s_clause 0x1
	global_load_b64 v[63:64], v[21:22], off
	global_load_b64 v[65:66], v[7:8], off
	v_add_co_ci_u32_e32 v20, vcc_lo, s3, v2, vcc_lo
	v_ashrrev_i32_e32 v14, 31, v13
	v_add_co_u32 v5, vcc_lo, s2, v3
	v_lshlrev_b64 v[1:2], 3, v[11:12]
	v_add_co_ci_u32_e32 v6, vcc_lo, s3, v4, vcc_lo
	v_add_nc_u32_e32 v15, s5, v13
	v_lshlrev_b64 v[3:4], 3, v[13:14]
	s_clause 0x1
	global_load_b64 v[67:68], v[19:20], off
	global_load_b64 v[69:70], v[5:6], off
	v_add_co_u32 v17, vcc_lo, s2, v1
	v_add_nc_u32_e32 v23, s5, v15
	v_add_co_ci_u32_e32 v18, vcc_lo, s3, v2, vcc_lo
	v_add_co_u32 v3, vcc_lo, s2, v3
	v_ashrrev_i32_e32 v16, 31, v15
	v_add_co_ci_u32_e32 v4, vcc_lo, s3, v4, vcc_lo
	v_ashrrev_i32_e32 v24, 31, v23
	s_clause 0x1
	global_load_b64 v[71:72], v[17:18], off
	global_load_b64 v[73:74], v[3:4], off
	v_lshlrev_b64 v[1:2], 3, v[15:16]
	v_add_nc_u32_e32 v25, s5, v23
	v_lshlrev_b64 v[12:13], 3, v[23:24]
	s_cmpk_lg_i32 s1, 0x84
	s_delay_alu instid0(VALU_DEP_3) | instskip(NEXT) | instid1(VALU_DEP_4)
	v_add_co_u32 v9, vcc_lo, s2, v1
	v_add_co_ci_u32_e32 v10, vcc_lo, s3, v2, vcc_lo
	s_delay_alu instid0(VALU_DEP_3) | instskip(NEXT) | instid1(VALU_DEP_4)
	v_add_co_u32 v1, vcc_lo, s2, v12
	v_add_co_ci_u32_e32 v2, vcc_lo, s3, v13, vcc_lo
	s_clause 0x1
	global_load_b64 v[75:76], v[9:10], off
	global_load_b64 v[77:78], v[1:2], off
	v_add_nc_u32_e32 v27, s5, v25
	v_ashrrev_i32_e32 v26, 31, v25
	s_delay_alu instid0(VALU_DEP_2) | instskip(SKIP_1) | instid1(VALU_DEP_3)
	v_add_nc_u32_e32 v31, s5, v27
	v_ashrrev_i32_e32 v28, 31, v27
	v_lshlrev_b64 v[12:13], 3, v[25:26]
	s_delay_alu instid0(VALU_DEP_3) | instskip(NEXT) | instid1(VALU_DEP_3)
	v_add_nc_u32_e32 v33, s5, v31
	v_lshlrev_b64 v[14:15], 3, v[27:28]
	v_ashrrev_i32_e32 v32, 31, v31
	s_delay_alu instid0(VALU_DEP_4) | instskip(NEXT) | instid1(VALU_DEP_4)
	v_add_co_u32 v41, vcc_lo, s2, v12
	v_add_nc_u32_e32 v35, s5, v33
	v_ashrrev_i32_e32 v34, 31, v33
	v_add_co_ci_u32_e32 v42, vcc_lo, s3, v13, vcc_lo
	v_lshlrev_b64 v[12:13], 3, v[31:32]
	s_delay_alu instid0(VALU_DEP_4) | instskip(SKIP_2) | instid1(VALU_DEP_3)
	v_add_nc_u32_e32 v43, s5, v35
	v_add_co_u32 v37, vcc_lo, s2, v14
	v_add_co_ci_u32_e32 v38, vcc_lo, s3, v15, vcc_lo
	v_add_nc_u32_e32 v45, s5, v43
	v_lshlrev_b64 v[14:15], 3, v[33:34]
	v_ashrrev_i32_e32 v36, 31, v35
	v_add_co_u32 v33, vcc_lo, s2, v12
	s_delay_alu instid0(VALU_DEP_4) | instskip(SKIP_3) | instid1(VALU_DEP_4)
	v_add_nc_u32_e32 v11, s5, v45
	v_ashrrev_i32_e32 v44, 31, v43
	v_add_co_ci_u32_e32 v34, vcc_lo, s3, v13, vcc_lo
	v_lshlrev_b64 v[12:13], 3, v[35:36]
	v_add_nc_u32_e32 v47, s5, v11
	v_add_co_u32 v31, vcc_lo, s2, v14
	v_ashrrev_i32_e32 v46, 31, v45
	v_add_co_ci_u32_e32 v32, vcc_lo, s3, v15, vcc_lo
	s_delay_alu instid0(VALU_DEP_4) | instskip(SKIP_3) | instid1(VALU_DEP_4)
	v_add_nc_u32_e32 v49, s5, v47
	v_lshlrev_b64 v[14:15], 3, v[43:44]
	v_add_co_u32 v23, vcc_lo, s2, v12
	v_lshlrev_b64 v[27:28], 3, v[45:46]
	v_add_nc_u32_e32 v51, s5, v49
	v_ashrrev_i32_e32 v12, 31, v11
	v_add_co_ci_u32_e32 v24, vcc_lo, s3, v13, vcc_lo
	v_add_co_u32 v25, vcc_lo, s2, v14
	s_delay_alu instid0(VALU_DEP_4) | instskip(SKIP_3) | instid1(VALU_DEP_4)
	v_add_nc_u32_e32 v53, s5, v51
	v_ashrrev_i32_e32 v48, 31, v47
	v_add_co_ci_u32_e32 v26, vcc_lo, s3, v15, vcc_lo
	v_lshlrev_b64 v[11:12], 3, v[11:12]
	v_add_nc_u32_e32 v55, s5, v53
	v_add_co_u32 v13, vcc_lo, s2, v27
	v_ashrrev_i32_e32 v50, 31, v49
	v_add_co_ci_u32_e32 v14, vcc_lo, s3, v28, vcc_lo
	s_delay_alu instid0(VALU_DEP_4) | instskip(SKIP_3) | instid1(VALU_DEP_4)
	v_add_nc_u32_e32 v57, s5, v55
	v_lshlrev_b64 v[27:28], 3, v[47:48]
	v_ashrrev_i32_e32 v52, 31, v51
	v_add_co_u32 v15, vcc_lo, s2, v11
	v_add_nc_u32_e32 v83, s5, v57
	v_lshlrev_b64 v[35:36], 3, v[49:50]
	v_ashrrev_i32_e32 v54, 31, v53
	v_add_co_ci_u32_e32 v16, vcc_lo, s3, v12, vcc_lo
	s_delay_alu instid0(VALU_DEP_4)
	v_add_nc_u32_e32 v103, s5, v83
	s_clause 0x2
	global_load_b64 v[79:80], v[41:42], off
	global_load_b64 v[81:82], v[37:38], off
	global_load_b64 v[85:86], v[33:34], off
	v_add_co_u32 v11, vcc_lo, s2, v27
	v_lshlrev_b64 v[43:44], 3, v[51:52]
	v_add_nc_u32_e32 v109, s5, v103
	v_ashrrev_i32_e32 v56, 31, v55
	v_add_co_ci_u32_e32 v12, vcc_lo, s3, v28, vcc_lo
	v_add_co_u32 v27, vcc_lo, s2, v35
	s_delay_alu instid0(VALU_DEP_4) | instskip(SKIP_3) | instid1(VALU_DEP_4)
	v_add_nc_u32_e32 v111, s5, v109
	v_lshlrev_b64 v[45:46], 3, v[53:54]
	v_add_co_ci_u32_e32 v28, vcc_lo, s3, v36, vcc_lo
	v_add_co_u32 v35, vcc_lo, s2, v43
	v_add_nc_u32_e32 v113, s5, v111
	v_lshlrev_b64 v[47:48], 3, v[55:56]
	v_ashrrev_i32_e32 v58, 31, v57
	v_add_co_ci_u32_e32 v36, vcc_lo, s3, v44, vcc_lo
	s_delay_alu instid0(VALU_DEP_4) | instskip(SKIP_3) | instid1(VALU_DEP_4)
	v_add_nc_u32_e32 v117, s5, v113
	v_add_co_u32 v43, vcc_lo, s2, v45
	v_ashrrev_i32_e32 v84, 31, v83
	v_add_co_ci_u32_e32 v44, vcc_lo, s3, v46, vcc_lo
	v_add_nc_u32_e32 v119, s5, v117
	v_lshlrev_b64 v[49:50], 3, v[57:58]
	s_clause 0x3
	global_load_b64 v[87:88], v[31:32], off
	global_load_b64 v[89:90], v[23:24], off
	global_load_b64 v[91:92], v[25:26], off
	global_load_b64 v[93:94], v[13:14], off
	v_add_co_u32 v45, vcc_lo, s2, v47
	v_add_nc_u32_e32 v121, s5, v119
	v_add_co_ci_u32_e32 v46, vcc_lo, s3, v48, vcc_lo
	v_lshlrev_b64 v[47:48], 3, v[83:84]
	v_add_co_u32 v49, vcc_lo, s2, v49
	s_delay_alu instid0(VALU_DEP_4) | instskip(SKIP_3) | instid1(VALU_DEP_4)
	v_add_nc_u32_e32 v123, s5, v121
	v_ashrrev_i32_e32 v104, 31, v103
	v_add_co_ci_u32_e32 v50, vcc_lo, s3, v50, vcc_lo
	v_add_co_u32 v51, vcc_lo, s2, v47
	v_add_nc_u32_e32 v125, s5, v123
	v_ashrrev_i32_e32 v110, 31, v109
	s_clause 0x3
	global_load_b64 v[95:96], v[15:16], off
	global_load_b64 v[97:98], v[11:12], off
	;; [unrolled: 1-line block ×4, first 2 shown]
	v_lshlrev_b64 v[53:54], 3, v[103:104]
	v_add_co_ci_u32_e32 v52, vcc_lo, s3, v48, vcc_lo
	v_add_nc_u32_e32 v129, s5, v125
	v_lshlrev_b64 v[55:56], 3, v[109:110]
	v_ashrrev_i32_e32 v112, 31, v111
	v_add_co_u32 v53, vcc_lo, s2, v53
	s_delay_alu instid0(VALU_DEP_4) | instskip(SKIP_3) | instid1(VALU_DEP_4)
	v_add_nc_u32_e32 v132, s5, v129
	v_ashrrev_i32_e32 v114, 31, v113
	v_add_co_ci_u32_e32 v54, vcc_lo, s3, v54, vcc_lo
	v_lshlrev_b64 v[57:58], 3, v[111:112]
	v_add_nc_u32_e32 v140, s5, v132
	v_add_co_u32 v55, vcc_lo, s2, v55
	s_clause 0x2
	global_load_b64 v[103:104], v[43:44], off
	global_load_b64 v[105:106], v[45:46], off
	global_load_b64 v[107:108], v[49:50], off
	v_add_co_ci_u32_e32 v56, vcc_lo, s3, v56, vcc_lo
	v_add_nc_u32_e32 v142, s5, v140
	v_lshlrev_b64 v[83:84], 3, v[113:114]
	v_ashrrev_i32_e32 v118, 31, v117
	v_ashrrev_i32_e32 v120, 31, v119
	;; [unrolled: 1-line block ×3, first 2 shown]
	v_add_nc_u32_e32 v144, s5, v142
	global_load_b64 v[109:110], v[51:52], off
	v_ashrrev_i32_e32 v124, 31, v123
	v_ashrrev_i32_e32 v126, 31, v125
	;; [unrolled: 1-line block ×3, first 2 shown]
	v_add_nc_u32_e32 v146, s5, v144
	v_ashrrev_i32_e32 v133, 31, v132
	v_ashrrev_i32_e32 v141, 31, v140
	;; [unrolled: 1-line block ×4, first 2 shown]
	v_add_nc_u32_e32 v148, s5, v146
	v_ashrrev_i32_e32 v147, 31, v146
	s_delay_alu instid0(VALU_DEP_2) | instskip(SKIP_1) | instid1(VALU_DEP_2)
	v_add_nc_u32_e32 v150, s5, v148
	v_ashrrev_i32_e32 v149, 31, v148
	v_add_nc_u32_e32 v152, s5, v150
	v_ashrrev_i32_e32 v151, 31, v150
	s_delay_alu instid0(VALU_DEP_2) | instskip(SKIP_1) | instid1(VALU_DEP_2)
	v_add_nc_u32_e32 v154, s5, v152
	v_ashrrev_i32_e32 v153, 31, v152
	;; [unrolled: 5-line block ×11, first 2 shown]
	v_add_nc_u32_e32 v192, s5, v190
	v_ashrrev_i32_e32 v191, 31, v190
	s_waitcnt vmcnt(23)
	scratch_store_b128 off, v[59:62], off
	v_lshlrev_b64 v[61:62], 3, v[117:118]
	v_add_nc_u32_e32 v47, s5, v192
	v_ashrrev_i32_e32 v193, 31, v192
	s_delay_alu instid0(VALU_DEP_2) | instskip(NEXT) | instid1(VALU_DEP_1)
	v_ashrrev_i32_e32 v48, 31, v47
	v_lshlrev_b64 v[47:48], 3, v[47:48]
	s_delay_alu instid0(VALU_DEP_1) | instskip(NEXT) | instid1(VALU_DEP_2)
	v_add_co_u32 v47, vcc_lo, s2, v47
	v_add_co_ci_u32_e32 v48, vcc_lo, s3, v48, vcc_lo
	v_add_co_u32 v57, vcc_lo, s2, v57
	v_add_co_ci_u32_e32 v58, vcc_lo, s3, v58, vcc_lo
	global_load_b64 v[134:135], v[47:48], off
	v_add_co_u32 v59, vcc_lo, s2, v83
	v_add_co_ci_u32_e32 v60, vcc_lo, s3, v84, vcc_lo
	v_lshlrev_b64 v[83:84], 3, v[119:120]
	s_clause 0x2
	global_load_b64 v[111:112], v[53:54], off
	global_load_b64 v[113:114], v[55:56], off
	;; [unrolled: 1-line block ×3, first 2 shown]
	v_add_co_u32 v61, vcc_lo, s2, v61
	s_waitcnt vmcnt(25)
	scratch_store_b128 off, v[63:66], off offset:16
	s_waitcnt vmcnt(23)
	scratch_store_b128 off, v[67:70], off offset:32
	v_lshlrev_b64 v[65:66], 3, v[121:122]
	v_add_co_ci_u32_e32 v62, vcc_lo, s3, v62, vcc_lo
	v_add_co_u32 v63, vcc_lo, s2, v83
	v_add_co_ci_u32_e32 v64, vcc_lo, s3, v84, vcc_lo
	v_lshlrev_b64 v[83:84], 3, v[123:124]
	v_add_co_u32 v65, vcc_lo, s2, v65
	v_lshlrev_b64 v[69:70], 3, v[125:126]
	v_add_co_ci_u32_e32 v66, vcc_lo, s3, v66, vcc_lo
	s_delay_alu instid0(VALU_DEP_4)
	v_add_co_u32 v67, vcc_lo, s2, v83
	s_clause 0x3
	global_load_b64 v[117:118], v[59:60], off
	global_load_b64 v[119:120], v[61:62], off
	;; [unrolled: 1-line block ×4, first 2 shown]
	v_add_co_ci_u32_e32 v68, vcc_lo, s3, v84, vcc_lo
	v_add_co_u32 v69, vcc_lo, s2, v69
	v_add_co_ci_u32_e32 v70, vcc_lo, s3, v70, vcc_lo
	s_waitcnt vmcnt(25)
	scratch_store_b128 off, v[71:74], off offset:48
	v_lshlrev_b64 v[71:72], 3, v[129:130]
	s_clause 0x1
	global_load_b64 v[125:126], v[67:68], off
	global_load_b64 v[127:128], v[69:70], off
	v_lshlrev_b64 v[73:74], 3, v[132:133]
	s_waitcnt vmcnt(25)
	scratch_store_b128 off, v[75:78], off offset:64
	v_lshlrev_b64 v[75:76], 3, v[140:141]
	v_lshlrev_b64 v[77:78], 3, v[142:143]
	v_add_co_u32 v71, vcc_lo, s2, v71
	v_add_co_ci_u32_e32 v72, vcc_lo, s3, v72, vcc_lo
	v_add_co_u32 v73, vcc_lo, s2, v73
	v_add_co_ci_u32_e32 v74, vcc_lo, s3, v74, vcc_lo
	s_clause 0x1
	global_load_b64 v[136:137], v[71:72], off
	global_load_b64 v[138:139], v[73:74], off
	v_add_co_u32 v75, vcc_lo, s2, v75
	v_lshlrev_b64 v[83:84], 3, v[144:145]
	v_add_co_ci_u32_e32 v76, vcc_lo, s3, v76, vcc_lo
	v_add_co_u32 v77, vcc_lo, s2, v77
	v_add_co_ci_u32_e32 v78, vcc_lo, s3, v78, vcc_lo
	v_lshlrev_b64 v[129:130], 3, v[150:151]
	v_lshlrev_b64 v[132:133], 3, v[152:153]
	global_load_b64 v[140:141], v[75:76], off
	s_waitcnt vmcnt(26)
	scratch_store_b128 off, v[79:82], off offset:80
	v_lshlrev_b64 v[81:82], 3, v[146:147]
	v_add_co_u32 v79, vcc_lo, s2, v83
	v_add_co_ci_u32_e32 v80, vcc_lo, s3, v84, vcc_lo
	v_lshlrev_b64 v[83:84], 3, v[148:149]
	s_delay_alu instid0(VALU_DEP_4)
	v_add_co_u32 v81, vcc_lo, s2, v81
	v_add_co_ci_u32_e32 v82, vcc_lo, s3, v82, vcc_lo
	s_waitcnt vmcnt(24)
	scratch_store_b128 off, v[85:88], off offset:96
	s_waitcnt vmcnt(22)
	scratch_store_b128 off, v[89:92], off offset:112
	v_add_co_u32 v83, vcc_lo, s2, v83
	v_add_co_ci_u32_e32 v84, vcc_lo, s3, v84, vcc_lo
	v_add_co_u32 v85, vcc_lo, s2, v129
	v_lshlrev_b64 v[89:90], 3, v[154:155]
	v_add_co_ci_u32_e32 v86, vcc_lo, s3, v130, vcc_lo
	v_add_co_u32 v87, vcc_lo, s2, v132
	v_lshlrev_b64 v[91:92], 3, v[156:157]
	;; [unrolled: 3-line block ×4, first 2 shown]
	v_add_co_ci_u32_e32 v92, vcc_lo, s3, v92, vcc_lo
	s_clause 0x3
	global_load_b64 v[142:143], v[77:78], off
	global_load_b64 v[144:145], v[79:80], off
	global_load_b64 v[146:147], v[81:82], off
	global_load_b64 v[148:149], v[83:84], off
	s_waitcnt vmcnt(24)
	scratch_store_b128 off, v[93:96], off offset:128
	s_waitcnt vmcnt(22)
	scratch_store_b128 off, v[97:100], off offset:144
	v_add_co_u32 v93, vcc_lo, s2, v129
	v_lshlrev_b64 v[97:98], 3, v[162:163]
	v_add_co_ci_u32_e32 v94, vcc_lo, s3, v130, vcc_lo
	v_add_co_u32 v95, vcc_lo, s2, v132
	v_lshlrev_b64 v[99:100], 3, v[164:165]
	v_add_co_ci_u32_e32 v96, vcc_lo, s3, v133, vcc_lo
	v_add_co_u32 v97, vcc_lo, s2, v97
	v_lshlrev_b64 v[129:130], 3, v[166:167]
	v_add_co_ci_u32_e32 v98, vcc_lo, s3, v98, vcc_lo
	v_add_co_u32 v99, vcc_lo, s2, v99
	v_lshlrev_b64 v[132:133], 3, v[168:169]
	v_add_co_ci_u32_e32 v100, vcc_lo, s3, v100, vcc_lo
	s_clause 0x3
	global_load_b64 v[150:151], v[85:86], off
	global_load_b64 v[152:153], v[87:88], off
	global_load_b64 v[154:155], v[89:90], off
	global_load_b64 v[156:157], v[91:92], off
	s_waitcnt vmcnt(24)
	scratch_store_b128 off, v[101:104], off offset:160
	s_waitcnt vmcnt(22)
	scratch_store_b128 off, v[105:108], off offset:176
	v_add_co_u32 v101, vcc_lo, s2, v129
	v_lshlrev_b64 v[105:106], 3, v[170:171]
	v_add_co_ci_u32_e32 v102, vcc_lo, s3, v130, vcc_lo
	v_add_co_u32 v103, vcc_lo, s2, v132
	v_lshlrev_b64 v[107:108], 3, v[172:173]
	v_add_co_ci_u32_e32 v104, vcc_lo, s3, v133, vcc_lo
	v_add_co_u32 v105, vcc_lo, s2, v105
	v_lshlrev_b64 v[129:130], 3, v[174:175]
	v_add_co_ci_u32_e32 v106, vcc_lo, s3, v106, vcc_lo
	v_add_co_u32 v107, vcc_lo, s2, v107
	v_lshlrev_b64 v[132:133], 3, v[176:177]
	;; [unrolled: 21-line block ×3, first 2 shown]
	v_add_co_ci_u32_e32 v116, vcc_lo, s3, v116, vcc_lo
	s_clause 0x3
	global_load_b64 v[166:167], v[101:102], off
	global_load_b64 v[168:169], v[103:104], off
	;; [unrolled: 1-line block ×4, first 2 shown]
	s_waitcnt vmcnt(23)
	scratch_store_b128 off, v[117:120], off offset:224
	s_waitcnt vmcnt(21)
	scratch_store_b128 off, v[121:124], off offset:240
	v_add_co_u32 v117, vcc_lo, s2, v129
	v_lshlrev_b64 v[121:122], 3, v[186:187]
	v_add_co_ci_u32_e32 v118, vcc_lo, s3, v130, vcc_lo
	v_add_co_u32 v119, vcc_lo, s2, v132
	v_lshlrev_b64 v[123:124], 3, v[188:189]
	v_add_co_ci_u32_e32 v120, vcc_lo, s3, v133, vcc_lo
	v_add_co_u32 v121, vcc_lo, s2, v121
	s_clause 0x3
	global_load_b64 v[174:175], v[109:110], off
	global_load_b64 v[176:177], v[111:112], off
	;; [unrolled: 1-line block ×4, first 2 shown]
	s_waitcnt vmcnt(23)
	scratch_store_b128 off, v[125:128], off offset:256
	v_add_co_ci_u32_e32 v122, vcc_lo, s3, v122, vcc_lo
	v_lshlrev_b64 v[127:128], 3, v[190:191]
	v_add_co_u32 v125, vcc_lo, s2, v123
	v_add_co_ci_u32_e32 v126, vcc_lo, s3, v124, vcc_lo
	v_lshlrev_b64 v[123:124], 3, v[192:193]
	s_delay_alu instid0(VALU_DEP_4)
	v_add_co_u32 v127, vcc_lo, s2, v127
	v_add_co_ci_u32_e32 v128, vcc_lo, s3, v128, vcc_lo
	s_clause 0x2
	global_load_b64 v[182:183], v[117:118], off
	global_load_b64 v[184:185], v[119:120], off
	;; [unrolled: 1-line block ×3, first 2 shown]
	v_add_co_u32 v123, vcc_lo, s2, v123
	v_add_co_ci_u32_e32 v124, vcc_lo, s3, v124, vcc_lo
	s_waitcnt vmcnt(24)
	scratch_store_b128 off, v[136:139], off offset:272
	s_clause 0x2
	global_load_b64 v[136:137], v[125:126], off
	global_load_b64 v[138:139], v[127:128], off
	;; [unrolled: 1-line block ×3, first 2 shown]
	v_mov_b32_e32 v129, 0
	v_mov_b32_e32 v130, 0xbff00000
	s_cselect_b32 s2, -1, 0
	s_cmpk_eq_i32 s1, 0x84
	s_waitcnt vmcnt(25)
	scratch_store_b128 off, v[140:143], off offset:288
	s_waitcnt vmcnt(23)
	scratch_store_b128 off, v[144:147], off offset:304
	;; [unrolled: 2-line block ×14, first 2 shown]
	s_cbranch_scc1 .LBB63_3
; %bb.2:
	scratch_load_b64 v[129:130], v131, off
	s_waitcnt vmcnt(0)
	v_div_scale_f64 v[132:133], null, v[129:130], v[129:130], 1.0
	v_div_scale_f64 v[138:139], vcc_lo, 1.0, v[129:130], 1.0
	s_delay_alu instid0(VALU_DEP_2) | instskip(SKIP_2) | instid1(VALU_DEP_1)
	v_rcp_f64_e32 v[134:135], v[132:133]
	s_waitcnt_depctr 0xfff
	v_fma_f64 v[136:137], -v[132:133], v[134:135], 1.0
	v_fma_f64 v[134:135], v[134:135], v[136:137], v[134:135]
	s_delay_alu instid0(VALU_DEP_1) | instskip(NEXT) | instid1(VALU_DEP_1)
	v_fma_f64 v[136:137], -v[132:133], v[134:135], 1.0
	v_fma_f64 v[134:135], v[134:135], v[136:137], v[134:135]
	s_delay_alu instid0(VALU_DEP_1) | instskip(NEXT) | instid1(VALU_DEP_1)
	v_mul_f64 v[136:137], v[138:139], v[134:135]
	v_fma_f64 v[132:133], -v[132:133], v[136:137], v[138:139]
	s_delay_alu instid0(VALU_DEP_1) | instskip(NEXT) | instid1(VALU_DEP_1)
	v_div_fmas_f64 v[132:133], v[132:133], v[134:135], v[136:137]
	v_div_fixup_f64 v[129:130], v[132:133], v[129:130], 1.0
	scratch_store_b64 v131, v[129:130], off
	v_xor_b32_e32 v130, 0x80000000, v130
.LBB63_3:
	v_or_b32_e32 v132, 0x200, v131
	v_add_nc_u32_e32 v133, 0, v131
	s_cmpk_eq_i32 s0, 0x79
	s_mov_b32 s0, -1
	ds_store_b64 v131, v[129:130]
	s_cbranch_scc1 .LBB63_629
; %bb.4:
	scratch_load_b64 v[129:130], off, off offset:496
	v_cmp_eq_u32_e64 s0, 63, v0
	s_movk_i32 s1, 0x50
	s_movk_i32 s3, 0x60
	;; [unrolled: 1-line block ×26, first 2 shown]
	s_waitcnt vmcnt(0)
	ds_store_b64 v132, v[129:130]
	s_waitcnt lgkmcnt(0)
	s_waitcnt_vscnt null, 0x0
	s_barrier
	buffer_gl0_inv
	s_and_saveexec_b32 s28, s0
	s_cbranch_execz .LBB63_10
; %bb.5:
	s_and_b32 vcc_lo, exec_lo, s2
	s_cbranch_vccz .LBB63_7
; %bb.6:
	scratch_load_b64 v[129:130], v133, off
	ds_load_b64 v[134:135], v132
	s_waitcnt vmcnt(0) lgkmcnt(0)
	v_mul_f64 v[129:130], v[129:130], v[134:135]
	s_cbranch_execz .LBB63_8
	s_branch .LBB63_9
.LBB63_7:
                                        ; implicit-def: $vgpr129_vgpr130
.LBB63_8:
	ds_load_b64 v[129:130], v132
.LBB63_9:
	v_mov_b32_e32 v134, 0
	ds_load_b64 v[134:135], v134 offset:496
	s_waitcnt lgkmcnt(0)
	v_mul_f64 v[129:130], v[129:130], v[134:135]
	scratch_store_b64 off, v[129:130], off offset:496
.LBB63_10:
	s_or_b32 exec_lo, exec_lo, s28
	scratch_load_b64 v[129:130], off, off offset:488
	v_add_nc_u32_e64 v134, 0, 16
	v_add_nc_u32_e64 v135, 0, 32
	;; [unrolled: 1-line block ×30, first 2 shown]
	v_cmp_lt_u32_e64 s1, 61, v0
	s_waitcnt vmcnt(0)
	ds_store_b64 v132, v[129:130]
	s_waitcnt lgkmcnt(0)
	s_waitcnt_vscnt null, 0x0
	s_barrier
	buffer_gl0_inv
	s_and_saveexec_b32 s3, s1
	s_cbranch_execz .LBB63_18
; %bb.11:
	s_and_not1_b32 vcc_lo, exec_lo, s2
	s_cbranch_vccnz .LBB63_13
; %bb.12:
	scratch_load_b64 v[129:130], v133, off
	ds_load_b64 v[164:165], v132
	s_waitcnt vmcnt(0) lgkmcnt(0)
	v_mul_f64 v[129:130], v[129:130], v[164:165]
	s_cbranch_execz .LBB63_14
	s_branch .LBB63_15
.LBB63_13:
                                        ; implicit-def: $vgpr129_vgpr130
.LBB63_14:
	ds_load_b64 v[129:130], v132
.LBB63_15:
	s_and_saveexec_b32 s4, s0
	s_cbranch_execz .LBB63_17
; %bb.16:
	scratch_load_b64 v[164:165], off, off offset:496
	v_mov_b32_e32 v166, 0
	ds_load_b64 v[166:167], v166 offset:1008
	s_waitcnt vmcnt(0) lgkmcnt(0)
	v_fma_f64 v[129:130], v[164:165], v[166:167], v[129:130]
.LBB63_17:
	s_or_b32 exec_lo, exec_lo, s4
	v_mov_b32_e32 v164, 0
	ds_load_b64 v[164:165], v164 offset:488
	s_waitcnt lgkmcnt(0)
	v_mul_f64 v[129:130], v[129:130], v[164:165]
	scratch_store_b64 off, v[129:130], off offset:488
.LBB63_18:
	s_or_b32 exec_lo, exec_lo, s3
	scratch_load_b64 v[129:130], off, off offset:480
	v_cmp_lt_u32_e64 s0, 60, v0
	s_waitcnt vmcnt(0)
	ds_store_b64 v132, v[129:130]
	s_waitcnt lgkmcnt(0)
	s_waitcnt_vscnt null, 0x0
	s_barrier
	buffer_gl0_inv
	s_and_saveexec_b32 s3, s0
	s_cbranch_execz .LBB63_28
; %bb.19:
	s_and_not1_b32 vcc_lo, exec_lo, s2
	s_cbranch_vccnz .LBB63_21
; %bb.20:
	scratch_load_b64 v[129:130], v133, off
	ds_load_b64 v[164:165], v132
	s_waitcnt vmcnt(0) lgkmcnt(0)
	v_mul_f64 v[129:130], v[129:130], v[164:165]
	s_cbranch_execz .LBB63_22
	s_branch .LBB63_23
.LBB63_21:
                                        ; implicit-def: $vgpr129_vgpr130
.LBB63_22:
	ds_load_b64 v[129:130], v132
.LBB63_23:
	s_and_saveexec_b32 s4, s1
	s_cbranch_execz .LBB63_27
; %bb.24:
	v_mov_b32_e32 v164, 0
	v_subrev_nc_u32_e32 v165, 61, v0
	s_movk_i32 s5, 0x3e8
	s_mov_b32 s1, 0
	s_delay_alu instid0(VALU_DEP_2)
	v_add_nc_u32_e32 v164, 0x1e8, v164
.LBB63_25:                              ; =>This Inner Loop Header: Depth=1
	scratch_load_b64 v[166:167], v164, off
	v_dual_mov_b32 v168, s5 :: v_dual_add_nc_u32 v165, -1, v165
	v_add_nc_u32_e32 v164, 8, v164
	s_add_i32 s5, s5, 8
	ds_load_b64 v[168:169], v168
	v_cmp_eq_u32_e32 vcc_lo, 0, v165
	s_or_b32 s1, vcc_lo, s1
	s_waitcnt vmcnt(0) lgkmcnt(0)
	v_fma_f64 v[129:130], v[166:167], v[168:169], v[129:130]
	s_and_not1_b32 exec_lo, exec_lo, s1
	s_cbranch_execnz .LBB63_25
; %bb.26:
	s_or_b32 exec_lo, exec_lo, s1
.LBB63_27:
	s_delay_alu instid0(SALU_CYCLE_1)
	s_or_b32 exec_lo, exec_lo, s4
	v_mov_b32_e32 v164, 0
	ds_load_b64 v[164:165], v164 offset:480
	s_waitcnt lgkmcnt(0)
	v_mul_f64 v[129:130], v[129:130], v[164:165]
	scratch_store_b64 off, v[129:130], off offset:480
.LBB63_28:
	s_or_b32 exec_lo, exec_lo, s3
	scratch_load_b64 v[129:130], off, off offset:472
	v_cmp_lt_u32_e64 s1, 59, v0
	s_waitcnt vmcnt(0)
	ds_store_b64 v132, v[129:130]
	s_waitcnt lgkmcnt(0)
	s_waitcnt_vscnt null, 0x0
	s_barrier
	buffer_gl0_inv
	s_and_saveexec_b32 s3, s1
	s_cbranch_execz .LBB63_38
; %bb.29:
	s_and_not1_b32 vcc_lo, exec_lo, s2
	s_cbranch_vccnz .LBB63_31
; %bb.30:
	scratch_load_b64 v[129:130], v133, off
	ds_load_b64 v[164:165], v132
	s_waitcnt vmcnt(0) lgkmcnt(0)
	v_mul_f64 v[129:130], v[129:130], v[164:165]
	s_cbranch_execz .LBB63_32
	s_branch .LBB63_33
.LBB63_31:
                                        ; implicit-def: $vgpr129_vgpr130
.LBB63_32:
	ds_load_b64 v[129:130], v132
.LBB63_33:
	s_and_saveexec_b32 s4, s0
	s_cbranch_execz .LBB63_37
; %bb.34:
	v_subrev_nc_u32_e32 v164, 60, v0
	s_movk_i32 s5, 0x3e0
	s_mov_b32 s0, 0
.LBB63_35:                              ; =>This Inner Loop Header: Depth=1
	scratch_load_b64 v[165:166], v163, off
	v_dual_mov_b32 v167, s5 :: v_dual_add_nc_u32 v164, -1, v164
	v_add_nc_u32_e32 v163, 8, v163
	s_add_i32 s5, s5, 8
	ds_load_b64 v[167:168], v167
	v_cmp_eq_u32_e32 vcc_lo, 0, v164
	s_or_b32 s0, vcc_lo, s0
	s_waitcnt vmcnt(0) lgkmcnt(0)
	v_fma_f64 v[129:130], v[165:166], v[167:168], v[129:130]
	s_and_not1_b32 exec_lo, exec_lo, s0
	s_cbranch_execnz .LBB63_35
; %bb.36:
	s_or_b32 exec_lo, exec_lo, s0
.LBB63_37:
	s_delay_alu instid0(SALU_CYCLE_1)
	s_or_b32 exec_lo, exec_lo, s4
	v_mov_b32_e32 v163, 0
	ds_load_b64 v[163:164], v163 offset:472
	s_waitcnt lgkmcnt(0)
	v_mul_f64 v[129:130], v[129:130], v[163:164]
	scratch_store_b64 off, v[129:130], off offset:472
.LBB63_38:
	s_or_b32 exec_lo, exec_lo, s3
	scratch_load_b64 v[129:130], off, off offset:464
	v_cmp_lt_u32_e64 s0, 58, v0
	s_waitcnt vmcnt(0)
	ds_store_b64 v132, v[129:130]
	s_waitcnt lgkmcnt(0)
	s_waitcnt_vscnt null, 0x0
	s_barrier
	buffer_gl0_inv
	s_and_saveexec_b32 s3, s0
	s_cbranch_execz .LBB63_48
; %bb.39:
	s_and_not1_b32 vcc_lo, exec_lo, s2
	s_cbranch_vccnz .LBB63_41
; %bb.40:
	scratch_load_b64 v[129:130], v133, off
	ds_load_b64 v[163:164], v132
	s_waitcnt vmcnt(0) lgkmcnt(0)
	v_mul_f64 v[129:130], v[129:130], v[163:164]
	s_cbranch_execz .LBB63_42
	s_branch .LBB63_43
.LBB63_41:
                                        ; implicit-def: $vgpr129_vgpr130
.LBB63_42:
	ds_load_b64 v[129:130], v132
.LBB63_43:
	s_and_saveexec_b32 s4, s1
	s_cbranch_execz .LBB63_47
; %bb.44:
	v_mov_b32_e32 v163, 0
	v_subrev_nc_u32_e32 v164, 59, v0
	s_movk_i32 s5, 0x3d8
	s_mov_b32 s1, 0
	s_delay_alu instid0(VALU_DEP_2)
	v_add_nc_u32_e32 v163, 0x1d8, v163
.LBB63_45:                              ; =>This Inner Loop Header: Depth=1
	scratch_load_b64 v[165:166], v163, off
	v_dual_mov_b32 v167, s5 :: v_dual_add_nc_u32 v164, -1, v164
	v_add_nc_u32_e32 v163, 8, v163
	s_add_i32 s5, s5, 8
	ds_load_b64 v[167:168], v167
	v_cmp_eq_u32_e32 vcc_lo, 0, v164
	s_or_b32 s1, vcc_lo, s1
	s_waitcnt vmcnt(0) lgkmcnt(0)
	v_fma_f64 v[129:130], v[165:166], v[167:168], v[129:130]
	s_and_not1_b32 exec_lo, exec_lo, s1
	s_cbranch_execnz .LBB63_45
; %bb.46:
	s_or_b32 exec_lo, exec_lo, s1
.LBB63_47:
	s_delay_alu instid0(SALU_CYCLE_1)
	s_or_b32 exec_lo, exec_lo, s4
	v_mov_b32_e32 v163, 0
	ds_load_b64 v[163:164], v163 offset:464
	s_waitcnt lgkmcnt(0)
	v_mul_f64 v[129:130], v[129:130], v[163:164]
	scratch_store_b64 off, v[129:130], off offset:464
.LBB63_48:
	s_or_b32 exec_lo, exec_lo, s3
	scratch_load_b64 v[129:130], off, off offset:456
	v_cmp_lt_u32_e64 s1, 57, v0
	s_waitcnt vmcnt(0)
	ds_store_b64 v132, v[129:130]
	s_waitcnt lgkmcnt(0)
	s_waitcnt_vscnt null, 0x0
	s_barrier
	buffer_gl0_inv
	s_and_saveexec_b32 s3, s1
	s_cbranch_execz .LBB63_58
; %bb.49:
	s_and_not1_b32 vcc_lo, exec_lo, s2
	s_cbranch_vccnz .LBB63_51
; %bb.50:
	scratch_load_b64 v[129:130], v133, off
	ds_load_b64 v[163:164], v132
	s_waitcnt vmcnt(0) lgkmcnt(0)
	v_mul_f64 v[129:130], v[129:130], v[163:164]
	s_cbranch_execz .LBB63_52
	s_branch .LBB63_53
.LBB63_51:
                                        ; implicit-def: $vgpr129_vgpr130
.LBB63_52:
	ds_load_b64 v[129:130], v132
.LBB63_53:
	s_and_saveexec_b32 s4, s0
	s_cbranch_execz .LBB63_57
; %bb.54:
	v_subrev_nc_u32_e32 v163, 58, v0
	s_movk_i32 s5, 0x3d0
	s_mov_b32 s0, 0
.LBB63_55:                              ; =>This Inner Loop Header: Depth=1
	scratch_load_b64 v[164:165], v162, off
	v_dual_mov_b32 v166, s5 :: v_dual_add_nc_u32 v163, -1, v163
	v_add_nc_u32_e32 v162, 8, v162
	s_add_i32 s5, s5, 8
	ds_load_b64 v[166:167], v166
	v_cmp_eq_u32_e32 vcc_lo, 0, v163
	s_or_b32 s0, vcc_lo, s0
	s_waitcnt vmcnt(0) lgkmcnt(0)
	v_fma_f64 v[129:130], v[164:165], v[166:167], v[129:130]
	s_and_not1_b32 exec_lo, exec_lo, s0
	s_cbranch_execnz .LBB63_55
; %bb.56:
	s_or_b32 exec_lo, exec_lo, s0
.LBB63_57:
	s_delay_alu instid0(SALU_CYCLE_1)
	s_or_b32 exec_lo, exec_lo, s4
	v_mov_b32_e32 v162, 0
	ds_load_b64 v[162:163], v162 offset:456
	s_waitcnt lgkmcnt(0)
	v_mul_f64 v[129:130], v[129:130], v[162:163]
	scratch_store_b64 off, v[129:130], off offset:456
.LBB63_58:
	s_or_b32 exec_lo, exec_lo, s3
	scratch_load_b64 v[129:130], off, off offset:448
	v_cmp_lt_u32_e64 s0, 56, v0
	s_waitcnt vmcnt(0)
	ds_store_b64 v132, v[129:130]
	s_waitcnt lgkmcnt(0)
	s_waitcnt_vscnt null, 0x0
	s_barrier
	buffer_gl0_inv
	s_and_saveexec_b32 s3, s0
	s_cbranch_execz .LBB63_68
; %bb.59:
	s_and_not1_b32 vcc_lo, exec_lo, s2
	s_cbranch_vccnz .LBB63_61
; %bb.60:
	scratch_load_b64 v[129:130], v133, off
	ds_load_b64 v[162:163], v132
	s_waitcnt vmcnt(0) lgkmcnt(0)
	v_mul_f64 v[129:130], v[129:130], v[162:163]
	s_cbranch_execz .LBB63_62
	s_branch .LBB63_63
.LBB63_61:
                                        ; implicit-def: $vgpr129_vgpr130
.LBB63_62:
	ds_load_b64 v[129:130], v132
.LBB63_63:
	s_and_saveexec_b32 s4, s1
	s_cbranch_execz .LBB63_67
; %bb.64:
	v_mov_b32_e32 v162, 0
	v_subrev_nc_u32_e32 v163, 57, v0
	s_movk_i32 s5, 0x3c8
	s_mov_b32 s1, 0
	s_delay_alu instid0(VALU_DEP_2)
	v_add_nc_u32_e32 v162, 0x1c8, v162
.LBB63_65:                              ; =>This Inner Loop Header: Depth=1
	scratch_load_b64 v[164:165], v162, off
	v_dual_mov_b32 v166, s5 :: v_dual_add_nc_u32 v163, -1, v163
	v_add_nc_u32_e32 v162, 8, v162
	s_add_i32 s5, s5, 8
	ds_load_b64 v[166:167], v166
	v_cmp_eq_u32_e32 vcc_lo, 0, v163
	s_or_b32 s1, vcc_lo, s1
	s_waitcnt vmcnt(0) lgkmcnt(0)
	v_fma_f64 v[129:130], v[164:165], v[166:167], v[129:130]
	s_and_not1_b32 exec_lo, exec_lo, s1
	s_cbranch_execnz .LBB63_65
; %bb.66:
	s_or_b32 exec_lo, exec_lo, s1
.LBB63_67:
	s_delay_alu instid0(SALU_CYCLE_1)
	s_or_b32 exec_lo, exec_lo, s4
	v_mov_b32_e32 v162, 0
	ds_load_b64 v[162:163], v162 offset:448
	s_waitcnt lgkmcnt(0)
	v_mul_f64 v[129:130], v[129:130], v[162:163]
	scratch_store_b64 off, v[129:130], off offset:448
.LBB63_68:
	s_or_b32 exec_lo, exec_lo, s3
	scratch_load_b64 v[129:130], off, off offset:440
	v_cmp_lt_u32_e64 s1, 55, v0
	s_waitcnt vmcnt(0)
	ds_store_b64 v132, v[129:130]
	s_waitcnt lgkmcnt(0)
	s_waitcnt_vscnt null, 0x0
	s_barrier
	buffer_gl0_inv
	s_and_saveexec_b32 s3, s1
	s_cbranch_execz .LBB63_78
; %bb.69:
	s_and_not1_b32 vcc_lo, exec_lo, s2
	s_cbranch_vccnz .LBB63_71
; %bb.70:
	scratch_load_b64 v[129:130], v133, off
	ds_load_b64 v[162:163], v132
	s_waitcnt vmcnt(0) lgkmcnt(0)
	v_mul_f64 v[129:130], v[129:130], v[162:163]
	s_cbranch_execz .LBB63_72
	s_branch .LBB63_73
.LBB63_71:
                                        ; implicit-def: $vgpr129_vgpr130
.LBB63_72:
	ds_load_b64 v[129:130], v132
.LBB63_73:
	s_and_saveexec_b32 s4, s0
	s_cbranch_execz .LBB63_77
; %bb.74:
	v_subrev_nc_u32_e32 v162, 56, v0
	s_movk_i32 s5, 0x3c0
	s_mov_b32 s0, 0
.LBB63_75:                              ; =>This Inner Loop Header: Depth=1
	scratch_load_b64 v[163:164], v161, off
	v_dual_mov_b32 v165, s5 :: v_dual_add_nc_u32 v162, -1, v162
	v_add_nc_u32_e32 v161, 8, v161
	s_add_i32 s5, s5, 8
	ds_load_b64 v[165:166], v165
	v_cmp_eq_u32_e32 vcc_lo, 0, v162
	s_or_b32 s0, vcc_lo, s0
	s_waitcnt vmcnt(0) lgkmcnt(0)
	v_fma_f64 v[129:130], v[163:164], v[165:166], v[129:130]
	s_and_not1_b32 exec_lo, exec_lo, s0
	s_cbranch_execnz .LBB63_75
; %bb.76:
	s_or_b32 exec_lo, exec_lo, s0
.LBB63_77:
	s_delay_alu instid0(SALU_CYCLE_1)
	s_or_b32 exec_lo, exec_lo, s4
	v_mov_b32_e32 v161, 0
	ds_load_b64 v[161:162], v161 offset:440
	s_waitcnt lgkmcnt(0)
	v_mul_f64 v[129:130], v[129:130], v[161:162]
	scratch_store_b64 off, v[129:130], off offset:440
.LBB63_78:
	s_or_b32 exec_lo, exec_lo, s3
	scratch_load_b64 v[129:130], off, off offset:432
	v_cmp_lt_u32_e64 s0, 54, v0
	s_waitcnt vmcnt(0)
	ds_store_b64 v132, v[129:130]
	s_waitcnt lgkmcnt(0)
	s_waitcnt_vscnt null, 0x0
	s_barrier
	buffer_gl0_inv
	s_and_saveexec_b32 s3, s0
	s_cbranch_execz .LBB63_88
; %bb.79:
	s_and_not1_b32 vcc_lo, exec_lo, s2
	s_cbranch_vccnz .LBB63_81
; %bb.80:
	scratch_load_b64 v[129:130], v133, off
	ds_load_b64 v[161:162], v132
	s_waitcnt vmcnt(0) lgkmcnt(0)
	v_mul_f64 v[129:130], v[129:130], v[161:162]
	s_cbranch_execz .LBB63_82
	s_branch .LBB63_83
.LBB63_81:
                                        ; implicit-def: $vgpr129_vgpr130
.LBB63_82:
	ds_load_b64 v[129:130], v132
.LBB63_83:
	s_and_saveexec_b32 s4, s1
	s_cbranch_execz .LBB63_87
; %bb.84:
	v_mov_b32_e32 v161, 0
	v_subrev_nc_u32_e32 v162, 55, v0
	s_movk_i32 s5, 0x3b8
	s_mov_b32 s1, 0
	s_delay_alu instid0(VALU_DEP_2)
	v_add_nc_u32_e32 v161, 0x1b8, v161
.LBB63_85:                              ; =>This Inner Loop Header: Depth=1
	scratch_load_b64 v[163:164], v161, off
	v_dual_mov_b32 v165, s5 :: v_dual_add_nc_u32 v162, -1, v162
	v_add_nc_u32_e32 v161, 8, v161
	s_add_i32 s5, s5, 8
	ds_load_b64 v[165:166], v165
	v_cmp_eq_u32_e32 vcc_lo, 0, v162
	s_or_b32 s1, vcc_lo, s1
	s_waitcnt vmcnt(0) lgkmcnt(0)
	v_fma_f64 v[129:130], v[163:164], v[165:166], v[129:130]
	s_and_not1_b32 exec_lo, exec_lo, s1
	s_cbranch_execnz .LBB63_85
; %bb.86:
	s_or_b32 exec_lo, exec_lo, s1
.LBB63_87:
	s_delay_alu instid0(SALU_CYCLE_1)
	s_or_b32 exec_lo, exec_lo, s4
	v_mov_b32_e32 v161, 0
	ds_load_b64 v[161:162], v161 offset:432
	s_waitcnt lgkmcnt(0)
	v_mul_f64 v[129:130], v[129:130], v[161:162]
	scratch_store_b64 off, v[129:130], off offset:432
.LBB63_88:
	s_or_b32 exec_lo, exec_lo, s3
	scratch_load_b64 v[129:130], off, off offset:424
	v_cmp_lt_u32_e64 s1, 53, v0
	s_waitcnt vmcnt(0)
	ds_store_b64 v132, v[129:130]
	s_waitcnt lgkmcnt(0)
	s_waitcnt_vscnt null, 0x0
	s_barrier
	buffer_gl0_inv
	s_and_saveexec_b32 s3, s1
	s_cbranch_execz .LBB63_98
; %bb.89:
	s_and_not1_b32 vcc_lo, exec_lo, s2
	s_cbranch_vccnz .LBB63_91
; %bb.90:
	scratch_load_b64 v[129:130], v133, off
	ds_load_b64 v[161:162], v132
	s_waitcnt vmcnt(0) lgkmcnt(0)
	v_mul_f64 v[129:130], v[129:130], v[161:162]
	s_cbranch_execz .LBB63_92
	s_branch .LBB63_93
.LBB63_91:
                                        ; implicit-def: $vgpr129_vgpr130
.LBB63_92:
	ds_load_b64 v[129:130], v132
.LBB63_93:
	s_and_saveexec_b32 s4, s0
	s_cbranch_execz .LBB63_97
; %bb.94:
	v_subrev_nc_u32_e32 v161, 54, v0
	s_movk_i32 s5, 0x3b0
	s_mov_b32 s0, 0
.LBB63_95:                              ; =>This Inner Loop Header: Depth=1
	scratch_load_b64 v[162:163], v160, off
	v_dual_mov_b32 v164, s5 :: v_dual_add_nc_u32 v161, -1, v161
	v_add_nc_u32_e32 v160, 8, v160
	s_add_i32 s5, s5, 8
	ds_load_b64 v[164:165], v164
	v_cmp_eq_u32_e32 vcc_lo, 0, v161
	s_or_b32 s0, vcc_lo, s0
	s_waitcnt vmcnt(0) lgkmcnt(0)
	v_fma_f64 v[129:130], v[162:163], v[164:165], v[129:130]
	s_and_not1_b32 exec_lo, exec_lo, s0
	s_cbranch_execnz .LBB63_95
; %bb.96:
	s_or_b32 exec_lo, exec_lo, s0
.LBB63_97:
	s_delay_alu instid0(SALU_CYCLE_1)
	s_or_b32 exec_lo, exec_lo, s4
	v_mov_b32_e32 v160, 0
	ds_load_b64 v[160:161], v160 offset:424
	s_waitcnt lgkmcnt(0)
	v_mul_f64 v[129:130], v[129:130], v[160:161]
	scratch_store_b64 off, v[129:130], off offset:424
.LBB63_98:
	s_or_b32 exec_lo, exec_lo, s3
	scratch_load_b64 v[129:130], off, off offset:416
	v_cmp_lt_u32_e64 s0, 52, v0
	s_waitcnt vmcnt(0)
	ds_store_b64 v132, v[129:130]
	s_waitcnt lgkmcnt(0)
	s_waitcnt_vscnt null, 0x0
	s_barrier
	buffer_gl0_inv
	s_and_saveexec_b32 s3, s0
	s_cbranch_execz .LBB63_108
; %bb.99:
	s_and_not1_b32 vcc_lo, exec_lo, s2
	s_cbranch_vccnz .LBB63_101
; %bb.100:
	scratch_load_b64 v[129:130], v133, off
	ds_load_b64 v[160:161], v132
	s_waitcnt vmcnt(0) lgkmcnt(0)
	v_mul_f64 v[129:130], v[129:130], v[160:161]
	s_cbranch_execz .LBB63_102
	s_branch .LBB63_103
.LBB63_101:
                                        ; implicit-def: $vgpr129_vgpr130
.LBB63_102:
	ds_load_b64 v[129:130], v132
.LBB63_103:
	s_and_saveexec_b32 s4, s1
	s_cbranch_execz .LBB63_107
; %bb.104:
	v_mov_b32_e32 v160, 0
	v_subrev_nc_u32_e32 v161, 53, v0
	s_movk_i32 s5, 0x3a8
	s_mov_b32 s1, 0
	s_delay_alu instid0(VALU_DEP_2)
	v_add_nc_u32_e32 v160, 0x1a8, v160
.LBB63_105:                             ; =>This Inner Loop Header: Depth=1
	scratch_load_b64 v[162:163], v160, off
	v_dual_mov_b32 v164, s5 :: v_dual_add_nc_u32 v161, -1, v161
	v_add_nc_u32_e32 v160, 8, v160
	s_add_i32 s5, s5, 8
	ds_load_b64 v[164:165], v164
	v_cmp_eq_u32_e32 vcc_lo, 0, v161
	s_or_b32 s1, vcc_lo, s1
	s_waitcnt vmcnt(0) lgkmcnt(0)
	v_fma_f64 v[129:130], v[162:163], v[164:165], v[129:130]
	s_and_not1_b32 exec_lo, exec_lo, s1
	s_cbranch_execnz .LBB63_105
; %bb.106:
	s_or_b32 exec_lo, exec_lo, s1
.LBB63_107:
	s_delay_alu instid0(SALU_CYCLE_1)
	s_or_b32 exec_lo, exec_lo, s4
	v_mov_b32_e32 v160, 0
	ds_load_b64 v[160:161], v160 offset:416
	s_waitcnt lgkmcnt(0)
	v_mul_f64 v[129:130], v[129:130], v[160:161]
	scratch_store_b64 off, v[129:130], off offset:416
.LBB63_108:
	s_or_b32 exec_lo, exec_lo, s3
	scratch_load_b64 v[129:130], off, off offset:408
	v_cmp_lt_u32_e64 s1, 51, v0
	s_waitcnt vmcnt(0)
	ds_store_b64 v132, v[129:130]
	s_waitcnt lgkmcnt(0)
	s_waitcnt_vscnt null, 0x0
	s_barrier
	buffer_gl0_inv
	s_and_saveexec_b32 s3, s1
	s_cbranch_execz .LBB63_118
; %bb.109:
	s_and_not1_b32 vcc_lo, exec_lo, s2
	s_cbranch_vccnz .LBB63_111
; %bb.110:
	scratch_load_b64 v[129:130], v133, off
	ds_load_b64 v[160:161], v132
	s_waitcnt vmcnt(0) lgkmcnt(0)
	v_mul_f64 v[129:130], v[129:130], v[160:161]
	s_cbranch_execz .LBB63_112
	s_branch .LBB63_113
.LBB63_111:
                                        ; implicit-def: $vgpr129_vgpr130
.LBB63_112:
	ds_load_b64 v[129:130], v132
.LBB63_113:
	s_and_saveexec_b32 s4, s0
	s_cbranch_execz .LBB63_117
; %bb.114:
	v_subrev_nc_u32_e32 v160, 52, v0
	s_movk_i32 s5, 0x3a0
	s_mov_b32 s0, 0
.LBB63_115:                             ; =>This Inner Loop Header: Depth=1
	scratch_load_b64 v[161:162], v159, off
	v_dual_mov_b32 v163, s5 :: v_dual_add_nc_u32 v160, -1, v160
	v_add_nc_u32_e32 v159, 8, v159
	s_add_i32 s5, s5, 8
	ds_load_b64 v[163:164], v163
	v_cmp_eq_u32_e32 vcc_lo, 0, v160
	s_or_b32 s0, vcc_lo, s0
	s_waitcnt vmcnt(0) lgkmcnt(0)
	v_fma_f64 v[129:130], v[161:162], v[163:164], v[129:130]
	s_and_not1_b32 exec_lo, exec_lo, s0
	s_cbranch_execnz .LBB63_115
; %bb.116:
	s_or_b32 exec_lo, exec_lo, s0
.LBB63_117:
	s_delay_alu instid0(SALU_CYCLE_1)
	s_or_b32 exec_lo, exec_lo, s4
	v_mov_b32_e32 v159, 0
	ds_load_b64 v[159:160], v159 offset:408
	s_waitcnt lgkmcnt(0)
	v_mul_f64 v[129:130], v[129:130], v[159:160]
	scratch_store_b64 off, v[129:130], off offset:408
.LBB63_118:
	s_or_b32 exec_lo, exec_lo, s3
	scratch_load_b64 v[129:130], off, off offset:400
	v_cmp_lt_u32_e64 s0, 50, v0
	s_waitcnt vmcnt(0)
	ds_store_b64 v132, v[129:130]
	s_waitcnt lgkmcnt(0)
	s_waitcnt_vscnt null, 0x0
	s_barrier
	buffer_gl0_inv
	s_and_saveexec_b32 s3, s0
	s_cbranch_execz .LBB63_128
; %bb.119:
	s_and_not1_b32 vcc_lo, exec_lo, s2
	s_cbranch_vccnz .LBB63_121
; %bb.120:
	scratch_load_b64 v[129:130], v133, off
	ds_load_b64 v[159:160], v132
	s_waitcnt vmcnt(0) lgkmcnt(0)
	v_mul_f64 v[129:130], v[129:130], v[159:160]
	s_cbranch_execz .LBB63_122
	s_branch .LBB63_123
.LBB63_121:
                                        ; implicit-def: $vgpr129_vgpr130
.LBB63_122:
	ds_load_b64 v[129:130], v132
.LBB63_123:
	s_and_saveexec_b32 s4, s1
	s_cbranch_execz .LBB63_127
; %bb.124:
	v_mov_b32_e32 v159, 0
	v_subrev_nc_u32_e32 v160, 51, v0
	s_movk_i32 s5, 0x398
	s_mov_b32 s1, 0
	s_delay_alu instid0(VALU_DEP_2)
	v_add_nc_u32_e32 v159, 0x198, v159
.LBB63_125:                             ; =>This Inner Loop Header: Depth=1
	scratch_load_b64 v[161:162], v159, off
	v_dual_mov_b32 v163, s5 :: v_dual_add_nc_u32 v160, -1, v160
	v_add_nc_u32_e32 v159, 8, v159
	s_add_i32 s5, s5, 8
	ds_load_b64 v[163:164], v163
	v_cmp_eq_u32_e32 vcc_lo, 0, v160
	s_or_b32 s1, vcc_lo, s1
	s_waitcnt vmcnt(0) lgkmcnt(0)
	v_fma_f64 v[129:130], v[161:162], v[163:164], v[129:130]
	s_and_not1_b32 exec_lo, exec_lo, s1
	s_cbranch_execnz .LBB63_125
; %bb.126:
	s_or_b32 exec_lo, exec_lo, s1
.LBB63_127:
	s_delay_alu instid0(SALU_CYCLE_1)
	s_or_b32 exec_lo, exec_lo, s4
	v_mov_b32_e32 v159, 0
	ds_load_b64 v[159:160], v159 offset:400
	s_waitcnt lgkmcnt(0)
	v_mul_f64 v[129:130], v[129:130], v[159:160]
	scratch_store_b64 off, v[129:130], off offset:400
.LBB63_128:
	s_or_b32 exec_lo, exec_lo, s3
	scratch_load_b64 v[129:130], off, off offset:392
	v_cmp_lt_u32_e64 s1, 49, v0
	s_waitcnt vmcnt(0)
	ds_store_b64 v132, v[129:130]
	s_waitcnt lgkmcnt(0)
	s_waitcnt_vscnt null, 0x0
	s_barrier
	buffer_gl0_inv
	s_and_saveexec_b32 s3, s1
	s_cbranch_execz .LBB63_138
; %bb.129:
	s_and_not1_b32 vcc_lo, exec_lo, s2
	s_cbranch_vccnz .LBB63_131
; %bb.130:
	scratch_load_b64 v[129:130], v133, off
	ds_load_b64 v[159:160], v132
	s_waitcnt vmcnt(0) lgkmcnt(0)
	v_mul_f64 v[129:130], v[129:130], v[159:160]
	s_cbranch_execz .LBB63_132
	s_branch .LBB63_133
.LBB63_131:
                                        ; implicit-def: $vgpr129_vgpr130
.LBB63_132:
	ds_load_b64 v[129:130], v132
.LBB63_133:
	s_and_saveexec_b32 s4, s0
	s_cbranch_execz .LBB63_137
; %bb.134:
	v_subrev_nc_u32_e32 v159, 50, v0
	s_movk_i32 s5, 0x390
	s_mov_b32 s0, 0
.LBB63_135:                             ; =>This Inner Loop Header: Depth=1
	scratch_load_b64 v[160:161], v158, off
	v_dual_mov_b32 v162, s5 :: v_dual_add_nc_u32 v159, -1, v159
	v_add_nc_u32_e32 v158, 8, v158
	s_add_i32 s5, s5, 8
	ds_load_b64 v[162:163], v162
	v_cmp_eq_u32_e32 vcc_lo, 0, v159
	s_or_b32 s0, vcc_lo, s0
	s_waitcnt vmcnt(0) lgkmcnt(0)
	v_fma_f64 v[129:130], v[160:161], v[162:163], v[129:130]
	s_and_not1_b32 exec_lo, exec_lo, s0
	s_cbranch_execnz .LBB63_135
; %bb.136:
	s_or_b32 exec_lo, exec_lo, s0
.LBB63_137:
	s_delay_alu instid0(SALU_CYCLE_1)
	s_or_b32 exec_lo, exec_lo, s4
	v_mov_b32_e32 v158, 0
	ds_load_b64 v[158:159], v158 offset:392
	s_waitcnt lgkmcnt(0)
	v_mul_f64 v[129:130], v[129:130], v[158:159]
	scratch_store_b64 off, v[129:130], off offset:392
.LBB63_138:
	s_or_b32 exec_lo, exec_lo, s3
	scratch_load_b64 v[129:130], off, off offset:384
	v_cmp_lt_u32_e64 s0, 48, v0
	s_waitcnt vmcnt(0)
	ds_store_b64 v132, v[129:130]
	s_waitcnt lgkmcnt(0)
	s_waitcnt_vscnt null, 0x0
	s_barrier
	buffer_gl0_inv
	s_and_saveexec_b32 s3, s0
	s_cbranch_execz .LBB63_148
; %bb.139:
	s_and_not1_b32 vcc_lo, exec_lo, s2
	s_cbranch_vccnz .LBB63_141
; %bb.140:
	scratch_load_b64 v[129:130], v133, off
	ds_load_b64 v[158:159], v132
	s_waitcnt vmcnt(0) lgkmcnt(0)
	v_mul_f64 v[129:130], v[129:130], v[158:159]
	s_cbranch_execz .LBB63_142
	s_branch .LBB63_143
.LBB63_141:
                                        ; implicit-def: $vgpr129_vgpr130
.LBB63_142:
	ds_load_b64 v[129:130], v132
.LBB63_143:
	s_and_saveexec_b32 s4, s1
	s_cbranch_execz .LBB63_147
; %bb.144:
	v_mov_b32_e32 v158, 0
	v_subrev_nc_u32_e32 v159, 49, v0
	s_movk_i32 s5, 0x388
	s_mov_b32 s1, 0
	s_delay_alu instid0(VALU_DEP_2)
	v_add_nc_u32_e32 v158, 0x188, v158
.LBB63_145:                             ; =>This Inner Loop Header: Depth=1
	scratch_load_b64 v[160:161], v158, off
	v_dual_mov_b32 v162, s5 :: v_dual_add_nc_u32 v159, -1, v159
	v_add_nc_u32_e32 v158, 8, v158
	s_add_i32 s5, s5, 8
	ds_load_b64 v[162:163], v162
	v_cmp_eq_u32_e32 vcc_lo, 0, v159
	s_or_b32 s1, vcc_lo, s1
	s_waitcnt vmcnt(0) lgkmcnt(0)
	v_fma_f64 v[129:130], v[160:161], v[162:163], v[129:130]
	s_and_not1_b32 exec_lo, exec_lo, s1
	s_cbranch_execnz .LBB63_145
; %bb.146:
	s_or_b32 exec_lo, exec_lo, s1
.LBB63_147:
	s_delay_alu instid0(SALU_CYCLE_1)
	s_or_b32 exec_lo, exec_lo, s4
	v_mov_b32_e32 v158, 0
	ds_load_b64 v[158:159], v158 offset:384
	s_waitcnt lgkmcnt(0)
	v_mul_f64 v[129:130], v[129:130], v[158:159]
	scratch_store_b64 off, v[129:130], off offset:384
.LBB63_148:
	s_or_b32 exec_lo, exec_lo, s3
	scratch_load_b64 v[129:130], off, off offset:376
	v_cmp_lt_u32_e64 s1, 47, v0
	s_waitcnt vmcnt(0)
	ds_store_b64 v132, v[129:130]
	s_waitcnt lgkmcnt(0)
	s_waitcnt_vscnt null, 0x0
	s_barrier
	buffer_gl0_inv
	s_and_saveexec_b32 s3, s1
	s_cbranch_execz .LBB63_158
; %bb.149:
	s_and_not1_b32 vcc_lo, exec_lo, s2
	s_cbranch_vccnz .LBB63_151
; %bb.150:
	scratch_load_b64 v[129:130], v133, off
	ds_load_b64 v[158:159], v132
	s_waitcnt vmcnt(0) lgkmcnt(0)
	v_mul_f64 v[129:130], v[129:130], v[158:159]
	s_cbranch_execz .LBB63_152
	s_branch .LBB63_153
.LBB63_151:
                                        ; implicit-def: $vgpr129_vgpr130
.LBB63_152:
	ds_load_b64 v[129:130], v132
.LBB63_153:
	s_and_saveexec_b32 s4, s0
	s_cbranch_execz .LBB63_157
; %bb.154:
	v_subrev_nc_u32_e32 v158, 48, v0
	s_movk_i32 s5, 0x380
	s_mov_b32 s0, 0
.LBB63_155:                             ; =>This Inner Loop Header: Depth=1
	scratch_load_b64 v[159:160], v157, off
	v_dual_mov_b32 v161, s5 :: v_dual_add_nc_u32 v158, -1, v158
	v_add_nc_u32_e32 v157, 8, v157
	s_add_i32 s5, s5, 8
	ds_load_b64 v[161:162], v161
	v_cmp_eq_u32_e32 vcc_lo, 0, v158
	s_or_b32 s0, vcc_lo, s0
	s_waitcnt vmcnt(0) lgkmcnt(0)
	v_fma_f64 v[129:130], v[159:160], v[161:162], v[129:130]
	s_and_not1_b32 exec_lo, exec_lo, s0
	s_cbranch_execnz .LBB63_155
; %bb.156:
	s_or_b32 exec_lo, exec_lo, s0
.LBB63_157:
	s_delay_alu instid0(SALU_CYCLE_1)
	s_or_b32 exec_lo, exec_lo, s4
	v_mov_b32_e32 v157, 0
	ds_load_b64 v[157:158], v157 offset:376
	s_waitcnt lgkmcnt(0)
	v_mul_f64 v[129:130], v[129:130], v[157:158]
	scratch_store_b64 off, v[129:130], off offset:376
.LBB63_158:
	s_or_b32 exec_lo, exec_lo, s3
	scratch_load_b64 v[129:130], off, off offset:368
	v_cmp_lt_u32_e64 s0, 46, v0
	s_waitcnt vmcnt(0)
	ds_store_b64 v132, v[129:130]
	s_waitcnt lgkmcnt(0)
	s_waitcnt_vscnt null, 0x0
	s_barrier
	buffer_gl0_inv
	s_and_saveexec_b32 s3, s0
	s_cbranch_execz .LBB63_168
; %bb.159:
	s_and_not1_b32 vcc_lo, exec_lo, s2
	s_cbranch_vccnz .LBB63_161
; %bb.160:
	scratch_load_b64 v[129:130], v133, off
	ds_load_b64 v[157:158], v132
	s_waitcnt vmcnt(0) lgkmcnt(0)
	v_mul_f64 v[129:130], v[129:130], v[157:158]
	s_cbranch_execz .LBB63_162
	s_branch .LBB63_163
.LBB63_161:
                                        ; implicit-def: $vgpr129_vgpr130
.LBB63_162:
	ds_load_b64 v[129:130], v132
.LBB63_163:
	s_and_saveexec_b32 s4, s1
	s_cbranch_execz .LBB63_167
; %bb.164:
	v_mov_b32_e32 v157, 0
	v_subrev_nc_u32_e32 v158, 47, v0
	s_movk_i32 s5, 0x378
	s_mov_b32 s1, 0
	s_delay_alu instid0(VALU_DEP_2)
	v_add_nc_u32_e32 v157, 0x178, v157
.LBB63_165:                             ; =>This Inner Loop Header: Depth=1
	scratch_load_b64 v[159:160], v157, off
	v_dual_mov_b32 v161, s5 :: v_dual_add_nc_u32 v158, -1, v158
	v_add_nc_u32_e32 v157, 8, v157
	s_add_i32 s5, s5, 8
	ds_load_b64 v[161:162], v161
	v_cmp_eq_u32_e32 vcc_lo, 0, v158
	s_or_b32 s1, vcc_lo, s1
	s_waitcnt vmcnt(0) lgkmcnt(0)
	v_fma_f64 v[129:130], v[159:160], v[161:162], v[129:130]
	s_and_not1_b32 exec_lo, exec_lo, s1
	s_cbranch_execnz .LBB63_165
; %bb.166:
	s_or_b32 exec_lo, exec_lo, s1
.LBB63_167:
	s_delay_alu instid0(SALU_CYCLE_1)
	s_or_b32 exec_lo, exec_lo, s4
	v_mov_b32_e32 v157, 0
	ds_load_b64 v[157:158], v157 offset:368
	s_waitcnt lgkmcnt(0)
	v_mul_f64 v[129:130], v[129:130], v[157:158]
	scratch_store_b64 off, v[129:130], off offset:368
.LBB63_168:
	s_or_b32 exec_lo, exec_lo, s3
	scratch_load_b64 v[129:130], off, off offset:360
	v_cmp_lt_u32_e64 s1, 45, v0
	s_waitcnt vmcnt(0)
	ds_store_b64 v132, v[129:130]
	s_waitcnt lgkmcnt(0)
	s_waitcnt_vscnt null, 0x0
	s_barrier
	buffer_gl0_inv
	s_and_saveexec_b32 s3, s1
	s_cbranch_execz .LBB63_178
; %bb.169:
	s_and_not1_b32 vcc_lo, exec_lo, s2
	s_cbranch_vccnz .LBB63_171
; %bb.170:
	scratch_load_b64 v[129:130], v133, off
	ds_load_b64 v[157:158], v132
	s_waitcnt vmcnt(0) lgkmcnt(0)
	v_mul_f64 v[129:130], v[129:130], v[157:158]
	s_cbranch_execz .LBB63_172
	s_branch .LBB63_173
.LBB63_171:
                                        ; implicit-def: $vgpr129_vgpr130
.LBB63_172:
	ds_load_b64 v[129:130], v132
.LBB63_173:
	s_and_saveexec_b32 s4, s0
	s_cbranch_execz .LBB63_177
; %bb.174:
	v_subrev_nc_u32_e32 v157, 46, v0
	s_movk_i32 s5, 0x370
	s_mov_b32 s0, 0
.LBB63_175:                             ; =>This Inner Loop Header: Depth=1
	scratch_load_b64 v[158:159], v156, off
	v_dual_mov_b32 v160, s5 :: v_dual_add_nc_u32 v157, -1, v157
	v_add_nc_u32_e32 v156, 8, v156
	s_add_i32 s5, s5, 8
	ds_load_b64 v[160:161], v160
	v_cmp_eq_u32_e32 vcc_lo, 0, v157
	s_or_b32 s0, vcc_lo, s0
	s_waitcnt vmcnt(0) lgkmcnt(0)
	v_fma_f64 v[129:130], v[158:159], v[160:161], v[129:130]
	s_and_not1_b32 exec_lo, exec_lo, s0
	s_cbranch_execnz .LBB63_175
; %bb.176:
	s_or_b32 exec_lo, exec_lo, s0
.LBB63_177:
	s_delay_alu instid0(SALU_CYCLE_1)
	s_or_b32 exec_lo, exec_lo, s4
	v_mov_b32_e32 v156, 0
	ds_load_b64 v[156:157], v156 offset:360
	s_waitcnt lgkmcnt(0)
	v_mul_f64 v[129:130], v[129:130], v[156:157]
	scratch_store_b64 off, v[129:130], off offset:360
.LBB63_178:
	s_or_b32 exec_lo, exec_lo, s3
	scratch_load_b64 v[129:130], off, off offset:352
	v_cmp_lt_u32_e64 s0, 44, v0
	s_waitcnt vmcnt(0)
	ds_store_b64 v132, v[129:130]
	s_waitcnt lgkmcnt(0)
	s_waitcnt_vscnt null, 0x0
	s_barrier
	buffer_gl0_inv
	s_and_saveexec_b32 s3, s0
	s_cbranch_execz .LBB63_188
; %bb.179:
	s_and_not1_b32 vcc_lo, exec_lo, s2
	s_cbranch_vccnz .LBB63_181
; %bb.180:
	scratch_load_b64 v[129:130], v133, off
	ds_load_b64 v[156:157], v132
	s_waitcnt vmcnt(0) lgkmcnt(0)
	v_mul_f64 v[129:130], v[129:130], v[156:157]
	s_cbranch_execz .LBB63_182
	s_branch .LBB63_183
.LBB63_181:
                                        ; implicit-def: $vgpr129_vgpr130
.LBB63_182:
	ds_load_b64 v[129:130], v132
.LBB63_183:
	s_and_saveexec_b32 s4, s1
	s_cbranch_execz .LBB63_187
; %bb.184:
	v_mov_b32_e32 v156, 0
	v_subrev_nc_u32_e32 v157, 45, v0
	s_movk_i32 s5, 0x368
	s_mov_b32 s1, 0
	s_delay_alu instid0(VALU_DEP_2)
	v_add_nc_u32_e32 v156, 0x168, v156
.LBB63_185:                             ; =>This Inner Loop Header: Depth=1
	scratch_load_b64 v[158:159], v156, off
	v_dual_mov_b32 v160, s5 :: v_dual_add_nc_u32 v157, -1, v157
	v_add_nc_u32_e32 v156, 8, v156
	s_add_i32 s5, s5, 8
	ds_load_b64 v[160:161], v160
	v_cmp_eq_u32_e32 vcc_lo, 0, v157
	s_or_b32 s1, vcc_lo, s1
	s_waitcnt vmcnt(0) lgkmcnt(0)
	v_fma_f64 v[129:130], v[158:159], v[160:161], v[129:130]
	s_and_not1_b32 exec_lo, exec_lo, s1
	s_cbranch_execnz .LBB63_185
; %bb.186:
	s_or_b32 exec_lo, exec_lo, s1
.LBB63_187:
	s_delay_alu instid0(SALU_CYCLE_1)
	s_or_b32 exec_lo, exec_lo, s4
	v_mov_b32_e32 v156, 0
	ds_load_b64 v[156:157], v156 offset:352
	s_waitcnt lgkmcnt(0)
	v_mul_f64 v[129:130], v[129:130], v[156:157]
	scratch_store_b64 off, v[129:130], off offset:352
.LBB63_188:
	s_or_b32 exec_lo, exec_lo, s3
	scratch_load_b64 v[129:130], off, off offset:344
	v_cmp_lt_u32_e64 s1, 43, v0
	s_waitcnt vmcnt(0)
	ds_store_b64 v132, v[129:130]
	s_waitcnt lgkmcnt(0)
	s_waitcnt_vscnt null, 0x0
	s_barrier
	buffer_gl0_inv
	s_and_saveexec_b32 s3, s1
	s_cbranch_execz .LBB63_198
; %bb.189:
	s_and_not1_b32 vcc_lo, exec_lo, s2
	s_cbranch_vccnz .LBB63_191
; %bb.190:
	scratch_load_b64 v[129:130], v133, off
	ds_load_b64 v[156:157], v132
	s_waitcnt vmcnt(0) lgkmcnt(0)
	v_mul_f64 v[129:130], v[129:130], v[156:157]
	s_cbranch_execz .LBB63_192
	s_branch .LBB63_193
.LBB63_191:
                                        ; implicit-def: $vgpr129_vgpr130
.LBB63_192:
	ds_load_b64 v[129:130], v132
.LBB63_193:
	s_and_saveexec_b32 s4, s0
	s_cbranch_execz .LBB63_197
; %bb.194:
	v_subrev_nc_u32_e32 v156, 44, v0
	s_movk_i32 s5, 0x360
	s_mov_b32 s0, 0
.LBB63_195:                             ; =>This Inner Loop Header: Depth=1
	scratch_load_b64 v[157:158], v155, off
	v_dual_mov_b32 v159, s5 :: v_dual_add_nc_u32 v156, -1, v156
	v_add_nc_u32_e32 v155, 8, v155
	s_add_i32 s5, s5, 8
	ds_load_b64 v[159:160], v159
	v_cmp_eq_u32_e32 vcc_lo, 0, v156
	s_or_b32 s0, vcc_lo, s0
	s_waitcnt vmcnt(0) lgkmcnt(0)
	v_fma_f64 v[129:130], v[157:158], v[159:160], v[129:130]
	s_and_not1_b32 exec_lo, exec_lo, s0
	s_cbranch_execnz .LBB63_195
; %bb.196:
	s_or_b32 exec_lo, exec_lo, s0
.LBB63_197:
	s_delay_alu instid0(SALU_CYCLE_1)
	s_or_b32 exec_lo, exec_lo, s4
	v_mov_b32_e32 v155, 0
	ds_load_b64 v[155:156], v155 offset:344
	s_waitcnt lgkmcnt(0)
	v_mul_f64 v[129:130], v[129:130], v[155:156]
	scratch_store_b64 off, v[129:130], off offset:344
.LBB63_198:
	s_or_b32 exec_lo, exec_lo, s3
	scratch_load_b64 v[129:130], off, off offset:336
	v_cmp_lt_u32_e64 s0, 42, v0
	s_waitcnt vmcnt(0)
	ds_store_b64 v132, v[129:130]
	s_waitcnt lgkmcnt(0)
	s_waitcnt_vscnt null, 0x0
	s_barrier
	buffer_gl0_inv
	s_and_saveexec_b32 s3, s0
	s_cbranch_execz .LBB63_208
; %bb.199:
	s_and_not1_b32 vcc_lo, exec_lo, s2
	s_cbranch_vccnz .LBB63_201
; %bb.200:
	scratch_load_b64 v[129:130], v133, off
	ds_load_b64 v[155:156], v132
	s_waitcnt vmcnt(0) lgkmcnt(0)
	v_mul_f64 v[129:130], v[129:130], v[155:156]
	s_cbranch_execz .LBB63_202
	s_branch .LBB63_203
.LBB63_201:
                                        ; implicit-def: $vgpr129_vgpr130
.LBB63_202:
	ds_load_b64 v[129:130], v132
.LBB63_203:
	s_and_saveexec_b32 s4, s1
	s_cbranch_execz .LBB63_207
; %bb.204:
	v_mov_b32_e32 v155, 0
	v_subrev_nc_u32_e32 v156, 43, v0
	s_movk_i32 s5, 0x358
	s_mov_b32 s1, 0
	s_delay_alu instid0(VALU_DEP_2)
	v_add_nc_u32_e32 v155, 0x158, v155
.LBB63_205:                             ; =>This Inner Loop Header: Depth=1
	scratch_load_b64 v[157:158], v155, off
	v_dual_mov_b32 v159, s5 :: v_dual_add_nc_u32 v156, -1, v156
	v_add_nc_u32_e32 v155, 8, v155
	s_add_i32 s5, s5, 8
	ds_load_b64 v[159:160], v159
	v_cmp_eq_u32_e32 vcc_lo, 0, v156
	s_or_b32 s1, vcc_lo, s1
	s_waitcnt vmcnt(0) lgkmcnt(0)
	v_fma_f64 v[129:130], v[157:158], v[159:160], v[129:130]
	s_and_not1_b32 exec_lo, exec_lo, s1
	s_cbranch_execnz .LBB63_205
; %bb.206:
	s_or_b32 exec_lo, exec_lo, s1
.LBB63_207:
	s_delay_alu instid0(SALU_CYCLE_1)
	s_or_b32 exec_lo, exec_lo, s4
	v_mov_b32_e32 v155, 0
	ds_load_b64 v[155:156], v155 offset:336
	s_waitcnt lgkmcnt(0)
	v_mul_f64 v[129:130], v[129:130], v[155:156]
	scratch_store_b64 off, v[129:130], off offset:336
.LBB63_208:
	s_or_b32 exec_lo, exec_lo, s3
	scratch_load_b64 v[129:130], off, off offset:328
	v_cmp_lt_u32_e64 s1, 41, v0
	s_waitcnt vmcnt(0)
	ds_store_b64 v132, v[129:130]
	s_waitcnt lgkmcnt(0)
	s_waitcnt_vscnt null, 0x0
	s_barrier
	buffer_gl0_inv
	s_and_saveexec_b32 s3, s1
	s_cbranch_execz .LBB63_218
; %bb.209:
	s_and_not1_b32 vcc_lo, exec_lo, s2
	s_cbranch_vccnz .LBB63_211
; %bb.210:
	scratch_load_b64 v[129:130], v133, off
	ds_load_b64 v[155:156], v132
	s_waitcnt vmcnt(0) lgkmcnt(0)
	v_mul_f64 v[129:130], v[129:130], v[155:156]
	s_cbranch_execz .LBB63_212
	s_branch .LBB63_213
.LBB63_211:
                                        ; implicit-def: $vgpr129_vgpr130
.LBB63_212:
	ds_load_b64 v[129:130], v132
.LBB63_213:
	s_and_saveexec_b32 s4, s0
	s_cbranch_execz .LBB63_217
; %bb.214:
	v_subrev_nc_u32_e32 v155, 42, v0
	s_movk_i32 s5, 0x350
	s_mov_b32 s0, 0
.LBB63_215:                             ; =>This Inner Loop Header: Depth=1
	scratch_load_b64 v[156:157], v154, off
	v_dual_mov_b32 v158, s5 :: v_dual_add_nc_u32 v155, -1, v155
	v_add_nc_u32_e32 v154, 8, v154
	s_add_i32 s5, s5, 8
	ds_load_b64 v[158:159], v158
	v_cmp_eq_u32_e32 vcc_lo, 0, v155
	s_or_b32 s0, vcc_lo, s0
	s_waitcnt vmcnt(0) lgkmcnt(0)
	v_fma_f64 v[129:130], v[156:157], v[158:159], v[129:130]
	s_and_not1_b32 exec_lo, exec_lo, s0
	s_cbranch_execnz .LBB63_215
; %bb.216:
	s_or_b32 exec_lo, exec_lo, s0
.LBB63_217:
	s_delay_alu instid0(SALU_CYCLE_1)
	s_or_b32 exec_lo, exec_lo, s4
	v_mov_b32_e32 v154, 0
	ds_load_b64 v[154:155], v154 offset:328
	s_waitcnt lgkmcnt(0)
	v_mul_f64 v[129:130], v[129:130], v[154:155]
	scratch_store_b64 off, v[129:130], off offset:328
.LBB63_218:
	s_or_b32 exec_lo, exec_lo, s3
	scratch_load_b64 v[129:130], off, off offset:320
	v_cmp_lt_u32_e64 s0, 40, v0
	s_waitcnt vmcnt(0)
	ds_store_b64 v132, v[129:130]
	s_waitcnt lgkmcnt(0)
	s_waitcnt_vscnt null, 0x0
	s_barrier
	buffer_gl0_inv
	s_and_saveexec_b32 s3, s0
	s_cbranch_execz .LBB63_228
; %bb.219:
	s_and_not1_b32 vcc_lo, exec_lo, s2
	s_cbranch_vccnz .LBB63_221
; %bb.220:
	scratch_load_b64 v[129:130], v133, off
	ds_load_b64 v[154:155], v132
	s_waitcnt vmcnt(0) lgkmcnt(0)
	v_mul_f64 v[129:130], v[129:130], v[154:155]
	s_cbranch_execz .LBB63_222
	s_branch .LBB63_223
.LBB63_221:
                                        ; implicit-def: $vgpr129_vgpr130
.LBB63_222:
	ds_load_b64 v[129:130], v132
.LBB63_223:
	s_and_saveexec_b32 s4, s1
	s_cbranch_execz .LBB63_227
; %bb.224:
	v_mov_b32_e32 v154, 0
	v_subrev_nc_u32_e32 v155, 41, v0
	s_movk_i32 s5, 0x348
	s_mov_b32 s1, 0
	s_delay_alu instid0(VALU_DEP_2)
	v_add_nc_u32_e32 v154, 0x148, v154
.LBB63_225:                             ; =>This Inner Loop Header: Depth=1
	scratch_load_b64 v[156:157], v154, off
	v_dual_mov_b32 v158, s5 :: v_dual_add_nc_u32 v155, -1, v155
	v_add_nc_u32_e32 v154, 8, v154
	s_add_i32 s5, s5, 8
	ds_load_b64 v[158:159], v158
	v_cmp_eq_u32_e32 vcc_lo, 0, v155
	s_or_b32 s1, vcc_lo, s1
	s_waitcnt vmcnt(0) lgkmcnt(0)
	v_fma_f64 v[129:130], v[156:157], v[158:159], v[129:130]
	s_and_not1_b32 exec_lo, exec_lo, s1
	s_cbranch_execnz .LBB63_225
; %bb.226:
	s_or_b32 exec_lo, exec_lo, s1
.LBB63_227:
	s_delay_alu instid0(SALU_CYCLE_1)
	s_or_b32 exec_lo, exec_lo, s4
	v_mov_b32_e32 v154, 0
	ds_load_b64 v[154:155], v154 offset:320
	s_waitcnt lgkmcnt(0)
	v_mul_f64 v[129:130], v[129:130], v[154:155]
	scratch_store_b64 off, v[129:130], off offset:320
.LBB63_228:
	s_or_b32 exec_lo, exec_lo, s3
	scratch_load_b64 v[129:130], off, off offset:312
	v_cmp_lt_u32_e64 s1, 39, v0
	s_waitcnt vmcnt(0)
	ds_store_b64 v132, v[129:130]
	s_waitcnt lgkmcnt(0)
	s_waitcnt_vscnt null, 0x0
	s_barrier
	buffer_gl0_inv
	s_and_saveexec_b32 s3, s1
	s_cbranch_execz .LBB63_238
; %bb.229:
	s_and_not1_b32 vcc_lo, exec_lo, s2
	s_cbranch_vccnz .LBB63_231
; %bb.230:
	scratch_load_b64 v[129:130], v133, off
	ds_load_b64 v[154:155], v132
	s_waitcnt vmcnt(0) lgkmcnt(0)
	v_mul_f64 v[129:130], v[129:130], v[154:155]
	s_cbranch_execz .LBB63_232
	s_branch .LBB63_233
.LBB63_231:
                                        ; implicit-def: $vgpr129_vgpr130
.LBB63_232:
	ds_load_b64 v[129:130], v132
.LBB63_233:
	s_and_saveexec_b32 s4, s0
	s_cbranch_execz .LBB63_237
; %bb.234:
	v_subrev_nc_u32_e32 v154, 40, v0
	s_movk_i32 s5, 0x340
	s_mov_b32 s0, 0
.LBB63_235:                             ; =>This Inner Loop Header: Depth=1
	scratch_load_b64 v[155:156], v153, off
	v_dual_mov_b32 v157, s5 :: v_dual_add_nc_u32 v154, -1, v154
	v_add_nc_u32_e32 v153, 8, v153
	s_add_i32 s5, s5, 8
	ds_load_b64 v[157:158], v157
	v_cmp_eq_u32_e32 vcc_lo, 0, v154
	s_or_b32 s0, vcc_lo, s0
	s_waitcnt vmcnt(0) lgkmcnt(0)
	v_fma_f64 v[129:130], v[155:156], v[157:158], v[129:130]
	s_and_not1_b32 exec_lo, exec_lo, s0
	s_cbranch_execnz .LBB63_235
; %bb.236:
	s_or_b32 exec_lo, exec_lo, s0
.LBB63_237:
	s_delay_alu instid0(SALU_CYCLE_1)
	s_or_b32 exec_lo, exec_lo, s4
	v_mov_b32_e32 v153, 0
	ds_load_b64 v[153:154], v153 offset:312
	s_waitcnt lgkmcnt(0)
	v_mul_f64 v[129:130], v[129:130], v[153:154]
	scratch_store_b64 off, v[129:130], off offset:312
.LBB63_238:
	s_or_b32 exec_lo, exec_lo, s3
	scratch_load_b64 v[129:130], off, off offset:304
	v_cmp_lt_u32_e64 s0, 38, v0
	s_waitcnt vmcnt(0)
	ds_store_b64 v132, v[129:130]
	s_waitcnt lgkmcnt(0)
	s_waitcnt_vscnt null, 0x0
	s_barrier
	buffer_gl0_inv
	s_and_saveexec_b32 s3, s0
	s_cbranch_execz .LBB63_248
; %bb.239:
	s_and_not1_b32 vcc_lo, exec_lo, s2
	s_cbranch_vccnz .LBB63_241
; %bb.240:
	scratch_load_b64 v[129:130], v133, off
	ds_load_b64 v[153:154], v132
	s_waitcnt vmcnt(0) lgkmcnt(0)
	v_mul_f64 v[129:130], v[129:130], v[153:154]
	s_cbranch_execz .LBB63_242
	s_branch .LBB63_243
.LBB63_241:
                                        ; implicit-def: $vgpr129_vgpr130
.LBB63_242:
	ds_load_b64 v[129:130], v132
.LBB63_243:
	s_and_saveexec_b32 s4, s1
	s_cbranch_execz .LBB63_247
; %bb.244:
	v_mov_b32_e32 v153, 0
	v_subrev_nc_u32_e32 v154, 39, v0
	s_movk_i32 s5, 0x338
	s_mov_b32 s1, 0
	s_delay_alu instid0(VALU_DEP_2)
	v_add_nc_u32_e32 v153, 0x138, v153
.LBB63_245:                             ; =>This Inner Loop Header: Depth=1
	scratch_load_b64 v[155:156], v153, off
	v_dual_mov_b32 v157, s5 :: v_dual_add_nc_u32 v154, -1, v154
	v_add_nc_u32_e32 v153, 8, v153
	s_add_i32 s5, s5, 8
	ds_load_b64 v[157:158], v157
	v_cmp_eq_u32_e32 vcc_lo, 0, v154
	s_or_b32 s1, vcc_lo, s1
	s_waitcnt vmcnt(0) lgkmcnt(0)
	v_fma_f64 v[129:130], v[155:156], v[157:158], v[129:130]
	s_and_not1_b32 exec_lo, exec_lo, s1
	s_cbranch_execnz .LBB63_245
; %bb.246:
	s_or_b32 exec_lo, exec_lo, s1
.LBB63_247:
	s_delay_alu instid0(SALU_CYCLE_1)
	s_or_b32 exec_lo, exec_lo, s4
	v_mov_b32_e32 v153, 0
	ds_load_b64 v[153:154], v153 offset:304
	s_waitcnt lgkmcnt(0)
	v_mul_f64 v[129:130], v[129:130], v[153:154]
	scratch_store_b64 off, v[129:130], off offset:304
.LBB63_248:
	s_or_b32 exec_lo, exec_lo, s3
	scratch_load_b64 v[129:130], off, off offset:296
	v_cmp_lt_u32_e64 s1, 37, v0
	s_waitcnt vmcnt(0)
	ds_store_b64 v132, v[129:130]
	s_waitcnt lgkmcnt(0)
	s_waitcnt_vscnt null, 0x0
	s_barrier
	buffer_gl0_inv
	s_and_saveexec_b32 s3, s1
	s_cbranch_execz .LBB63_258
; %bb.249:
	s_and_not1_b32 vcc_lo, exec_lo, s2
	s_cbranch_vccnz .LBB63_251
; %bb.250:
	scratch_load_b64 v[129:130], v133, off
	ds_load_b64 v[153:154], v132
	s_waitcnt vmcnt(0) lgkmcnt(0)
	v_mul_f64 v[129:130], v[129:130], v[153:154]
	s_cbranch_execz .LBB63_252
	s_branch .LBB63_253
.LBB63_251:
                                        ; implicit-def: $vgpr129_vgpr130
.LBB63_252:
	ds_load_b64 v[129:130], v132
.LBB63_253:
	s_and_saveexec_b32 s4, s0
	s_cbranch_execz .LBB63_257
; %bb.254:
	v_subrev_nc_u32_e32 v153, 38, v0
	s_movk_i32 s5, 0x330
	s_mov_b32 s0, 0
.LBB63_255:                             ; =>This Inner Loop Header: Depth=1
	scratch_load_b64 v[154:155], v152, off
	v_dual_mov_b32 v156, s5 :: v_dual_add_nc_u32 v153, -1, v153
	v_add_nc_u32_e32 v152, 8, v152
	s_add_i32 s5, s5, 8
	ds_load_b64 v[156:157], v156
	v_cmp_eq_u32_e32 vcc_lo, 0, v153
	s_or_b32 s0, vcc_lo, s0
	s_waitcnt vmcnt(0) lgkmcnt(0)
	v_fma_f64 v[129:130], v[154:155], v[156:157], v[129:130]
	s_and_not1_b32 exec_lo, exec_lo, s0
	s_cbranch_execnz .LBB63_255
; %bb.256:
	s_or_b32 exec_lo, exec_lo, s0
.LBB63_257:
	s_delay_alu instid0(SALU_CYCLE_1)
	s_or_b32 exec_lo, exec_lo, s4
	v_mov_b32_e32 v152, 0
	ds_load_b64 v[152:153], v152 offset:296
	s_waitcnt lgkmcnt(0)
	v_mul_f64 v[129:130], v[129:130], v[152:153]
	scratch_store_b64 off, v[129:130], off offset:296
.LBB63_258:
	s_or_b32 exec_lo, exec_lo, s3
	scratch_load_b64 v[129:130], off, off offset:288
	v_cmp_lt_u32_e64 s0, 36, v0
	s_waitcnt vmcnt(0)
	ds_store_b64 v132, v[129:130]
	s_waitcnt lgkmcnt(0)
	s_waitcnt_vscnt null, 0x0
	s_barrier
	buffer_gl0_inv
	s_and_saveexec_b32 s3, s0
	s_cbranch_execz .LBB63_268
; %bb.259:
	s_and_not1_b32 vcc_lo, exec_lo, s2
	s_cbranch_vccnz .LBB63_261
; %bb.260:
	scratch_load_b64 v[129:130], v133, off
	ds_load_b64 v[152:153], v132
	s_waitcnt vmcnt(0) lgkmcnt(0)
	v_mul_f64 v[129:130], v[129:130], v[152:153]
	s_cbranch_execz .LBB63_262
	s_branch .LBB63_263
.LBB63_261:
                                        ; implicit-def: $vgpr129_vgpr130
.LBB63_262:
	ds_load_b64 v[129:130], v132
.LBB63_263:
	s_and_saveexec_b32 s4, s1
	s_cbranch_execz .LBB63_267
; %bb.264:
	v_mov_b32_e32 v152, 0
	v_subrev_nc_u32_e32 v153, 37, v0
	s_movk_i32 s5, 0x328
	s_mov_b32 s1, 0
	s_delay_alu instid0(VALU_DEP_2)
	v_add_nc_u32_e32 v152, 0x128, v152
.LBB63_265:                             ; =>This Inner Loop Header: Depth=1
	scratch_load_b64 v[154:155], v152, off
	v_dual_mov_b32 v156, s5 :: v_dual_add_nc_u32 v153, -1, v153
	v_add_nc_u32_e32 v152, 8, v152
	s_add_i32 s5, s5, 8
	ds_load_b64 v[156:157], v156
	v_cmp_eq_u32_e32 vcc_lo, 0, v153
	s_or_b32 s1, vcc_lo, s1
	s_waitcnt vmcnt(0) lgkmcnt(0)
	v_fma_f64 v[129:130], v[154:155], v[156:157], v[129:130]
	s_and_not1_b32 exec_lo, exec_lo, s1
	s_cbranch_execnz .LBB63_265
; %bb.266:
	s_or_b32 exec_lo, exec_lo, s1
.LBB63_267:
	s_delay_alu instid0(SALU_CYCLE_1)
	s_or_b32 exec_lo, exec_lo, s4
	v_mov_b32_e32 v152, 0
	ds_load_b64 v[152:153], v152 offset:288
	s_waitcnt lgkmcnt(0)
	v_mul_f64 v[129:130], v[129:130], v[152:153]
	scratch_store_b64 off, v[129:130], off offset:288
.LBB63_268:
	s_or_b32 exec_lo, exec_lo, s3
	scratch_load_b64 v[129:130], off, off offset:280
	v_cmp_lt_u32_e64 s1, 35, v0
	s_waitcnt vmcnt(0)
	ds_store_b64 v132, v[129:130]
	s_waitcnt lgkmcnt(0)
	s_waitcnt_vscnt null, 0x0
	s_barrier
	buffer_gl0_inv
	s_and_saveexec_b32 s3, s1
	s_cbranch_execz .LBB63_278
; %bb.269:
	s_and_not1_b32 vcc_lo, exec_lo, s2
	s_cbranch_vccnz .LBB63_271
; %bb.270:
	scratch_load_b64 v[129:130], v133, off
	ds_load_b64 v[152:153], v132
	s_waitcnt vmcnt(0) lgkmcnt(0)
	v_mul_f64 v[129:130], v[129:130], v[152:153]
	s_cbranch_execz .LBB63_272
	s_branch .LBB63_273
.LBB63_271:
                                        ; implicit-def: $vgpr129_vgpr130
.LBB63_272:
	ds_load_b64 v[129:130], v132
.LBB63_273:
	s_and_saveexec_b32 s4, s0
	s_cbranch_execz .LBB63_277
; %bb.274:
	v_subrev_nc_u32_e32 v152, 36, v0
	s_movk_i32 s5, 0x320
	s_mov_b32 s0, 0
.LBB63_275:                             ; =>This Inner Loop Header: Depth=1
	scratch_load_b64 v[153:154], v151, off
	v_dual_mov_b32 v155, s5 :: v_dual_add_nc_u32 v152, -1, v152
	v_add_nc_u32_e32 v151, 8, v151
	s_add_i32 s5, s5, 8
	ds_load_b64 v[155:156], v155
	v_cmp_eq_u32_e32 vcc_lo, 0, v152
	s_or_b32 s0, vcc_lo, s0
	s_waitcnt vmcnt(0) lgkmcnt(0)
	v_fma_f64 v[129:130], v[153:154], v[155:156], v[129:130]
	s_and_not1_b32 exec_lo, exec_lo, s0
	s_cbranch_execnz .LBB63_275
; %bb.276:
	s_or_b32 exec_lo, exec_lo, s0
.LBB63_277:
	s_delay_alu instid0(SALU_CYCLE_1)
	s_or_b32 exec_lo, exec_lo, s4
	v_mov_b32_e32 v151, 0
	ds_load_b64 v[151:152], v151 offset:280
	s_waitcnt lgkmcnt(0)
	v_mul_f64 v[129:130], v[129:130], v[151:152]
	scratch_store_b64 off, v[129:130], off offset:280
.LBB63_278:
	s_or_b32 exec_lo, exec_lo, s3
	scratch_load_b64 v[129:130], off, off offset:272
	v_cmp_lt_u32_e64 s0, 34, v0
	s_waitcnt vmcnt(0)
	ds_store_b64 v132, v[129:130]
	s_waitcnt lgkmcnt(0)
	s_waitcnt_vscnt null, 0x0
	s_barrier
	buffer_gl0_inv
	s_and_saveexec_b32 s3, s0
	s_cbranch_execz .LBB63_288
; %bb.279:
	s_and_not1_b32 vcc_lo, exec_lo, s2
	s_cbranch_vccnz .LBB63_281
; %bb.280:
	scratch_load_b64 v[129:130], v133, off
	ds_load_b64 v[151:152], v132
	s_waitcnt vmcnt(0) lgkmcnt(0)
	v_mul_f64 v[129:130], v[129:130], v[151:152]
	s_cbranch_execz .LBB63_282
	s_branch .LBB63_283
.LBB63_281:
                                        ; implicit-def: $vgpr129_vgpr130
.LBB63_282:
	ds_load_b64 v[129:130], v132
.LBB63_283:
	s_and_saveexec_b32 s4, s1
	s_cbranch_execz .LBB63_287
; %bb.284:
	v_mov_b32_e32 v151, 0
	v_subrev_nc_u32_e32 v152, 35, v0
	s_movk_i32 s5, 0x318
	s_mov_b32 s1, 0
	s_delay_alu instid0(VALU_DEP_2)
	v_add_nc_u32_e32 v151, 0x118, v151
.LBB63_285:                             ; =>This Inner Loop Header: Depth=1
	scratch_load_b64 v[153:154], v151, off
	v_dual_mov_b32 v155, s5 :: v_dual_add_nc_u32 v152, -1, v152
	v_add_nc_u32_e32 v151, 8, v151
	s_add_i32 s5, s5, 8
	ds_load_b64 v[155:156], v155
	v_cmp_eq_u32_e32 vcc_lo, 0, v152
	s_or_b32 s1, vcc_lo, s1
	s_waitcnt vmcnt(0) lgkmcnt(0)
	v_fma_f64 v[129:130], v[153:154], v[155:156], v[129:130]
	s_and_not1_b32 exec_lo, exec_lo, s1
	s_cbranch_execnz .LBB63_285
; %bb.286:
	s_or_b32 exec_lo, exec_lo, s1
.LBB63_287:
	s_delay_alu instid0(SALU_CYCLE_1)
	s_or_b32 exec_lo, exec_lo, s4
	v_mov_b32_e32 v151, 0
	ds_load_b64 v[151:152], v151 offset:272
	s_waitcnt lgkmcnt(0)
	v_mul_f64 v[129:130], v[129:130], v[151:152]
	scratch_store_b64 off, v[129:130], off offset:272
.LBB63_288:
	s_or_b32 exec_lo, exec_lo, s3
	scratch_load_b64 v[129:130], off, off offset:264
	v_cmp_lt_u32_e64 s1, 33, v0
	s_waitcnt vmcnt(0)
	ds_store_b64 v132, v[129:130]
	s_waitcnt lgkmcnt(0)
	s_waitcnt_vscnt null, 0x0
	s_barrier
	buffer_gl0_inv
	s_and_saveexec_b32 s3, s1
	s_cbranch_execz .LBB63_298
; %bb.289:
	s_and_not1_b32 vcc_lo, exec_lo, s2
	s_cbranch_vccnz .LBB63_291
; %bb.290:
	scratch_load_b64 v[129:130], v133, off
	ds_load_b64 v[151:152], v132
	s_waitcnt vmcnt(0) lgkmcnt(0)
	v_mul_f64 v[129:130], v[129:130], v[151:152]
	s_cbranch_execz .LBB63_292
	s_branch .LBB63_293
.LBB63_291:
                                        ; implicit-def: $vgpr129_vgpr130
.LBB63_292:
	ds_load_b64 v[129:130], v132
.LBB63_293:
	s_and_saveexec_b32 s4, s0
	s_cbranch_execz .LBB63_297
; %bb.294:
	v_subrev_nc_u32_e32 v151, 34, v0
	s_movk_i32 s5, 0x310
	s_mov_b32 s0, 0
.LBB63_295:                             ; =>This Inner Loop Header: Depth=1
	scratch_load_b64 v[152:153], v150, off
	v_dual_mov_b32 v154, s5 :: v_dual_add_nc_u32 v151, -1, v151
	v_add_nc_u32_e32 v150, 8, v150
	s_add_i32 s5, s5, 8
	ds_load_b64 v[154:155], v154
	v_cmp_eq_u32_e32 vcc_lo, 0, v151
	s_or_b32 s0, vcc_lo, s0
	s_waitcnt vmcnt(0) lgkmcnt(0)
	v_fma_f64 v[129:130], v[152:153], v[154:155], v[129:130]
	s_and_not1_b32 exec_lo, exec_lo, s0
	s_cbranch_execnz .LBB63_295
; %bb.296:
	s_or_b32 exec_lo, exec_lo, s0
.LBB63_297:
	s_delay_alu instid0(SALU_CYCLE_1)
	s_or_b32 exec_lo, exec_lo, s4
	v_mov_b32_e32 v150, 0
	ds_load_b64 v[150:151], v150 offset:264
	s_waitcnt lgkmcnt(0)
	v_mul_f64 v[129:130], v[129:130], v[150:151]
	scratch_store_b64 off, v[129:130], off offset:264
.LBB63_298:
	s_or_b32 exec_lo, exec_lo, s3
	scratch_load_b64 v[129:130], off, off offset:256
	v_cmp_lt_u32_e64 s0, 32, v0
	s_waitcnt vmcnt(0)
	ds_store_b64 v132, v[129:130]
	s_waitcnt lgkmcnt(0)
	s_waitcnt_vscnt null, 0x0
	s_barrier
	buffer_gl0_inv
	s_and_saveexec_b32 s3, s0
	s_cbranch_execz .LBB63_308
; %bb.299:
	s_and_not1_b32 vcc_lo, exec_lo, s2
	s_cbranch_vccnz .LBB63_301
; %bb.300:
	scratch_load_b64 v[129:130], v133, off
	ds_load_b64 v[150:151], v132
	s_waitcnt vmcnt(0) lgkmcnt(0)
	v_mul_f64 v[129:130], v[129:130], v[150:151]
	s_cbranch_execz .LBB63_302
	s_branch .LBB63_303
.LBB63_301:
                                        ; implicit-def: $vgpr129_vgpr130
.LBB63_302:
	ds_load_b64 v[129:130], v132
.LBB63_303:
	s_and_saveexec_b32 s4, s1
	s_cbranch_execz .LBB63_307
; %bb.304:
	v_mov_b32_e32 v150, 0
	v_subrev_nc_u32_e32 v151, 33, v0
	s_movk_i32 s5, 0x308
	s_mov_b32 s1, 0
	s_delay_alu instid0(VALU_DEP_2)
	v_add_nc_u32_e32 v150, 0x108, v150
.LBB63_305:                             ; =>This Inner Loop Header: Depth=1
	scratch_load_b64 v[152:153], v150, off
	v_dual_mov_b32 v154, s5 :: v_dual_add_nc_u32 v151, -1, v151
	v_add_nc_u32_e32 v150, 8, v150
	s_add_i32 s5, s5, 8
	ds_load_b64 v[154:155], v154
	v_cmp_eq_u32_e32 vcc_lo, 0, v151
	s_or_b32 s1, vcc_lo, s1
	s_waitcnt vmcnt(0) lgkmcnt(0)
	v_fma_f64 v[129:130], v[152:153], v[154:155], v[129:130]
	s_and_not1_b32 exec_lo, exec_lo, s1
	s_cbranch_execnz .LBB63_305
; %bb.306:
	s_or_b32 exec_lo, exec_lo, s1
.LBB63_307:
	s_delay_alu instid0(SALU_CYCLE_1)
	s_or_b32 exec_lo, exec_lo, s4
	v_mov_b32_e32 v150, 0
	ds_load_b64 v[150:151], v150 offset:256
	s_waitcnt lgkmcnt(0)
	v_mul_f64 v[129:130], v[129:130], v[150:151]
	scratch_store_b64 off, v[129:130], off offset:256
.LBB63_308:
	s_or_b32 exec_lo, exec_lo, s3
	scratch_load_b64 v[129:130], off, off offset:248
	v_cmp_lt_u32_e64 s1, 31, v0
	s_waitcnt vmcnt(0)
	ds_store_b64 v132, v[129:130]
	s_waitcnt lgkmcnt(0)
	s_waitcnt_vscnt null, 0x0
	s_barrier
	buffer_gl0_inv
	s_and_saveexec_b32 s3, s1
	s_cbranch_execz .LBB63_318
; %bb.309:
	s_and_not1_b32 vcc_lo, exec_lo, s2
	s_cbranch_vccnz .LBB63_311
; %bb.310:
	scratch_load_b64 v[129:130], v133, off
	ds_load_b64 v[150:151], v132
	s_waitcnt vmcnt(0) lgkmcnt(0)
	v_mul_f64 v[129:130], v[129:130], v[150:151]
	s_cbranch_execz .LBB63_312
	s_branch .LBB63_313
.LBB63_311:
                                        ; implicit-def: $vgpr129_vgpr130
.LBB63_312:
	ds_load_b64 v[129:130], v132
.LBB63_313:
	s_and_saveexec_b32 s4, s0
	s_cbranch_execz .LBB63_317
; %bb.314:
	v_subrev_nc_u32_e32 v150, 32, v0
	s_movk_i32 s5, 0x300
	s_mov_b32 s0, 0
.LBB63_315:                             ; =>This Inner Loop Header: Depth=1
	scratch_load_b64 v[151:152], v149, off
	v_dual_mov_b32 v153, s5 :: v_dual_add_nc_u32 v150, -1, v150
	v_add_nc_u32_e32 v149, 8, v149
	s_add_i32 s5, s5, 8
	ds_load_b64 v[153:154], v153
	v_cmp_eq_u32_e32 vcc_lo, 0, v150
	s_or_b32 s0, vcc_lo, s0
	s_waitcnt vmcnt(0) lgkmcnt(0)
	v_fma_f64 v[129:130], v[151:152], v[153:154], v[129:130]
	s_and_not1_b32 exec_lo, exec_lo, s0
	s_cbranch_execnz .LBB63_315
; %bb.316:
	s_or_b32 exec_lo, exec_lo, s0
.LBB63_317:
	s_delay_alu instid0(SALU_CYCLE_1)
	s_or_b32 exec_lo, exec_lo, s4
	v_mov_b32_e32 v149, 0
	ds_load_b64 v[149:150], v149 offset:248
	s_waitcnt lgkmcnt(0)
	v_mul_f64 v[129:130], v[129:130], v[149:150]
	scratch_store_b64 off, v[129:130], off offset:248
.LBB63_318:
	s_or_b32 exec_lo, exec_lo, s3
	scratch_load_b64 v[129:130], off, off offset:240
	v_cmp_lt_u32_e64 s0, 30, v0
	s_waitcnt vmcnt(0)
	ds_store_b64 v132, v[129:130]
	s_waitcnt lgkmcnt(0)
	s_waitcnt_vscnt null, 0x0
	s_barrier
	buffer_gl0_inv
	s_and_saveexec_b32 s3, s0
	s_cbranch_execz .LBB63_328
; %bb.319:
	s_and_not1_b32 vcc_lo, exec_lo, s2
	s_cbranch_vccnz .LBB63_321
; %bb.320:
	scratch_load_b64 v[129:130], v133, off
	ds_load_b64 v[149:150], v132
	s_waitcnt vmcnt(0) lgkmcnt(0)
	v_mul_f64 v[129:130], v[129:130], v[149:150]
	s_cbranch_execz .LBB63_322
	s_branch .LBB63_323
.LBB63_321:
                                        ; implicit-def: $vgpr129_vgpr130
.LBB63_322:
	ds_load_b64 v[129:130], v132
.LBB63_323:
	s_and_saveexec_b32 s4, s1
	s_cbranch_execz .LBB63_327
; %bb.324:
	v_mov_b32_e32 v149, 0
	v_subrev_nc_u32_e32 v150, 31, v0
	s_movk_i32 s5, 0x2f8
	s_mov_b32 s1, 0
	s_delay_alu instid0(VALU_DEP_2)
	v_add_nc_u32_e32 v149, 0xf8, v149
.LBB63_325:                             ; =>This Inner Loop Header: Depth=1
	scratch_load_b64 v[151:152], v149, off
	v_dual_mov_b32 v153, s5 :: v_dual_add_nc_u32 v150, -1, v150
	v_add_nc_u32_e32 v149, 8, v149
	s_add_i32 s5, s5, 8
	ds_load_b64 v[153:154], v153
	v_cmp_eq_u32_e32 vcc_lo, 0, v150
	s_or_b32 s1, vcc_lo, s1
	s_waitcnt vmcnt(0) lgkmcnt(0)
	v_fma_f64 v[129:130], v[151:152], v[153:154], v[129:130]
	s_and_not1_b32 exec_lo, exec_lo, s1
	s_cbranch_execnz .LBB63_325
; %bb.326:
	s_or_b32 exec_lo, exec_lo, s1
.LBB63_327:
	s_delay_alu instid0(SALU_CYCLE_1)
	s_or_b32 exec_lo, exec_lo, s4
	v_mov_b32_e32 v149, 0
	ds_load_b64 v[149:150], v149 offset:240
	s_waitcnt lgkmcnt(0)
	v_mul_f64 v[129:130], v[129:130], v[149:150]
	scratch_store_b64 off, v[129:130], off offset:240
.LBB63_328:
	s_or_b32 exec_lo, exec_lo, s3
	scratch_load_b64 v[129:130], off, off offset:232
	v_cmp_lt_u32_e64 s1, 29, v0
	s_waitcnt vmcnt(0)
	ds_store_b64 v132, v[129:130]
	s_waitcnt lgkmcnt(0)
	s_waitcnt_vscnt null, 0x0
	s_barrier
	buffer_gl0_inv
	s_and_saveexec_b32 s3, s1
	s_cbranch_execz .LBB63_338
; %bb.329:
	s_and_not1_b32 vcc_lo, exec_lo, s2
	s_cbranch_vccnz .LBB63_331
; %bb.330:
	scratch_load_b64 v[129:130], v133, off
	ds_load_b64 v[149:150], v132
	s_waitcnt vmcnt(0) lgkmcnt(0)
	v_mul_f64 v[129:130], v[129:130], v[149:150]
	s_cbranch_execz .LBB63_332
	s_branch .LBB63_333
.LBB63_331:
                                        ; implicit-def: $vgpr129_vgpr130
.LBB63_332:
	ds_load_b64 v[129:130], v132
.LBB63_333:
	s_and_saveexec_b32 s4, s0
	s_cbranch_execz .LBB63_337
; %bb.334:
	v_subrev_nc_u32_e32 v149, 30, v0
	s_movk_i32 s5, 0x2f0
	s_mov_b32 s0, 0
.LBB63_335:                             ; =>This Inner Loop Header: Depth=1
	scratch_load_b64 v[150:151], v148, off
	v_dual_mov_b32 v152, s5 :: v_dual_add_nc_u32 v149, -1, v149
	v_add_nc_u32_e32 v148, 8, v148
	s_add_i32 s5, s5, 8
	ds_load_b64 v[152:153], v152
	v_cmp_eq_u32_e32 vcc_lo, 0, v149
	s_or_b32 s0, vcc_lo, s0
	s_waitcnt vmcnt(0) lgkmcnt(0)
	v_fma_f64 v[129:130], v[150:151], v[152:153], v[129:130]
	s_and_not1_b32 exec_lo, exec_lo, s0
	s_cbranch_execnz .LBB63_335
; %bb.336:
	s_or_b32 exec_lo, exec_lo, s0
.LBB63_337:
	s_delay_alu instid0(SALU_CYCLE_1)
	s_or_b32 exec_lo, exec_lo, s4
	v_mov_b32_e32 v148, 0
	ds_load_b64 v[148:149], v148 offset:232
	s_waitcnt lgkmcnt(0)
	v_mul_f64 v[129:130], v[129:130], v[148:149]
	scratch_store_b64 off, v[129:130], off offset:232
.LBB63_338:
	s_or_b32 exec_lo, exec_lo, s3
	scratch_load_b64 v[129:130], off, off offset:224
	v_cmp_lt_u32_e64 s0, 28, v0
	s_waitcnt vmcnt(0)
	ds_store_b64 v132, v[129:130]
	s_waitcnt lgkmcnt(0)
	s_waitcnt_vscnt null, 0x0
	s_barrier
	buffer_gl0_inv
	s_and_saveexec_b32 s3, s0
	s_cbranch_execz .LBB63_348
; %bb.339:
	s_and_not1_b32 vcc_lo, exec_lo, s2
	s_cbranch_vccnz .LBB63_341
; %bb.340:
	scratch_load_b64 v[129:130], v133, off
	ds_load_b64 v[148:149], v132
	s_waitcnt vmcnt(0) lgkmcnt(0)
	v_mul_f64 v[129:130], v[129:130], v[148:149]
	s_cbranch_execz .LBB63_342
	s_branch .LBB63_343
.LBB63_341:
                                        ; implicit-def: $vgpr129_vgpr130
.LBB63_342:
	ds_load_b64 v[129:130], v132
.LBB63_343:
	s_and_saveexec_b32 s4, s1
	s_cbranch_execz .LBB63_347
; %bb.344:
	v_mov_b32_e32 v148, 0
	v_subrev_nc_u32_e32 v149, 29, v0
	s_movk_i32 s5, 0x2e8
	s_mov_b32 s1, 0
	s_delay_alu instid0(VALU_DEP_2)
	v_add_nc_u32_e32 v148, 0xe8, v148
.LBB63_345:                             ; =>This Inner Loop Header: Depth=1
	scratch_load_b64 v[150:151], v148, off
	v_dual_mov_b32 v152, s5 :: v_dual_add_nc_u32 v149, -1, v149
	v_add_nc_u32_e32 v148, 8, v148
	s_add_i32 s5, s5, 8
	ds_load_b64 v[152:153], v152
	v_cmp_eq_u32_e32 vcc_lo, 0, v149
	s_or_b32 s1, vcc_lo, s1
	s_waitcnt vmcnt(0) lgkmcnt(0)
	v_fma_f64 v[129:130], v[150:151], v[152:153], v[129:130]
	s_and_not1_b32 exec_lo, exec_lo, s1
	s_cbranch_execnz .LBB63_345
; %bb.346:
	s_or_b32 exec_lo, exec_lo, s1
.LBB63_347:
	s_delay_alu instid0(SALU_CYCLE_1)
	s_or_b32 exec_lo, exec_lo, s4
	v_mov_b32_e32 v148, 0
	ds_load_b64 v[148:149], v148 offset:224
	s_waitcnt lgkmcnt(0)
	v_mul_f64 v[129:130], v[129:130], v[148:149]
	scratch_store_b64 off, v[129:130], off offset:224
.LBB63_348:
	s_or_b32 exec_lo, exec_lo, s3
	scratch_load_b64 v[129:130], off, off offset:216
	v_cmp_lt_u32_e64 s1, 27, v0
	s_waitcnt vmcnt(0)
	ds_store_b64 v132, v[129:130]
	s_waitcnt lgkmcnt(0)
	s_waitcnt_vscnt null, 0x0
	s_barrier
	buffer_gl0_inv
	s_and_saveexec_b32 s3, s1
	s_cbranch_execz .LBB63_358
; %bb.349:
	s_and_not1_b32 vcc_lo, exec_lo, s2
	s_cbranch_vccnz .LBB63_351
; %bb.350:
	scratch_load_b64 v[129:130], v133, off
	ds_load_b64 v[148:149], v132
	s_waitcnt vmcnt(0) lgkmcnt(0)
	v_mul_f64 v[129:130], v[129:130], v[148:149]
	s_cbranch_execz .LBB63_352
	s_branch .LBB63_353
.LBB63_351:
                                        ; implicit-def: $vgpr129_vgpr130
.LBB63_352:
	ds_load_b64 v[129:130], v132
.LBB63_353:
	s_and_saveexec_b32 s4, s0
	s_cbranch_execz .LBB63_357
; %bb.354:
	v_subrev_nc_u32_e32 v148, 28, v0
	s_movk_i32 s5, 0x2e0
	s_mov_b32 s0, 0
.LBB63_355:                             ; =>This Inner Loop Header: Depth=1
	scratch_load_b64 v[149:150], v147, off
	v_dual_mov_b32 v151, s5 :: v_dual_add_nc_u32 v148, -1, v148
	v_add_nc_u32_e32 v147, 8, v147
	s_add_i32 s5, s5, 8
	ds_load_b64 v[151:152], v151
	v_cmp_eq_u32_e32 vcc_lo, 0, v148
	s_or_b32 s0, vcc_lo, s0
	s_waitcnt vmcnt(0) lgkmcnt(0)
	v_fma_f64 v[129:130], v[149:150], v[151:152], v[129:130]
	s_and_not1_b32 exec_lo, exec_lo, s0
	s_cbranch_execnz .LBB63_355
; %bb.356:
	s_or_b32 exec_lo, exec_lo, s0
.LBB63_357:
	s_delay_alu instid0(SALU_CYCLE_1)
	s_or_b32 exec_lo, exec_lo, s4
	v_mov_b32_e32 v147, 0
	ds_load_b64 v[147:148], v147 offset:216
	s_waitcnt lgkmcnt(0)
	v_mul_f64 v[129:130], v[129:130], v[147:148]
	scratch_store_b64 off, v[129:130], off offset:216
.LBB63_358:
	s_or_b32 exec_lo, exec_lo, s3
	scratch_load_b64 v[129:130], off, off offset:208
	v_cmp_lt_u32_e64 s0, 26, v0
	s_waitcnt vmcnt(0)
	ds_store_b64 v132, v[129:130]
	s_waitcnt lgkmcnt(0)
	s_waitcnt_vscnt null, 0x0
	s_barrier
	buffer_gl0_inv
	s_and_saveexec_b32 s3, s0
	s_cbranch_execz .LBB63_368
; %bb.359:
	s_and_not1_b32 vcc_lo, exec_lo, s2
	s_cbranch_vccnz .LBB63_361
; %bb.360:
	scratch_load_b64 v[129:130], v133, off
	ds_load_b64 v[147:148], v132
	s_waitcnt vmcnt(0) lgkmcnt(0)
	v_mul_f64 v[129:130], v[129:130], v[147:148]
	s_cbranch_execz .LBB63_362
	s_branch .LBB63_363
.LBB63_361:
                                        ; implicit-def: $vgpr129_vgpr130
.LBB63_362:
	ds_load_b64 v[129:130], v132
.LBB63_363:
	s_and_saveexec_b32 s4, s1
	s_cbranch_execz .LBB63_367
; %bb.364:
	v_mov_b32_e32 v147, 0
	v_subrev_nc_u32_e32 v148, 27, v0
	s_movk_i32 s5, 0x2d8
	s_mov_b32 s1, 0
	s_delay_alu instid0(VALU_DEP_2)
	v_add_nc_u32_e32 v147, 0xd8, v147
.LBB63_365:                             ; =>This Inner Loop Header: Depth=1
	scratch_load_b64 v[149:150], v147, off
	v_dual_mov_b32 v151, s5 :: v_dual_add_nc_u32 v148, -1, v148
	v_add_nc_u32_e32 v147, 8, v147
	s_add_i32 s5, s5, 8
	ds_load_b64 v[151:152], v151
	v_cmp_eq_u32_e32 vcc_lo, 0, v148
	s_or_b32 s1, vcc_lo, s1
	s_waitcnt vmcnt(0) lgkmcnt(0)
	v_fma_f64 v[129:130], v[149:150], v[151:152], v[129:130]
	s_and_not1_b32 exec_lo, exec_lo, s1
	s_cbranch_execnz .LBB63_365
; %bb.366:
	s_or_b32 exec_lo, exec_lo, s1
.LBB63_367:
	s_delay_alu instid0(SALU_CYCLE_1)
	s_or_b32 exec_lo, exec_lo, s4
	v_mov_b32_e32 v147, 0
	ds_load_b64 v[147:148], v147 offset:208
	s_waitcnt lgkmcnt(0)
	v_mul_f64 v[129:130], v[129:130], v[147:148]
	scratch_store_b64 off, v[129:130], off offset:208
.LBB63_368:
	s_or_b32 exec_lo, exec_lo, s3
	scratch_load_b64 v[129:130], off, off offset:200
	v_cmp_lt_u32_e64 s1, 25, v0
	s_waitcnt vmcnt(0)
	ds_store_b64 v132, v[129:130]
	s_waitcnt lgkmcnt(0)
	s_waitcnt_vscnt null, 0x0
	s_barrier
	buffer_gl0_inv
	s_and_saveexec_b32 s3, s1
	s_cbranch_execz .LBB63_378
; %bb.369:
	s_and_not1_b32 vcc_lo, exec_lo, s2
	s_cbranch_vccnz .LBB63_371
; %bb.370:
	scratch_load_b64 v[129:130], v133, off
	ds_load_b64 v[147:148], v132
	s_waitcnt vmcnt(0) lgkmcnt(0)
	v_mul_f64 v[129:130], v[129:130], v[147:148]
	s_cbranch_execz .LBB63_372
	s_branch .LBB63_373
.LBB63_371:
                                        ; implicit-def: $vgpr129_vgpr130
.LBB63_372:
	ds_load_b64 v[129:130], v132
.LBB63_373:
	s_and_saveexec_b32 s4, s0
	s_cbranch_execz .LBB63_377
; %bb.374:
	v_subrev_nc_u32_e32 v147, 26, v0
	s_movk_i32 s5, 0x2d0
	s_mov_b32 s0, 0
.LBB63_375:                             ; =>This Inner Loop Header: Depth=1
	scratch_load_b64 v[148:149], v146, off
	v_dual_mov_b32 v150, s5 :: v_dual_add_nc_u32 v147, -1, v147
	v_add_nc_u32_e32 v146, 8, v146
	s_add_i32 s5, s5, 8
	ds_load_b64 v[150:151], v150
	v_cmp_eq_u32_e32 vcc_lo, 0, v147
	s_or_b32 s0, vcc_lo, s0
	s_waitcnt vmcnt(0) lgkmcnt(0)
	v_fma_f64 v[129:130], v[148:149], v[150:151], v[129:130]
	s_and_not1_b32 exec_lo, exec_lo, s0
	s_cbranch_execnz .LBB63_375
; %bb.376:
	s_or_b32 exec_lo, exec_lo, s0
.LBB63_377:
	s_delay_alu instid0(SALU_CYCLE_1)
	s_or_b32 exec_lo, exec_lo, s4
	v_mov_b32_e32 v146, 0
	ds_load_b64 v[146:147], v146 offset:200
	s_waitcnt lgkmcnt(0)
	v_mul_f64 v[129:130], v[129:130], v[146:147]
	scratch_store_b64 off, v[129:130], off offset:200
.LBB63_378:
	s_or_b32 exec_lo, exec_lo, s3
	scratch_load_b64 v[129:130], off, off offset:192
	v_cmp_lt_u32_e64 s0, 24, v0
	s_waitcnt vmcnt(0)
	ds_store_b64 v132, v[129:130]
	s_waitcnt lgkmcnt(0)
	s_waitcnt_vscnt null, 0x0
	s_barrier
	buffer_gl0_inv
	s_and_saveexec_b32 s3, s0
	s_cbranch_execz .LBB63_388
; %bb.379:
	s_and_not1_b32 vcc_lo, exec_lo, s2
	s_cbranch_vccnz .LBB63_381
; %bb.380:
	scratch_load_b64 v[129:130], v133, off
	ds_load_b64 v[146:147], v132
	s_waitcnt vmcnt(0) lgkmcnt(0)
	v_mul_f64 v[129:130], v[129:130], v[146:147]
	s_cbranch_execz .LBB63_382
	s_branch .LBB63_383
.LBB63_381:
                                        ; implicit-def: $vgpr129_vgpr130
.LBB63_382:
	ds_load_b64 v[129:130], v132
.LBB63_383:
	s_and_saveexec_b32 s4, s1
	s_cbranch_execz .LBB63_387
; %bb.384:
	v_mov_b32_e32 v146, 0
	v_subrev_nc_u32_e32 v147, 25, v0
	s_movk_i32 s5, 0x2c8
	s_mov_b32 s1, 0
	s_delay_alu instid0(VALU_DEP_2)
	v_add_nc_u32_e32 v146, 0xc8, v146
.LBB63_385:                             ; =>This Inner Loop Header: Depth=1
	scratch_load_b64 v[148:149], v146, off
	v_dual_mov_b32 v150, s5 :: v_dual_add_nc_u32 v147, -1, v147
	v_add_nc_u32_e32 v146, 8, v146
	s_add_i32 s5, s5, 8
	ds_load_b64 v[150:151], v150
	v_cmp_eq_u32_e32 vcc_lo, 0, v147
	s_or_b32 s1, vcc_lo, s1
	s_waitcnt vmcnt(0) lgkmcnt(0)
	v_fma_f64 v[129:130], v[148:149], v[150:151], v[129:130]
	s_and_not1_b32 exec_lo, exec_lo, s1
	s_cbranch_execnz .LBB63_385
; %bb.386:
	s_or_b32 exec_lo, exec_lo, s1
.LBB63_387:
	s_delay_alu instid0(SALU_CYCLE_1)
	s_or_b32 exec_lo, exec_lo, s4
	v_mov_b32_e32 v146, 0
	ds_load_b64 v[146:147], v146 offset:192
	s_waitcnt lgkmcnt(0)
	v_mul_f64 v[129:130], v[129:130], v[146:147]
	scratch_store_b64 off, v[129:130], off offset:192
.LBB63_388:
	s_or_b32 exec_lo, exec_lo, s3
	scratch_load_b64 v[129:130], off, off offset:184
	v_cmp_lt_u32_e64 s1, 23, v0
	s_waitcnt vmcnt(0)
	ds_store_b64 v132, v[129:130]
	s_waitcnt lgkmcnt(0)
	s_waitcnt_vscnt null, 0x0
	s_barrier
	buffer_gl0_inv
	s_and_saveexec_b32 s3, s1
	s_cbranch_execz .LBB63_398
; %bb.389:
	s_and_not1_b32 vcc_lo, exec_lo, s2
	s_cbranch_vccnz .LBB63_391
; %bb.390:
	scratch_load_b64 v[129:130], v133, off
	ds_load_b64 v[146:147], v132
	s_waitcnt vmcnt(0) lgkmcnt(0)
	v_mul_f64 v[129:130], v[129:130], v[146:147]
	s_cbranch_execz .LBB63_392
	s_branch .LBB63_393
.LBB63_391:
                                        ; implicit-def: $vgpr129_vgpr130
.LBB63_392:
	ds_load_b64 v[129:130], v132
.LBB63_393:
	s_and_saveexec_b32 s4, s0
	s_cbranch_execz .LBB63_397
; %bb.394:
	v_subrev_nc_u32_e32 v146, 24, v0
	s_movk_i32 s5, 0x2c0
	s_mov_b32 s0, 0
.LBB63_395:                             ; =>This Inner Loop Header: Depth=1
	scratch_load_b64 v[147:148], v145, off
	v_dual_mov_b32 v149, s5 :: v_dual_add_nc_u32 v146, -1, v146
	v_add_nc_u32_e32 v145, 8, v145
	s_add_i32 s5, s5, 8
	ds_load_b64 v[149:150], v149
	v_cmp_eq_u32_e32 vcc_lo, 0, v146
	s_or_b32 s0, vcc_lo, s0
	s_waitcnt vmcnt(0) lgkmcnt(0)
	v_fma_f64 v[129:130], v[147:148], v[149:150], v[129:130]
	s_and_not1_b32 exec_lo, exec_lo, s0
	s_cbranch_execnz .LBB63_395
; %bb.396:
	s_or_b32 exec_lo, exec_lo, s0
.LBB63_397:
	s_delay_alu instid0(SALU_CYCLE_1)
	s_or_b32 exec_lo, exec_lo, s4
	v_mov_b32_e32 v145, 0
	ds_load_b64 v[145:146], v145 offset:184
	s_waitcnt lgkmcnt(0)
	v_mul_f64 v[129:130], v[129:130], v[145:146]
	scratch_store_b64 off, v[129:130], off offset:184
.LBB63_398:
	s_or_b32 exec_lo, exec_lo, s3
	scratch_load_b64 v[129:130], off, off offset:176
	v_cmp_lt_u32_e64 s0, 22, v0
	s_waitcnt vmcnt(0)
	ds_store_b64 v132, v[129:130]
	s_waitcnt lgkmcnt(0)
	s_waitcnt_vscnt null, 0x0
	s_barrier
	buffer_gl0_inv
	s_and_saveexec_b32 s3, s0
	s_cbranch_execz .LBB63_408
; %bb.399:
	s_and_not1_b32 vcc_lo, exec_lo, s2
	s_cbranch_vccnz .LBB63_401
; %bb.400:
	scratch_load_b64 v[129:130], v133, off
	ds_load_b64 v[145:146], v132
	s_waitcnt vmcnt(0) lgkmcnt(0)
	v_mul_f64 v[129:130], v[129:130], v[145:146]
	s_cbranch_execz .LBB63_402
	s_branch .LBB63_403
.LBB63_401:
                                        ; implicit-def: $vgpr129_vgpr130
.LBB63_402:
	ds_load_b64 v[129:130], v132
.LBB63_403:
	s_and_saveexec_b32 s4, s1
	s_cbranch_execz .LBB63_407
; %bb.404:
	v_mov_b32_e32 v145, 0
	v_subrev_nc_u32_e32 v146, 23, v0
	s_movk_i32 s5, 0x2b8
	s_mov_b32 s1, 0
	s_delay_alu instid0(VALU_DEP_2)
	v_add_nc_u32_e32 v145, 0xb8, v145
.LBB63_405:                             ; =>This Inner Loop Header: Depth=1
	scratch_load_b64 v[147:148], v145, off
	v_dual_mov_b32 v149, s5 :: v_dual_add_nc_u32 v146, -1, v146
	v_add_nc_u32_e32 v145, 8, v145
	s_add_i32 s5, s5, 8
	ds_load_b64 v[149:150], v149
	v_cmp_eq_u32_e32 vcc_lo, 0, v146
	s_or_b32 s1, vcc_lo, s1
	s_waitcnt vmcnt(0) lgkmcnt(0)
	v_fma_f64 v[129:130], v[147:148], v[149:150], v[129:130]
	s_and_not1_b32 exec_lo, exec_lo, s1
	s_cbranch_execnz .LBB63_405
; %bb.406:
	s_or_b32 exec_lo, exec_lo, s1
.LBB63_407:
	s_delay_alu instid0(SALU_CYCLE_1)
	s_or_b32 exec_lo, exec_lo, s4
	v_mov_b32_e32 v145, 0
	ds_load_b64 v[145:146], v145 offset:176
	s_waitcnt lgkmcnt(0)
	v_mul_f64 v[129:130], v[129:130], v[145:146]
	scratch_store_b64 off, v[129:130], off offset:176
.LBB63_408:
	s_or_b32 exec_lo, exec_lo, s3
	scratch_load_b64 v[129:130], off, off offset:168
	v_cmp_lt_u32_e64 s1, 21, v0
	s_waitcnt vmcnt(0)
	ds_store_b64 v132, v[129:130]
	s_waitcnt lgkmcnt(0)
	s_waitcnt_vscnt null, 0x0
	s_barrier
	buffer_gl0_inv
	s_and_saveexec_b32 s3, s1
	s_cbranch_execz .LBB63_418
; %bb.409:
	s_and_not1_b32 vcc_lo, exec_lo, s2
	s_cbranch_vccnz .LBB63_411
; %bb.410:
	scratch_load_b64 v[129:130], v133, off
	ds_load_b64 v[145:146], v132
	s_waitcnt vmcnt(0) lgkmcnt(0)
	v_mul_f64 v[129:130], v[129:130], v[145:146]
	s_cbranch_execz .LBB63_412
	s_branch .LBB63_413
.LBB63_411:
                                        ; implicit-def: $vgpr129_vgpr130
.LBB63_412:
	ds_load_b64 v[129:130], v132
.LBB63_413:
	s_and_saveexec_b32 s4, s0
	s_cbranch_execz .LBB63_417
; %bb.414:
	v_subrev_nc_u32_e32 v145, 22, v0
	s_movk_i32 s5, 0x2b0
	s_mov_b32 s0, 0
.LBB63_415:                             ; =>This Inner Loop Header: Depth=1
	scratch_load_b64 v[146:147], v144, off
	v_dual_mov_b32 v148, s5 :: v_dual_add_nc_u32 v145, -1, v145
	v_add_nc_u32_e32 v144, 8, v144
	s_add_i32 s5, s5, 8
	ds_load_b64 v[148:149], v148
	v_cmp_eq_u32_e32 vcc_lo, 0, v145
	s_or_b32 s0, vcc_lo, s0
	s_waitcnt vmcnt(0) lgkmcnt(0)
	v_fma_f64 v[129:130], v[146:147], v[148:149], v[129:130]
	s_and_not1_b32 exec_lo, exec_lo, s0
	s_cbranch_execnz .LBB63_415
; %bb.416:
	s_or_b32 exec_lo, exec_lo, s0
.LBB63_417:
	s_delay_alu instid0(SALU_CYCLE_1)
	s_or_b32 exec_lo, exec_lo, s4
	v_mov_b32_e32 v144, 0
	ds_load_b64 v[144:145], v144 offset:168
	s_waitcnt lgkmcnt(0)
	v_mul_f64 v[129:130], v[129:130], v[144:145]
	scratch_store_b64 off, v[129:130], off offset:168
.LBB63_418:
	s_or_b32 exec_lo, exec_lo, s3
	scratch_load_b64 v[129:130], off, off offset:160
	v_cmp_lt_u32_e64 s0, 20, v0
	s_waitcnt vmcnt(0)
	ds_store_b64 v132, v[129:130]
	s_waitcnt lgkmcnt(0)
	s_waitcnt_vscnt null, 0x0
	s_barrier
	buffer_gl0_inv
	s_and_saveexec_b32 s3, s0
	s_cbranch_execz .LBB63_428
; %bb.419:
	s_and_not1_b32 vcc_lo, exec_lo, s2
	s_cbranch_vccnz .LBB63_421
; %bb.420:
	scratch_load_b64 v[129:130], v133, off
	ds_load_b64 v[144:145], v132
	s_waitcnt vmcnt(0) lgkmcnt(0)
	v_mul_f64 v[129:130], v[129:130], v[144:145]
	s_cbranch_execz .LBB63_422
	s_branch .LBB63_423
.LBB63_421:
                                        ; implicit-def: $vgpr129_vgpr130
.LBB63_422:
	ds_load_b64 v[129:130], v132
.LBB63_423:
	s_and_saveexec_b32 s4, s1
	s_cbranch_execz .LBB63_427
; %bb.424:
	v_mov_b32_e32 v144, 0
	v_subrev_nc_u32_e32 v145, 21, v0
	s_movk_i32 s5, 0x2a8
	s_mov_b32 s1, 0
	s_delay_alu instid0(VALU_DEP_2)
	v_add_nc_u32_e32 v144, 0xa8, v144
.LBB63_425:                             ; =>This Inner Loop Header: Depth=1
	scratch_load_b64 v[146:147], v144, off
	v_dual_mov_b32 v148, s5 :: v_dual_add_nc_u32 v145, -1, v145
	v_add_nc_u32_e32 v144, 8, v144
	s_add_i32 s5, s5, 8
	ds_load_b64 v[148:149], v148
	v_cmp_eq_u32_e32 vcc_lo, 0, v145
	s_or_b32 s1, vcc_lo, s1
	s_waitcnt vmcnt(0) lgkmcnt(0)
	v_fma_f64 v[129:130], v[146:147], v[148:149], v[129:130]
	s_and_not1_b32 exec_lo, exec_lo, s1
	s_cbranch_execnz .LBB63_425
; %bb.426:
	s_or_b32 exec_lo, exec_lo, s1
.LBB63_427:
	s_delay_alu instid0(SALU_CYCLE_1)
	s_or_b32 exec_lo, exec_lo, s4
	v_mov_b32_e32 v144, 0
	ds_load_b64 v[144:145], v144 offset:160
	s_waitcnt lgkmcnt(0)
	v_mul_f64 v[129:130], v[129:130], v[144:145]
	scratch_store_b64 off, v[129:130], off offset:160
.LBB63_428:
	s_or_b32 exec_lo, exec_lo, s3
	scratch_load_b64 v[129:130], off, off offset:152
	v_cmp_lt_u32_e64 s1, 19, v0
	s_waitcnt vmcnt(0)
	ds_store_b64 v132, v[129:130]
	s_waitcnt lgkmcnt(0)
	s_waitcnt_vscnt null, 0x0
	s_barrier
	buffer_gl0_inv
	s_and_saveexec_b32 s3, s1
	s_cbranch_execz .LBB63_438
; %bb.429:
	s_and_not1_b32 vcc_lo, exec_lo, s2
	s_cbranch_vccnz .LBB63_431
; %bb.430:
	scratch_load_b64 v[129:130], v133, off
	ds_load_b64 v[144:145], v132
	s_waitcnt vmcnt(0) lgkmcnt(0)
	v_mul_f64 v[129:130], v[129:130], v[144:145]
	s_cbranch_execz .LBB63_432
	s_branch .LBB63_433
.LBB63_431:
                                        ; implicit-def: $vgpr129_vgpr130
.LBB63_432:
	ds_load_b64 v[129:130], v132
.LBB63_433:
	s_and_saveexec_b32 s4, s0
	s_cbranch_execz .LBB63_437
; %bb.434:
	v_subrev_nc_u32_e32 v144, 20, v0
	s_movk_i32 s5, 0x2a0
	s_mov_b32 s0, 0
.LBB63_435:                             ; =>This Inner Loop Header: Depth=1
	scratch_load_b64 v[145:146], v143, off
	v_dual_mov_b32 v147, s5 :: v_dual_add_nc_u32 v144, -1, v144
	v_add_nc_u32_e32 v143, 8, v143
	s_add_i32 s5, s5, 8
	ds_load_b64 v[147:148], v147
	v_cmp_eq_u32_e32 vcc_lo, 0, v144
	s_or_b32 s0, vcc_lo, s0
	s_waitcnt vmcnt(0) lgkmcnt(0)
	v_fma_f64 v[129:130], v[145:146], v[147:148], v[129:130]
	s_and_not1_b32 exec_lo, exec_lo, s0
	s_cbranch_execnz .LBB63_435
; %bb.436:
	s_or_b32 exec_lo, exec_lo, s0
.LBB63_437:
	s_delay_alu instid0(SALU_CYCLE_1)
	s_or_b32 exec_lo, exec_lo, s4
	v_mov_b32_e32 v143, 0
	ds_load_b64 v[143:144], v143 offset:152
	s_waitcnt lgkmcnt(0)
	v_mul_f64 v[129:130], v[129:130], v[143:144]
	scratch_store_b64 off, v[129:130], off offset:152
.LBB63_438:
	s_or_b32 exec_lo, exec_lo, s3
	scratch_load_b64 v[129:130], off, off offset:144
	v_cmp_lt_u32_e64 s0, 18, v0
	s_waitcnt vmcnt(0)
	ds_store_b64 v132, v[129:130]
	s_waitcnt lgkmcnt(0)
	s_waitcnt_vscnt null, 0x0
	s_barrier
	buffer_gl0_inv
	s_and_saveexec_b32 s3, s0
	s_cbranch_execz .LBB63_448
; %bb.439:
	s_and_not1_b32 vcc_lo, exec_lo, s2
	s_cbranch_vccnz .LBB63_441
; %bb.440:
	scratch_load_b64 v[129:130], v133, off
	ds_load_b64 v[143:144], v132
	s_waitcnt vmcnt(0) lgkmcnt(0)
	v_mul_f64 v[129:130], v[129:130], v[143:144]
	s_cbranch_execz .LBB63_442
	s_branch .LBB63_443
.LBB63_441:
                                        ; implicit-def: $vgpr129_vgpr130
.LBB63_442:
	ds_load_b64 v[129:130], v132
.LBB63_443:
	s_and_saveexec_b32 s4, s1
	s_cbranch_execz .LBB63_447
; %bb.444:
	v_mov_b32_e32 v143, 0
	v_subrev_nc_u32_e32 v144, 19, v0
	s_movk_i32 s5, 0x298
	s_mov_b32 s1, 0
	s_delay_alu instid0(VALU_DEP_2)
	v_add_nc_u32_e32 v143, 0x98, v143
.LBB63_445:                             ; =>This Inner Loop Header: Depth=1
	scratch_load_b64 v[145:146], v143, off
	v_dual_mov_b32 v147, s5 :: v_dual_add_nc_u32 v144, -1, v144
	v_add_nc_u32_e32 v143, 8, v143
	s_add_i32 s5, s5, 8
	ds_load_b64 v[147:148], v147
	v_cmp_eq_u32_e32 vcc_lo, 0, v144
	s_or_b32 s1, vcc_lo, s1
	s_waitcnt vmcnt(0) lgkmcnt(0)
	v_fma_f64 v[129:130], v[145:146], v[147:148], v[129:130]
	s_and_not1_b32 exec_lo, exec_lo, s1
	s_cbranch_execnz .LBB63_445
; %bb.446:
	s_or_b32 exec_lo, exec_lo, s1
.LBB63_447:
	s_delay_alu instid0(SALU_CYCLE_1)
	s_or_b32 exec_lo, exec_lo, s4
	v_mov_b32_e32 v143, 0
	ds_load_b64 v[143:144], v143 offset:144
	s_waitcnt lgkmcnt(0)
	v_mul_f64 v[129:130], v[129:130], v[143:144]
	scratch_store_b64 off, v[129:130], off offset:144
.LBB63_448:
	s_or_b32 exec_lo, exec_lo, s3
	scratch_load_b64 v[129:130], off, off offset:136
	v_cmp_lt_u32_e64 s1, 17, v0
	s_waitcnt vmcnt(0)
	ds_store_b64 v132, v[129:130]
	s_waitcnt lgkmcnt(0)
	s_waitcnt_vscnt null, 0x0
	s_barrier
	buffer_gl0_inv
	s_and_saveexec_b32 s3, s1
	s_cbranch_execz .LBB63_458
; %bb.449:
	s_and_not1_b32 vcc_lo, exec_lo, s2
	s_cbranch_vccnz .LBB63_451
; %bb.450:
	scratch_load_b64 v[129:130], v133, off
	ds_load_b64 v[143:144], v132
	s_waitcnt vmcnt(0) lgkmcnt(0)
	v_mul_f64 v[129:130], v[129:130], v[143:144]
	s_cbranch_execz .LBB63_452
	s_branch .LBB63_453
.LBB63_451:
                                        ; implicit-def: $vgpr129_vgpr130
.LBB63_452:
	ds_load_b64 v[129:130], v132
.LBB63_453:
	s_and_saveexec_b32 s4, s0
	s_cbranch_execz .LBB63_457
; %bb.454:
	v_subrev_nc_u32_e32 v143, 18, v0
	s_movk_i32 s5, 0x290
	s_mov_b32 s0, 0
.LBB63_455:                             ; =>This Inner Loop Header: Depth=1
	scratch_load_b64 v[144:145], v142, off
	v_dual_mov_b32 v146, s5 :: v_dual_add_nc_u32 v143, -1, v143
	v_add_nc_u32_e32 v142, 8, v142
	s_add_i32 s5, s5, 8
	ds_load_b64 v[146:147], v146
	v_cmp_eq_u32_e32 vcc_lo, 0, v143
	s_or_b32 s0, vcc_lo, s0
	s_waitcnt vmcnt(0) lgkmcnt(0)
	v_fma_f64 v[129:130], v[144:145], v[146:147], v[129:130]
	s_and_not1_b32 exec_lo, exec_lo, s0
	s_cbranch_execnz .LBB63_455
; %bb.456:
	s_or_b32 exec_lo, exec_lo, s0
.LBB63_457:
	s_delay_alu instid0(SALU_CYCLE_1)
	s_or_b32 exec_lo, exec_lo, s4
	v_mov_b32_e32 v142, 0
	ds_load_b64 v[142:143], v142 offset:136
	s_waitcnt lgkmcnt(0)
	v_mul_f64 v[129:130], v[129:130], v[142:143]
	scratch_store_b64 off, v[129:130], off offset:136
.LBB63_458:
	s_or_b32 exec_lo, exec_lo, s3
	scratch_load_b64 v[129:130], off, off offset:128
	v_cmp_lt_u32_e64 s0, 16, v0
	s_waitcnt vmcnt(0)
	ds_store_b64 v132, v[129:130]
	s_waitcnt lgkmcnt(0)
	s_waitcnt_vscnt null, 0x0
	s_barrier
	buffer_gl0_inv
	s_and_saveexec_b32 s3, s0
	s_cbranch_execz .LBB63_468
; %bb.459:
	s_and_not1_b32 vcc_lo, exec_lo, s2
	s_cbranch_vccnz .LBB63_461
; %bb.460:
	scratch_load_b64 v[129:130], v133, off
	ds_load_b64 v[142:143], v132
	s_waitcnt vmcnt(0) lgkmcnt(0)
	v_mul_f64 v[129:130], v[129:130], v[142:143]
	s_cbranch_execz .LBB63_462
	s_branch .LBB63_463
.LBB63_461:
                                        ; implicit-def: $vgpr129_vgpr130
.LBB63_462:
	ds_load_b64 v[129:130], v132
.LBB63_463:
	s_and_saveexec_b32 s4, s1
	s_cbranch_execz .LBB63_467
; %bb.464:
	v_mov_b32_e32 v142, 0
	v_subrev_nc_u32_e32 v143, 17, v0
	s_movk_i32 s5, 0x288
	s_mov_b32 s1, 0
	s_delay_alu instid0(VALU_DEP_2)
	v_add_nc_u32_e32 v142, 0x88, v142
.LBB63_465:                             ; =>This Inner Loop Header: Depth=1
	scratch_load_b64 v[144:145], v142, off
	v_dual_mov_b32 v146, s5 :: v_dual_add_nc_u32 v143, -1, v143
	v_add_nc_u32_e32 v142, 8, v142
	s_add_i32 s5, s5, 8
	ds_load_b64 v[146:147], v146
	v_cmp_eq_u32_e32 vcc_lo, 0, v143
	s_or_b32 s1, vcc_lo, s1
	s_waitcnt vmcnt(0) lgkmcnt(0)
	v_fma_f64 v[129:130], v[144:145], v[146:147], v[129:130]
	s_and_not1_b32 exec_lo, exec_lo, s1
	s_cbranch_execnz .LBB63_465
; %bb.466:
	s_or_b32 exec_lo, exec_lo, s1
.LBB63_467:
	s_delay_alu instid0(SALU_CYCLE_1)
	s_or_b32 exec_lo, exec_lo, s4
	v_mov_b32_e32 v142, 0
	ds_load_b64 v[142:143], v142 offset:128
	s_waitcnt lgkmcnt(0)
	v_mul_f64 v[129:130], v[129:130], v[142:143]
	scratch_store_b64 off, v[129:130], off offset:128
.LBB63_468:
	s_or_b32 exec_lo, exec_lo, s3
	scratch_load_b64 v[129:130], off, off offset:120
	v_cmp_lt_u32_e64 s1, 15, v0
	s_waitcnt vmcnt(0)
	ds_store_b64 v132, v[129:130]
	s_waitcnt lgkmcnt(0)
	s_waitcnt_vscnt null, 0x0
	s_barrier
	buffer_gl0_inv
	s_and_saveexec_b32 s3, s1
	s_cbranch_execz .LBB63_478
; %bb.469:
	s_and_not1_b32 vcc_lo, exec_lo, s2
	s_cbranch_vccnz .LBB63_471
; %bb.470:
	scratch_load_b64 v[129:130], v133, off
	ds_load_b64 v[142:143], v132
	s_waitcnt vmcnt(0) lgkmcnt(0)
	v_mul_f64 v[129:130], v[129:130], v[142:143]
	s_cbranch_execz .LBB63_472
	s_branch .LBB63_473
.LBB63_471:
                                        ; implicit-def: $vgpr129_vgpr130
.LBB63_472:
	ds_load_b64 v[129:130], v132
.LBB63_473:
	s_and_saveexec_b32 s4, s0
	s_cbranch_execz .LBB63_477
; %bb.474:
	v_add_nc_u32_e32 v142, -16, v0
	s_movk_i32 s5, 0x280
	s_mov_b32 s0, 0
.LBB63_475:                             ; =>This Inner Loop Header: Depth=1
	scratch_load_b64 v[143:144], v141, off
	v_dual_mov_b32 v145, s5 :: v_dual_add_nc_u32 v142, -1, v142
	v_add_nc_u32_e32 v141, 8, v141
	s_add_i32 s5, s5, 8
	ds_load_b64 v[145:146], v145
	v_cmp_eq_u32_e32 vcc_lo, 0, v142
	s_or_b32 s0, vcc_lo, s0
	s_waitcnt vmcnt(0) lgkmcnt(0)
	v_fma_f64 v[129:130], v[143:144], v[145:146], v[129:130]
	s_and_not1_b32 exec_lo, exec_lo, s0
	s_cbranch_execnz .LBB63_475
; %bb.476:
	s_or_b32 exec_lo, exec_lo, s0
.LBB63_477:
	s_delay_alu instid0(SALU_CYCLE_1)
	s_or_b32 exec_lo, exec_lo, s4
	v_mov_b32_e32 v141, 0
	ds_load_b64 v[141:142], v141 offset:120
	s_waitcnt lgkmcnt(0)
	v_mul_f64 v[129:130], v[129:130], v[141:142]
	scratch_store_b64 off, v[129:130], off offset:120
.LBB63_478:
	s_or_b32 exec_lo, exec_lo, s3
	scratch_load_b64 v[129:130], off, off offset:112
	v_cmp_lt_u32_e64 s0, 14, v0
	s_waitcnt vmcnt(0)
	ds_store_b64 v132, v[129:130]
	s_waitcnt lgkmcnt(0)
	s_waitcnt_vscnt null, 0x0
	s_barrier
	buffer_gl0_inv
	s_and_saveexec_b32 s3, s0
	s_cbranch_execz .LBB63_488
; %bb.479:
	s_and_not1_b32 vcc_lo, exec_lo, s2
	s_cbranch_vccnz .LBB63_481
; %bb.480:
	scratch_load_b64 v[129:130], v133, off
	ds_load_b64 v[141:142], v132
	s_waitcnt vmcnt(0) lgkmcnt(0)
	v_mul_f64 v[129:130], v[129:130], v[141:142]
	s_cbranch_execz .LBB63_482
	s_branch .LBB63_483
.LBB63_481:
                                        ; implicit-def: $vgpr129_vgpr130
.LBB63_482:
	ds_load_b64 v[129:130], v132
.LBB63_483:
	s_and_saveexec_b32 s4, s1
	s_cbranch_execz .LBB63_487
; %bb.484:
	v_dual_mov_b32 v141, 0 :: v_dual_add_nc_u32 v142, -15, v0
	s_movk_i32 s5, 0x278
	s_mov_b32 s1, 0
	s_delay_alu instid0(VALU_DEP_1)
	v_add_nc_u32_e32 v141, 0x78, v141
.LBB63_485:                             ; =>This Inner Loop Header: Depth=1
	scratch_load_b64 v[143:144], v141, off
	v_dual_mov_b32 v145, s5 :: v_dual_add_nc_u32 v142, -1, v142
	v_add_nc_u32_e32 v141, 8, v141
	s_add_i32 s5, s5, 8
	ds_load_b64 v[145:146], v145
	v_cmp_eq_u32_e32 vcc_lo, 0, v142
	s_or_b32 s1, vcc_lo, s1
	s_waitcnt vmcnt(0) lgkmcnt(0)
	v_fma_f64 v[129:130], v[143:144], v[145:146], v[129:130]
	s_and_not1_b32 exec_lo, exec_lo, s1
	s_cbranch_execnz .LBB63_485
; %bb.486:
	s_or_b32 exec_lo, exec_lo, s1
.LBB63_487:
	s_delay_alu instid0(SALU_CYCLE_1)
	s_or_b32 exec_lo, exec_lo, s4
	v_mov_b32_e32 v141, 0
	ds_load_b64 v[141:142], v141 offset:112
	s_waitcnt lgkmcnt(0)
	v_mul_f64 v[129:130], v[129:130], v[141:142]
	scratch_store_b64 off, v[129:130], off offset:112
.LBB63_488:
	s_or_b32 exec_lo, exec_lo, s3
	scratch_load_b64 v[129:130], off, off offset:104
	v_cmp_lt_u32_e64 s1, 13, v0
	s_waitcnt vmcnt(0)
	ds_store_b64 v132, v[129:130]
	s_waitcnt lgkmcnt(0)
	s_waitcnt_vscnt null, 0x0
	s_barrier
	buffer_gl0_inv
	s_and_saveexec_b32 s3, s1
	s_cbranch_execz .LBB63_498
; %bb.489:
	s_and_not1_b32 vcc_lo, exec_lo, s2
	s_cbranch_vccnz .LBB63_491
; %bb.490:
	scratch_load_b64 v[129:130], v133, off
	ds_load_b64 v[141:142], v132
	s_waitcnt vmcnt(0) lgkmcnt(0)
	v_mul_f64 v[129:130], v[129:130], v[141:142]
	s_cbranch_execz .LBB63_492
	s_branch .LBB63_493
.LBB63_491:
                                        ; implicit-def: $vgpr129_vgpr130
.LBB63_492:
	ds_load_b64 v[129:130], v132
.LBB63_493:
	s_and_saveexec_b32 s4, s0
	s_cbranch_execz .LBB63_497
; %bb.494:
	v_add_nc_u32_e32 v141, -14, v0
	s_movk_i32 s5, 0x270
	s_mov_b32 s0, 0
.LBB63_495:                             ; =>This Inner Loop Header: Depth=1
	scratch_load_b64 v[142:143], v140, off
	v_dual_mov_b32 v144, s5 :: v_dual_add_nc_u32 v141, -1, v141
	v_add_nc_u32_e32 v140, 8, v140
	s_add_i32 s5, s5, 8
	ds_load_b64 v[144:145], v144
	v_cmp_eq_u32_e32 vcc_lo, 0, v141
	s_or_b32 s0, vcc_lo, s0
	s_waitcnt vmcnt(0) lgkmcnt(0)
	v_fma_f64 v[129:130], v[142:143], v[144:145], v[129:130]
	s_and_not1_b32 exec_lo, exec_lo, s0
	s_cbranch_execnz .LBB63_495
; %bb.496:
	s_or_b32 exec_lo, exec_lo, s0
.LBB63_497:
	s_delay_alu instid0(SALU_CYCLE_1)
	s_or_b32 exec_lo, exec_lo, s4
	v_mov_b32_e32 v140, 0
	ds_load_b64 v[140:141], v140 offset:104
	s_waitcnt lgkmcnt(0)
	v_mul_f64 v[129:130], v[129:130], v[140:141]
	scratch_store_b64 off, v[129:130], off offset:104
.LBB63_498:
	s_or_b32 exec_lo, exec_lo, s3
	scratch_load_b64 v[129:130], off, off offset:96
	v_cmp_lt_u32_e64 s0, 12, v0
	s_waitcnt vmcnt(0)
	ds_store_b64 v132, v[129:130]
	s_waitcnt lgkmcnt(0)
	s_waitcnt_vscnt null, 0x0
	s_barrier
	buffer_gl0_inv
	s_and_saveexec_b32 s3, s0
	s_cbranch_execz .LBB63_508
; %bb.499:
	s_and_not1_b32 vcc_lo, exec_lo, s2
	s_cbranch_vccnz .LBB63_501
; %bb.500:
	scratch_load_b64 v[129:130], v133, off
	ds_load_b64 v[140:141], v132
	s_waitcnt vmcnt(0) lgkmcnt(0)
	v_mul_f64 v[129:130], v[129:130], v[140:141]
	s_cbranch_execz .LBB63_502
	s_branch .LBB63_503
.LBB63_501:
                                        ; implicit-def: $vgpr129_vgpr130
.LBB63_502:
	ds_load_b64 v[129:130], v132
.LBB63_503:
	s_and_saveexec_b32 s4, s1
	s_cbranch_execz .LBB63_507
; %bb.504:
	v_dual_mov_b32 v140, 0 :: v_dual_add_nc_u32 v141, -13, v0
	s_movk_i32 s5, 0x268
	s_mov_b32 s1, 0
	s_delay_alu instid0(VALU_DEP_1)
	v_add_nc_u32_e32 v140, 0x68, v140
.LBB63_505:                             ; =>This Inner Loop Header: Depth=1
	scratch_load_b64 v[142:143], v140, off
	v_dual_mov_b32 v144, s5 :: v_dual_add_nc_u32 v141, -1, v141
	v_add_nc_u32_e32 v140, 8, v140
	s_add_i32 s5, s5, 8
	ds_load_b64 v[144:145], v144
	v_cmp_eq_u32_e32 vcc_lo, 0, v141
	s_or_b32 s1, vcc_lo, s1
	s_waitcnt vmcnt(0) lgkmcnt(0)
	v_fma_f64 v[129:130], v[142:143], v[144:145], v[129:130]
	s_and_not1_b32 exec_lo, exec_lo, s1
	s_cbranch_execnz .LBB63_505
; %bb.506:
	s_or_b32 exec_lo, exec_lo, s1
.LBB63_507:
	s_delay_alu instid0(SALU_CYCLE_1)
	s_or_b32 exec_lo, exec_lo, s4
	v_mov_b32_e32 v140, 0
	ds_load_b64 v[140:141], v140 offset:96
	s_waitcnt lgkmcnt(0)
	v_mul_f64 v[129:130], v[129:130], v[140:141]
	scratch_store_b64 off, v[129:130], off offset:96
.LBB63_508:
	s_or_b32 exec_lo, exec_lo, s3
	scratch_load_b64 v[129:130], off, off offset:88
	v_cmp_lt_u32_e64 s1, 11, v0
	s_waitcnt vmcnt(0)
	ds_store_b64 v132, v[129:130]
	s_waitcnt lgkmcnt(0)
	s_waitcnt_vscnt null, 0x0
	s_barrier
	buffer_gl0_inv
	s_and_saveexec_b32 s3, s1
	s_cbranch_execz .LBB63_518
; %bb.509:
	s_and_not1_b32 vcc_lo, exec_lo, s2
	s_cbranch_vccnz .LBB63_511
; %bb.510:
	scratch_load_b64 v[129:130], v133, off
	ds_load_b64 v[140:141], v132
	s_waitcnt vmcnt(0) lgkmcnt(0)
	v_mul_f64 v[129:130], v[129:130], v[140:141]
	s_cbranch_execz .LBB63_512
	s_branch .LBB63_513
.LBB63_511:
                                        ; implicit-def: $vgpr129_vgpr130
.LBB63_512:
	ds_load_b64 v[129:130], v132
.LBB63_513:
	s_and_saveexec_b32 s4, s0
	s_cbranch_execz .LBB63_517
; %bb.514:
	v_add_nc_u32_e32 v140, -12, v0
	s_movk_i32 s5, 0x260
	s_mov_b32 s0, 0
.LBB63_515:                             ; =>This Inner Loop Header: Depth=1
	scratch_load_b64 v[141:142], v139, off
	v_dual_mov_b32 v143, s5 :: v_dual_add_nc_u32 v140, -1, v140
	v_add_nc_u32_e32 v139, 8, v139
	s_add_i32 s5, s5, 8
	ds_load_b64 v[143:144], v143
	v_cmp_eq_u32_e32 vcc_lo, 0, v140
	s_or_b32 s0, vcc_lo, s0
	s_waitcnt vmcnt(0) lgkmcnt(0)
	v_fma_f64 v[129:130], v[141:142], v[143:144], v[129:130]
	s_and_not1_b32 exec_lo, exec_lo, s0
	s_cbranch_execnz .LBB63_515
; %bb.516:
	s_or_b32 exec_lo, exec_lo, s0
.LBB63_517:
	s_delay_alu instid0(SALU_CYCLE_1)
	s_or_b32 exec_lo, exec_lo, s4
	v_mov_b32_e32 v139, 0
	ds_load_b64 v[139:140], v139 offset:88
	s_waitcnt lgkmcnt(0)
	v_mul_f64 v[129:130], v[129:130], v[139:140]
	scratch_store_b64 off, v[129:130], off offset:88
.LBB63_518:
	s_or_b32 exec_lo, exec_lo, s3
	scratch_load_b64 v[129:130], off, off offset:80
	v_cmp_lt_u32_e64 s0, 10, v0
	s_waitcnt vmcnt(0)
	ds_store_b64 v132, v[129:130]
	s_waitcnt lgkmcnt(0)
	s_waitcnt_vscnt null, 0x0
	s_barrier
	buffer_gl0_inv
	s_and_saveexec_b32 s3, s0
	s_cbranch_execz .LBB63_528
; %bb.519:
	s_and_not1_b32 vcc_lo, exec_lo, s2
	s_cbranch_vccnz .LBB63_521
; %bb.520:
	scratch_load_b64 v[129:130], v133, off
	ds_load_b64 v[139:140], v132
	s_waitcnt vmcnt(0) lgkmcnt(0)
	v_mul_f64 v[129:130], v[129:130], v[139:140]
	s_cbranch_execz .LBB63_522
	s_branch .LBB63_523
.LBB63_521:
                                        ; implicit-def: $vgpr129_vgpr130
.LBB63_522:
	ds_load_b64 v[129:130], v132
.LBB63_523:
	s_and_saveexec_b32 s4, s1
	s_cbranch_execz .LBB63_527
; %bb.524:
	v_dual_mov_b32 v139, 0 :: v_dual_add_nc_u32 v140, -11, v0
	s_movk_i32 s5, 0x258
	s_mov_b32 s1, 0
	s_delay_alu instid0(VALU_DEP_1)
	v_add_nc_u32_e32 v139, 0x58, v139
.LBB63_525:                             ; =>This Inner Loop Header: Depth=1
	scratch_load_b64 v[141:142], v139, off
	v_dual_mov_b32 v143, s5 :: v_dual_add_nc_u32 v140, -1, v140
	v_add_nc_u32_e32 v139, 8, v139
	s_add_i32 s5, s5, 8
	ds_load_b64 v[143:144], v143
	v_cmp_eq_u32_e32 vcc_lo, 0, v140
	s_or_b32 s1, vcc_lo, s1
	s_waitcnt vmcnt(0) lgkmcnt(0)
	v_fma_f64 v[129:130], v[141:142], v[143:144], v[129:130]
	s_and_not1_b32 exec_lo, exec_lo, s1
	s_cbranch_execnz .LBB63_525
; %bb.526:
	s_or_b32 exec_lo, exec_lo, s1
.LBB63_527:
	s_delay_alu instid0(SALU_CYCLE_1)
	s_or_b32 exec_lo, exec_lo, s4
	v_mov_b32_e32 v139, 0
	ds_load_b64 v[139:140], v139 offset:80
	s_waitcnt lgkmcnt(0)
	v_mul_f64 v[129:130], v[129:130], v[139:140]
	scratch_store_b64 off, v[129:130], off offset:80
.LBB63_528:
	s_or_b32 exec_lo, exec_lo, s3
	scratch_load_b64 v[129:130], off, off offset:72
	v_cmp_lt_u32_e64 s1, 9, v0
	s_waitcnt vmcnt(0)
	ds_store_b64 v132, v[129:130]
	s_waitcnt lgkmcnt(0)
	s_waitcnt_vscnt null, 0x0
	s_barrier
	buffer_gl0_inv
	s_and_saveexec_b32 s3, s1
	s_cbranch_execz .LBB63_538
; %bb.529:
	s_and_not1_b32 vcc_lo, exec_lo, s2
	s_cbranch_vccnz .LBB63_531
; %bb.530:
	scratch_load_b64 v[129:130], v133, off
	ds_load_b64 v[139:140], v132
	s_waitcnt vmcnt(0) lgkmcnt(0)
	v_mul_f64 v[129:130], v[129:130], v[139:140]
	s_cbranch_execz .LBB63_532
	s_branch .LBB63_533
.LBB63_531:
                                        ; implicit-def: $vgpr129_vgpr130
.LBB63_532:
	ds_load_b64 v[129:130], v132
.LBB63_533:
	s_and_saveexec_b32 s4, s0
	s_cbranch_execz .LBB63_537
; %bb.534:
	v_add_nc_u32_e32 v139, -10, v0
	s_movk_i32 s5, 0x250
	s_mov_b32 s0, 0
.LBB63_535:                             ; =>This Inner Loop Header: Depth=1
	scratch_load_b64 v[140:141], v138, off
	v_dual_mov_b32 v142, s5 :: v_dual_add_nc_u32 v139, -1, v139
	v_add_nc_u32_e32 v138, 8, v138
	s_add_i32 s5, s5, 8
	ds_load_b64 v[142:143], v142
	v_cmp_eq_u32_e32 vcc_lo, 0, v139
	s_or_b32 s0, vcc_lo, s0
	s_waitcnt vmcnt(0) lgkmcnt(0)
	v_fma_f64 v[129:130], v[140:141], v[142:143], v[129:130]
	s_and_not1_b32 exec_lo, exec_lo, s0
	s_cbranch_execnz .LBB63_535
; %bb.536:
	s_or_b32 exec_lo, exec_lo, s0
.LBB63_537:
	s_delay_alu instid0(SALU_CYCLE_1)
	s_or_b32 exec_lo, exec_lo, s4
	v_mov_b32_e32 v138, 0
	ds_load_b64 v[138:139], v138 offset:72
	s_waitcnt lgkmcnt(0)
	v_mul_f64 v[129:130], v[129:130], v[138:139]
	scratch_store_b64 off, v[129:130], off offset:72
.LBB63_538:
	s_or_b32 exec_lo, exec_lo, s3
	scratch_load_b64 v[129:130], off, off offset:64
	v_cmp_lt_u32_e64 s0, 8, v0
	s_waitcnt vmcnt(0)
	ds_store_b64 v132, v[129:130]
	s_waitcnt lgkmcnt(0)
	s_waitcnt_vscnt null, 0x0
	s_barrier
	buffer_gl0_inv
	s_and_saveexec_b32 s3, s0
	s_cbranch_execz .LBB63_548
; %bb.539:
	s_and_not1_b32 vcc_lo, exec_lo, s2
	s_cbranch_vccnz .LBB63_541
; %bb.540:
	scratch_load_b64 v[129:130], v133, off
	ds_load_b64 v[138:139], v132
	s_waitcnt vmcnt(0) lgkmcnt(0)
	v_mul_f64 v[129:130], v[129:130], v[138:139]
	s_cbranch_execz .LBB63_542
	s_branch .LBB63_543
.LBB63_541:
                                        ; implicit-def: $vgpr129_vgpr130
.LBB63_542:
	ds_load_b64 v[129:130], v132
.LBB63_543:
	s_and_saveexec_b32 s4, s1
	s_cbranch_execz .LBB63_547
; %bb.544:
	v_dual_mov_b32 v138, 0 :: v_dual_add_nc_u32 v139, -9, v0
	s_movk_i32 s5, 0x248
	s_mov_b32 s1, 0
	s_delay_alu instid0(VALU_DEP_1)
	v_add_nc_u32_e32 v138, 0x48, v138
.LBB63_545:                             ; =>This Inner Loop Header: Depth=1
	scratch_load_b64 v[140:141], v138, off
	v_dual_mov_b32 v142, s5 :: v_dual_add_nc_u32 v139, -1, v139
	v_add_nc_u32_e32 v138, 8, v138
	s_add_i32 s5, s5, 8
	ds_load_b64 v[142:143], v142
	v_cmp_eq_u32_e32 vcc_lo, 0, v139
	s_or_b32 s1, vcc_lo, s1
	s_waitcnt vmcnt(0) lgkmcnt(0)
	v_fma_f64 v[129:130], v[140:141], v[142:143], v[129:130]
	s_and_not1_b32 exec_lo, exec_lo, s1
	s_cbranch_execnz .LBB63_545
; %bb.546:
	s_or_b32 exec_lo, exec_lo, s1
.LBB63_547:
	s_delay_alu instid0(SALU_CYCLE_1)
	s_or_b32 exec_lo, exec_lo, s4
	v_mov_b32_e32 v138, 0
	ds_load_b64 v[138:139], v138 offset:64
	s_waitcnt lgkmcnt(0)
	v_mul_f64 v[129:130], v[129:130], v[138:139]
	scratch_store_b64 off, v[129:130], off offset:64
.LBB63_548:
	s_or_b32 exec_lo, exec_lo, s3
	scratch_load_b64 v[129:130], off, off offset:56
	v_cmp_lt_u32_e64 s1, 7, v0
	s_waitcnt vmcnt(0)
	ds_store_b64 v132, v[129:130]
	s_waitcnt lgkmcnt(0)
	s_waitcnt_vscnt null, 0x0
	s_barrier
	buffer_gl0_inv
	s_and_saveexec_b32 s3, s1
	s_cbranch_execz .LBB63_558
; %bb.549:
	s_and_not1_b32 vcc_lo, exec_lo, s2
	s_cbranch_vccnz .LBB63_551
; %bb.550:
	scratch_load_b64 v[129:130], v133, off
	ds_load_b64 v[138:139], v132
	s_waitcnt vmcnt(0) lgkmcnt(0)
	v_mul_f64 v[129:130], v[129:130], v[138:139]
	s_cbranch_execz .LBB63_552
	s_branch .LBB63_553
.LBB63_551:
                                        ; implicit-def: $vgpr129_vgpr130
.LBB63_552:
	ds_load_b64 v[129:130], v132
.LBB63_553:
	s_and_saveexec_b32 s4, s0
	s_cbranch_execz .LBB63_557
; %bb.554:
	v_add_nc_u32_e32 v138, -8, v0
	s_movk_i32 s5, 0x240
	s_mov_b32 s0, 0
.LBB63_555:                             ; =>This Inner Loop Header: Depth=1
	scratch_load_b64 v[139:140], v137, off
	v_dual_mov_b32 v141, s5 :: v_dual_add_nc_u32 v138, -1, v138
	v_add_nc_u32_e32 v137, 8, v137
	s_add_i32 s5, s5, 8
	ds_load_b64 v[141:142], v141
	v_cmp_eq_u32_e32 vcc_lo, 0, v138
	s_or_b32 s0, vcc_lo, s0
	s_waitcnt vmcnt(0) lgkmcnt(0)
	v_fma_f64 v[129:130], v[139:140], v[141:142], v[129:130]
	s_and_not1_b32 exec_lo, exec_lo, s0
	s_cbranch_execnz .LBB63_555
; %bb.556:
	s_or_b32 exec_lo, exec_lo, s0
.LBB63_557:
	s_delay_alu instid0(SALU_CYCLE_1)
	s_or_b32 exec_lo, exec_lo, s4
	v_mov_b32_e32 v137, 0
	ds_load_b64 v[137:138], v137 offset:56
	s_waitcnt lgkmcnt(0)
	v_mul_f64 v[129:130], v[129:130], v[137:138]
	scratch_store_b64 off, v[129:130], off offset:56
.LBB63_558:
	s_or_b32 exec_lo, exec_lo, s3
	scratch_load_b64 v[129:130], off, off offset:48
	v_cmp_lt_u32_e64 s0, 6, v0
	s_waitcnt vmcnt(0)
	ds_store_b64 v132, v[129:130]
	s_waitcnt lgkmcnt(0)
	s_waitcnt_vscnt null, 0x0
	s_barrier
	buffer_gl0_inv
	s_and_saveexec_b32 s3, s0
	s_cbranch_execz .LBB63_568
; %bb.559:
	s_and_not1_b32 vcc_lo, exec_lo, s2
	s_cbranch_vccnz .LBB63_561
; %bb.560:
	scratch_load_b64 v[129:130], v133, off
	ds_load_b64 v[137:138], v132
	s_waitcnt vmcnt(0) lgkmcnt(0)
	v_mul_f64 v[129:130], v[129:130], v[137:138]
	s_cbranch_execz .LBB63_562
	s_branch .LBB63_563
.LBB63_561:
                                        ; implicit-def: $vgpr129_vgpr130
.LBB63_562:
	ds_load_b64 v[129:130], v132
.LBB63_563:
	s_and_saveexec_b32 s4, s1
	s_cbranch_execz .LBB63_567
; %bb.564:
	v_add_nc_u32_e64 v137, 0, 56
	v_add_nc_u32_e32 v138, -7, v0
	s_movk_i32 s5, 0x238
	s_mov_b32 s1, 0
.LBB63_565:                             ; =>This Inner Loop Header: Depth=1
	scratch_load_b64 v[139:140], v137, off
	v_dual_mov_b32 v141, s5 :: v_dual_add_nc_u32 v138, -1, v138
	v_add_nc_u32_e32 v137, 8, v137
	s_add_i32 s5, s5, 8
	ds_load_b64 v[141:142], v141
	v_cmp_eq_u32_e32 vcc_lo, 0, v138
	s_or_b32 s1, vcc_lo, s1
	s_waitcnt vmcnt(0) lgkmcnt(0)
	v_fma_f64 v[129:130], v[139:140], v[141:142], v[129:130]
	s_and_not1_b32 exec_lo, exec_lo, s1
	s_cbranch_execnz .LBB63_565
; %bb.566:
	s_or_b32 exec_lo, exec_lo, s1
.LBB63_567:
	s_delay_alu instid0(SALU_CYCLE_1)
	s_or_b32 exec_lo, exec_lo, s4
	v_mov_b32_e32 v137, 0
	ds_load_b64 v[137:138], v137 offset:48
	s_waitcnt lgkmcnt(0)
	v_mul_f64 v[129:130], v[129:130], v[137:138]
	scratch_store_b64 off, v[129:130], off offset:48
.LBB63_568:
	s_or_b32 exec_lo, exec_lo, s3
	scratch_load_b64 v[129:130], off, off offset:40
	v_cmp_lt_u32_e64 s1, 5, v0
	s_waitcnt vmcnt(0)
	ds_store_b64 v132, v[129:130]
	s_waitcnt lgkmcnt(0)
	s_waitcnt_vscnt null, 0x0
	s_barrier
	buffer_gl0_inv
	s_and_saveexec_b32 s3, s1
	s_cbranch_execz .LBB63_578
; %bb.569:
	s_and_not1_b32 vcc_lo, exec_lo, s2
	s_cbranch_vccnz .LBB63_571
; %bb.570:
	scratch_load_b64 v[129:130], v133, off
	ds_load_b64 v[137:138], v132
	s_waitcnt vmcnt(0) lgkmcnt(0)
	v_mul_f64 v[129:130], v[129:130], v[137:138]
	s_cbranch_execz .LBB63_572
	s_branch .LBB63_573
.LBB63_571:
                                        ; implicit-def: $vgpr129_vgpr130
.LBB63_572:
	ds_load_b64 v[129:130], v132
.LBB63_573:
	s_and_saveexec_b32 s4, s0
	s_cbranch_execz .LBB63_577
; %bb.574:
	v_add_nc_u32_e32 v137, -6, v0
	s_movk_i32 s5, 0x230
	s_mov_b32 s0, 0
.LBB63_575:                             ; =>This Inner Loop Header: Depth=1
	scratch_load_b64 v[138:139], v136, off
	v_dual_mov_b32 v140, s5 :: v_dual_add_nc_u32 v137, -1, v137
	v_add_nc_u32_e32 v136, 8, v136
	s_add_i32 s5, s5, 8
	ds_load_b64 v[140:141], v140
	v_cmp_eq_u32_e32 vcc_lo, 0, v137
	s_or_b32 s0, vcc_lo, s0
	s_waitcnt vmcnt(0) lgkmcnt(0)
	v_fma_f64 v[129:130], v[138:139], v[140:141], v[129:130]
	s_and_not1_b32 exec_lo, exec_lo, s0
	s_cbranch_execnz .LBB63_575
; %bb.576:
	s_or_b32 exec_lo, exec_lo, s0
.LBB63_577:
	s_delay_alu instid0(SALU_CYCLE_1)
	s_or_b32 exec_lo, exec_lo, s4
	v_mov_b32_e32 v136, 0
	ds_load_b64 v[136:137], v136 offset:40
	s_waitcnt lgkmcnt(0)
	v_mul_f64 v[129:130], v[129:130], v[136:137]
	scratch_store_b64 off, v[129:130], off offset:40
.LBB63_578:
	s_or_b32 exec_lo, exec_lo, s3
	scratch_load_b64 v[129:130], off, off offset:32
	v_cmp_lt_u32_e64 s0, 4, v0
	s_waitcnt vmcnt(0)
	ds_store_b64 v132, v[129:130]
	s_waitcnt lgkmcnt(0)
	s_waitcnt_vscnt null, 0x0
	s_barrier
	buffer_gl0_inv
	s_and_saveexec_b32 s3, s0
	s_cbranch_execz .LBB63_588
; %bb.579:
	s_and_not1_b32 vcc_lo, exec_lo, s2
	s_cbranch_vccnz .LBB63_581
; %bb.580:
	scratch_load_b64 v[129:130], v133, off
	ds_load_b64 v[136:137], v132
	s_waitcnt vmcnt(0) lgkmcnt(0)
	v_mul_f64 v[129:130], v[129:130], v[136:137]
	s_cbranch_execz .LBB63_582
	s_branch .LBB63_583
.LBB63_581:
                                        ; implicit-def: $vgpr129_vgpr130
.LBB63_582:
	ds_load_b64 v[129:130], v132
.LBB63_583:
	s_and_saveexec_b32 s4, s1
	s_cbranch_execz .LBB63_587
; %bb.584:
	v_add_nc_u32_e64 v136, 0, 40
	v_add_nc_u32_e32 v137, -5, v0
	s_movk_i32 s5, 0x228
	s_mov_b32 s1, 0
.LBB63_585:                             ; =>This Inner Loop Header: Depth=1
	scratch_load_b64 v[138:139], v136, off
	v_dual_mov_b32 v140, s5 :: v_dual_add_nc_u32 v137, -1, v137
	v_add_nc_u32_e32 v136, 8, v136
	s_add_i32 s5, s5, 8
	ds_load_b64 v[140:141], v140
	v_cmp_eq_u32_e32 vcc_lo, 0, v137
	s_or_b32 s1, vcc_lo, s1
	s_waitcnt vmcnt(0) lgkmcnt(0)
	v_fma_f64 v[129:130], v[138:139], v[140:141], v[129:130]
	s_and_not1_b32 exec_lo, exec_lo, s1
	s_cbranch_execnz .LBB63_585
; %bb.586:
	s_or_b32 exec_lo, exec_lo, s1
.LBB63_587:
	s_delay_alu instid0(SALU_CYCLE_1)
	s_or_b32 exec_lo, exec_lo, s4
	v_mov_b32_e32 v136, 0
	ds_load_b64 v[136:137], v136 offset:32
	s_waitcnt lgkmcnt(0)
	v_mul_f64 v[129:130], v[129:130], v[136:137]
	scratch_store_b64 off, v[129:130], off offset:32
.LBB63_588:
	s_or_b32 exec_lo, exec_lo, s3
	scratch_load_b64 v[129:130], off, off offset:24
	v_cmp_lt_u32_e64 s1, 3, v0
	s_waitcnt vmcnt(0)
	ds_store_b64 v132, v[129:130]
	s_waitcnt lgkmcnt(0)
	s_waitcnt_vscnt null, 0x0
	s_barrier
	buffer_gl0_inv
	s_and_saveexec_b32 s3, s1
	s_cbranch_execz .LBB63_598
; %bb.589:
	s_and_not1_b32 vcc_lo, exec_lo, s2
	s_cbranch_vccnz .LBB63_591
; %bb.590:
	scratch_load_b64 v[129:130], v133, off
	ds_load_b64 v[136:137], v132
	s_waitcnt vmcnt(0) lgkmcnt(0)
	v_mul_f64 v[129:130], v[129:130], v[136:137]
	s_cbranch_execz .LBB63_592
	s_branch .LBB63_593
.LBB63_591:
                                        ; implicit-def: $vgpr129_vgpr130
.LBB63_592:
	ds_load_b64 v[129:130], v132
.LBB63_593:
	s_and_saveexec_b32 s4, s0
	s_cbranch_execz .LBB63_597
; %bb.594:
	v_add_nc_u32_e32 v136, -4, v0
	s_movk_i32 s5, 0x220
	s_mov_b32 s0, 0
.LBB63_595:                             ; =>This Inner Loop Header: Depth=1
	scratch_load_b64 v[137:138], v135, off
	v_dual_mov_b32 v139, s5 :: v_dual_add_nc_u32 v136, -1, v136
	v_add_nc_u32_e32 v135, 8, v135
	s_add_i32 s5, s5, 8
	ds_load_b64 v[139:140], v139
	v_cmp_eq_u32_e32 vcc_lo, 0, v136
	s_or_b32 s0, vcc_lo, s0
	s_waitcnt vmcnt(0) lgkmcnt(0)
	v_fma_f64 v[129:130], v[137:138], v[139:140], v[129:130]
	s_and_not1_b32 exec_lo, exec_lo, s0
	s_cbranch_execnz .LBB63_595
; %bb.596:
	s_or_b32 exec_lo, exec_lo, s0
.LBB63_597:
	s_delay_alu instid0(SALU_CYCLE_1)
	s_or_b32 exec_lo, exec_lo, s4
	v_mov_b32_e32 v135, 0
	ds_load_b64 v[135:136], v135 offset:24
	s_waitcnt lgkmcnt(0)
	v_mul_f64 v[129:130], v[129:130], v[135:136]
	scratch_store_b64 off, v[129:130], off offset:24
.LBB63_598:
	s_or_b32 exec_lo, exec_lo, s3
	scratch_load_b64 v[129:130], off, off offset:16
	v_cmp_lt_u32_e64 s0, 2, v0
	s_waitcnt vmcnt(0)
	ds_store_b64 v132, v[129:130]
	s_waitcnt lgkmcnt(0)
	s_waitcnt_vscnt null, 0x0
	s_barrier
	buffer_gl0_inv
	s_and_saveexec_b32 s3, s0
	s_cbranch_execz .LBB63_608
; %bb.599:
	s_and_not1_b32 vcc_lo, exec_lo, s2
	s_cbranch_vccnz .LBB63_601
; %bb.600:
	scratch_load_b64 v[129:130], v133, off
	ds_load_b64 v[135:136], v132
	s_waitcnt vmcnt(0) lgkmcnt(0)
	v_mul_f64 v[129:130], v[129:130], v[135:136]
	s_cbranch_execz .LBB63_602
	s_branch .LBB63_603
.LBB63_601:
                                        ; implicit-def: $vgpr129_vgpr130
.LBB63_602:
	ds_load_b64 v[129:130], v132
.LBB63_603:
	s_and_saveexec_b32 s4, s1
	s_cbranch_execz .LBB63_607
; %bb.604:
	v_add_nc_u32_e64 v135, 0, 24
	v_add_nc_u32_e32 v136, -3, v0
	s_movk_i32 s5, 0x218
	s_mov_b32 s1, 0
.LBB63_605:                             ; =>This Inner Loop Header: Depth=1
	scratch_load_b64 v[137:138], v135, off
	v_dual_mov_b32 v139, s5 :: v_dual_add_nc_u32 v136, -1, v136
	v_add_nc_u32_e32 v135, 8, v135
	s_add_i32 s5, s5, 8
	ds_load_b64 v[139:140], v139
	v_cmp_eq_u32_e32 vcc_lo, 0, v136
	s_or_b32 s1, vcc_lo, s1
	s_waitcnt vmcnt(0) lgkmcnt(0)
	v_fma_f64 v[129:130], v[137:138], v[139:140], v[129:130]
	s_and_not1_b32 exec_lo, exec_lo, s1
	s_cbranch_execnz .LBB63_605
; %bb.606:
	s_or_b32 exec_lo, exec_lo, s1
.LBB63_607:
	s_delay_alu instid0(SALU_CYCLE_1)
	s_or_b32 exec_lo, exec_lo, s4
	v_mov_b32_e32 v135, 0
	ds_load_b64 v[135:136], v135 offset:16
	s_waitcnt lgkmcnt(0)
	v_mul_f64 v[129:130], v[129:130], v[135:136]
	scratch_store_b64 off, v[129:130], off offset:16
.LBB63_608:
	s_or_b32 exec_lo, exec_lo, s3
	scratch_load_b64 v[129:130], off, off offset:8
	v_cmp_lt_u32_e64 s1, 1, v0
	s_waitcnt vmcnt(0)
	ds_store_b64 v132, v[129:130]
	s_waitcnt lgkmcnt(0)
	s_waitcnt_vscnt null, 0x0
	s_barrier
	buffer_gl0_inv
	s_and_saveexec_b32 s3, s1
	s_cbranch_execz .LBB63_618
; %bb.609:
	s_and_not1_b32 vcc_lo, exec_lo, s2
	s_cbranch_vccnz .LBB63_611
; %bb.610:
	scratch_load_b64 v[129:130], v133, off
	ds_load_b64 v[135:136], v132
	s_waitcnt vmcnt(0) lgkmcnt(0)
	v_mul_f64 v[129:130], v[129:130], v[135:136]
	s_cbranch_execz .LBB63_612
	s_branch .LBB63_613
.LBB63_611:
                                        ; implicit-def: $vgpr129_vgpr130
.LBB63_612:
	ds_load_b64 v[129:130], v132
.LBB63_613:
	s_and_saveexec_b32 s4, s0
	s_cbranch_execz .LBB63_617
; %bb.614:
	v_add_nc_u32_e32 v135, -2, v0
	s_movk_i32 s5, 0x210
	s_mov_b32 s0, 0
.LBB63_615:                             ; =>This Inner Loop Header: Depth=1
	scratch_load_b64 v[136:137], v134, off
	v_dual_mov_b32 v138, s5 :: v_dual_add_nc_u32 v135, -1, v135
	v_add_nc_u32_e32 v134, 8, v134
	s_add_i32 s5, s5, 8
	ds_load_b64 v[138:139], v138
	v_cmp_eq_u32_e32 vcc_lo, 0, v135
	s_or_b32 s0, vcc_lo, s0
	s_waitcnt vmcnt(0) lgkmcnt(0)
	v_fma_f64 v[129:130], v[136:137], v[138:139], v[129:130]
	s_and_not1_b32 exec_lo, exec_lo, s0
	s_cbranch_execnz .LBB63_615
; %bb.616:
	s_or_b32 exec_lo, exec_lo, s0
.LBB63_617:
	s_delay_alu instid0(SALU_CYCLE_1)
	s_or_b32 exec_lo, exec_lo, s4
	v_mov_b32_e32 v134, 0
	ds_load_b64 v[134:135], v134 offset:8
	s_waitcnt lgkmcnt(0)
	v_mul_f64 v[129:130], v[129:130], v[134:135]
	scratch_store_b64 off, v[129:130], off offset:8
.LBB63_618:
	s_or_b32 exec_lo, exec_lo, s3
	scratch_load_b64 v[129:130], off, off
	s_mov_b32 s0, 0
	s_mov_b32 s3, exec_lo
	s_waitcnt vmcnt(0)
	ds_store_b64 v132, v[129:130]
	s_waitcnt lgkmcnt(0)
	s_waitcnt_vscnt null, 0x0
	s_barrier
	buffer_gl0_inv
	v_cmpx_ne_u32_e32 0, v0
	s_cbranch_execz .LBB63_628
; %bb.619:
	s_and_not1_b32 vcc_lo, exec_lo, s2
	s_cbranch_vccnz .LBB63_621
; %bb.620:
	scratch_load_b64 v[129:130], v133, off
	ds_load_b64 v[134:135], v132
	s_waitcnt vmcnt(0) lgkmcnt(0)
	v_mul_f64 v[129:130], v[129:130], v[134:135]
	s_cbranch_execz .LBB63_622
	s_branch .LBB63_623
.LBB63_621:
                                        ; implicit-def: $vgpr129_vgpr130
.LBB63_622:
	ds_load_b64 v[129:130], v132
.LBB63_623:
	s_and_saveexec_b32 s4, s1
	s_cbranch_execz .LBB63_627
; %bb.624:
	v_or_b32_e64 v134, 0, 8
	v_add_nc_u32_e32 v135, -1, v0
	s_movk_i32 s5, 0x208
	s_mov_b32 s1, 0
.LBB63_625:                             ; =>This Inner Loop Header: Depth=1
	scratch_load_b64 v[136:137], v134, off
	v_dual_mov_b32 v138, s5 :: v_dual_add_nc_u32 v135, -1, v135
	v_add_nc_u32_e32 v134, 8, v134
	s_add_i32 s5, s5, 8
	ds_load_b64 v[138:139], v138
	v_cmp_eq_u32_e32 vcc_lo, 0, v135
	s_or_b32 s1, vcc_lo, s1
	s_waitcnt vmcnt(0) lgkmcnt(0)
	v_fma_f64 v[129:130], v[136:137], v[138:139], v[129:130]
	s_and_not1_b32 exec_lo, exec_lo, s1
	s_cbranch_execnz .LBB63_625
; %bb.626:
	s_or_b32 exec_lo, exec_lo, s1
.LBB63_627:
	s_delay_alu instid0(SALU_CYCLE_1)
	s_or_b32 exec_lo, exec_lo, s4
	v_mov_b32_e32 v134, 0
	ds_load_b64 v[134:135], v134
	s_waitcnt lgkmcnt(0)
	v_mul_f64 v[129:130], v[129:130], v[134:135]
	scratch_store_b64 off, v[129:130], off
.LBB63_628:
	s_or_b32 exec_lo, exec_lo, s3
.LBB63_629:
	s_delay_alu instid0(SALU_CYCLE_1)
	s_and_b32 vcc_lo, exec_lo, s0
	s_cbranch_vccz .LBB63_1255
; %bb.630:
	scratch_load_b64 v[129:130], off, off offset:8
	v_cmp_eq_u32_e64 s0, 0, v0
	s_waitcnt vmcnt(0)
	ds_store_b64 v132, v[129:130]
	s_waitcnt lgkmcnt(0)
	s_waitcnt_vscnt null, 0x0
	s_barrier
	buffer_gl0_inv
	s_and_saveexec_b32 s1, s0
	s_cbranch_execz .LBB63_636
; %bb.631:
	s_and_b32 vcc_lo, exec_lo, s2
	s_cbranch_vccz .LBB63_633
; %bb.632:
	scratch_load_b64 v[129:130], v133, off
	ds_load_b64 v[134:135], v132
	s_waitcnt vmcnt(0) lgkmcnt(0)
	v_mul_f64 v[129:130], v[129:130], v[134:135]
	s_cbranch_execz .LBB63_634
	s_branch .LBB63_635
.LBB63_633:
                                        ; implicit-def: $vgpr129_vgpr130
.LBB63_634:
	ds_load_b64 v[129:130], v132
.LBB63_635:
	v_mov_b32_e32 v134, 0
	ds_load_b64 v[134:135], v134 offset:8
	s_waitcnt lgkmcnt(0)
	v_mul_f64 v[129:130], v[129:130], v[134:135]
	scratch_store_b64 off, v[129:130], off offset:8
.LBB63_636:
	s_or_b32 exec_lo, exec_lo, s1
	scratch_load_b64 v[129:130], off, off offset:16
	v_cndmask_b32_e64 v134, 0, 1, s2
	s_mov_b32 s1, exec_lo
	s_waitcnt vmcnt(0)
	ds_store_b64 v132, v[129:130]
	s_waitcnt lgkmcnt(0)
	s_waitcnt_vscnt null, 0x0
	s_barrier
	buffer_gl0_inv
	v_cmpx_gt_u32_e32 2, v0
	s_cbranch_execz .LBB63_644
; %bb.637:
	s_and_not1_b32 vcc_lo, exec_lo, s2
	s_cbranch_vccnz .LBB63_639
; %bb.638:
	scratch_load_b64 v[129:130], v133, off
	ds_load_b64 v[135:136], v132
	s_waitcnt vmcnt(0) lgkmcnt(0)
	v_mul_f64 v[129:130], v[129:130], v[135:136]
	s_cbranch_execz .LBB63_640
	s_branch .LBB63_641
.LBB63_639:
                                        ; implicit-def: $vgpr129_vgpr130
.LBB63_640:
	ds_load_b64 v[129:130], v132
.LBB63_641:
	s_and_saveexec_b32 s2, s0
	s_cbranch_execz .LBB63_643
; %bb.642:
	scratch_load_b64 v[135:136], v133, off offset:8
	ds_load_b64 v[137:138], v132 offset:8
	s_waitcnt vmcnt(0) lgkmcnt(0)
	v_fma_f64 v[129:130], v[135:136], v[137:138], v[129:130]
.LBB63_643:
	s_or_b32 exec_lo, exec_lo, s2
	v_mov_b32_e32 v135, 0
	ds_load_b64 v[135:136], v135 offset:16
	s_waitcnt lgkmcnt(0)
	v_mul_f64 v[129:130], v[129:130], v[135:136]
	scratch_store_b64 off, v[129:130], off offset:16
.LBB63_644:
	s_or_b32 exec_lo, exec_lo, s1
	scratch_load_b64 v[129:130], off, off offset:24
	s_mov_b32 s1, exec_lo
	s_waitcnt vmcnt(0)
	ds_store_b64 v132, v[129:130]
	s_waitcnt lgkmcnt(0)
	s_waitcnt_vscnt null, 0x0
	s_barrier
	buffer_gl0_inv
	v_cmpx_gt_u32_e32 3, v0
	s_cbranch_execz .LBB63_654
; %bb.645:
	v_cmp_ne_u32_e32 vcc_lo, 1, v134
	s_cbranch_vccnz .LBB63_647
; %bb.646:
	scratch_load_b64 v[129:130], v133, off
	ds_load_b64 v[135:136], v132
	s_waitcnt vmcnt(0) lgkmcnt(0)
	v_mul_f64 v[129:130], v[129:130], v[135:136]
	s_cbranch_execz .LBB63_648
	s_branch .LBB63_649
.LBB63_647:
                                        ; implicit-def: $vgpr129_vgpr130
.LBB63_648:
	ds_load_b64 v[129:130], v132
.LBB63_649:
	s_mov_b32 s2, exec_lo
	v_cmpx_ne_u32_e32 2, v0
	s_cbranch_execz .LBB63_653
; %bb.650:
	scratch_load_b64 v[135:136], v133, off offset:8
	ds_load_b64 v[137:138], v132 offset:8
	s_waitcnt vmcnt(0) lgkmcnt(0)
	v_fma_f64 v[129:130], v[135:136], v[137:138], v[129:130]
	s_and_saveexec_b32 s3, s0
	s_cbranch_execz .LBB63_652
; %bb.651:
	scratch_load_b64 v[135:136], off, off offset:16
	v_mov_b32_e32 v137, 0
	ds_load_b64 v[137:138], v137 offset:528
	s_waitcnt vmcnt(0) lgkmcnt(0)
	v_fma_f64 v[129:130], v[135:136], v[137:138], v[129:130]
.LBB63_652:
	s_or_b32 exec_lo, exec_lo, s3
.LBB63_653:
	s_delay_alu instid0(SALU_CYCLE_1)
	s_or_b32 exec_lo, exec_lo, s2
	v_mov_b32_e32 v135, 0
	ds_load_b64 v[135:136], v135 offset:24
	s_waitcnt lgkmcnt(0)
	v_mul_f64 v[129:130], v[129:130], v[135:136]
	scratch_store_b64 off, v[129:130], off offset:24
.LBB63_654:
	s_or_b32 exec_lo, exec_lo, s1
	scratch_load_b64 v[129:130], off, off offset:32
	s_mov_b32 s0, exec_lo
	s_waitcnt vmcnt(0)
	ds_store_b64 v132, v[129:130]
	s_waitcnt lgkmcnt(0)
	s_waitcnt_vscnt null, 0x0
	s_barrier
	buffer_gl0_inv
	v_cmpx_gt_u32_e32 4, v0
	s_cbranch_execz .LBB63_664
; %bb.655:
	v_cmp_ne_u32_e32 vcc_lo, 1, v134
	s_cbranch_vccnz .LBB63_657
; %bb.656:
	scratch_load_b64 v[129:130], v133, off
	ds_load_b64 v[135:136], v132
	s_waitcnt vmcnt(0) lgkmcnt(0)
	v_mul_f64 v[129:130], v[129:130], v[135:136]
	s_cbranch_execz .LBB63_658
	s_branch .LBB63_659
.LBB63_657:
                                        ; implicit-def: $vgpr129_vgpr130
.LBB63_658:
	ds_load_b64 v[129:130], v132
.LBB63_659:
	s_mov_b32 s1, exec_lo
	v_cmpx_ne_u32_e32 3, v0
	s_cbranch_execz .LBB63_663
; %bb.660:
	v_add_nc_u32_e32 v135, 0x208, v131
	v_add3_u32 v136, 0, v131, 8
	v_mov_b32_e32 v137, v0
	s_mov_b32 s2, 0
.LBB63_661:                             ; =>This Inner Loop Header: Depth=1
	scratch_load_b64 v[138:139], v136, off
	ds_load_b64 v[140:141], v135
	v_add_nc_u32_e32 v137, 1, v137
	v_add_nc_u32_e32 v135, 8, v135
	v_add_nc_u32_e32 v136, 8, v136
	s_delay_alu instid0(VALU_DEP_3)
	v_cmp_lt_u32_e32 vcc_lo, 2, v137
	s_or_b32 s2, vcc_lo, s2
	s_waitcnt vmcnt(0) lgkmcnt(0)
	v_fma_f64 v[129:130], v[138:139], v[140:141], v[129:130]
	s_and_not1_b32 exec_lo, exec_lo, s2
	s_cbranch_execnz .LBB63_661
; %bb.662:
	s_or_b32 exec_lo, exec_lo, s2
.LBB63_663:
	s_delay_alu instid0(SALU_CYCLE_1)
	s_or_b32 exec_lo, exec_lo, s1
	v_mov_b32_e32 v135, 0
	ds_load_b64 v[135:136], v135 offset:32
	s_waitcnt lgkmcnt(0)
	v_mul_f64 v[129:130], v[129:130], v[135:136]
	scratch_store_b64 off, v[129:130], off offset:32
.LBB63_664:
	s_or_b32 exec_lo, exec_lo, s0
	scratch_load_b64 v[129:130], off, off offset:40
	s_mov_b32 s0, exec_lo
	s_waitcnt vmcnt(0)
	ds_store_b64 v132, v[129:130]
	s_waitcnt lgkmcnt(0)
	s_waitcnt_vscnt null, 0x0
	s_barrier
	buffer_gl0_inv
	v_cmpx_gt_u32_e32 5, v0
	s_cbranch_execz .LBB63_674
; %bb.665:
	v_cmp_ne_u32_e32 vcc_lo, 1, v134
	s_cbranch_vccnz .LBB63_667
; %bb.666:
	scratch_load_b64 v[129:130], v133, off
	ds_load_b64 v[135:136], v132
	s_waitcnt vmcnt(0) lgkmcnt(0)
	v_mul_f64 v[129:130], v[129:130], v[135:136]
	s_cbranch_execz .LBB63_668
	s_branch .LBB63_669
.LBB63_667:
                                        ; implicit-def: $vgpr129_vgpr130
.LBB63_668:
	ds_load_b64 v[129:130], v132
.LBB63_669:
	s_mov_b32 s1, exec_lo
	v_cmpx_ne_u32_e32 4, v0
	s_cbranch_execz .LBB63_673
; %bb.670:
	v_add_nc_u32_e32 v135, 0x208, v131
	v_add3_u32 v136, 0, v131, 8
	v_mov_b32_e32 v137, v0
	s_mov_b32 s2, 0
.LBB63_671:                             ; =>This Inner Loop Header: Depth=1
	scratch_load_b64 v[138:139], v136, off
	ds_load_b64 v[140:141], v135
	v_add_nc_u32_e32 v137, 1, v137
	v_add_nc_u32_e32 v135, 8, v135
	v_add_nc_u32_e32 v136, 8, v136
	s_delay_alu instid0(VALU_DEP_3)
	v_cmp_lt_u32_e32 vcc_lo, 3, v137
	s_or_b32 s2, vcc_lo, s2
	s_waitcnt vmcnt(0) lgkmcnt(0)
	v_fma_f64 v[129:130], v[138:139], v[140:141], v[129:130]
	s_and_not1_b32 exec_lo, exec_lo, s2
	s_cbranch_execnz .LBB63_671
; %bb.672:
	s_or_b32 exec_lo, exec_lo, s2
.LBB63_673:
	s_delay_alu instid0(SALU_CYCLE_1)
	s_or_b32 exec_lo, exec_lo, s1
	v_mov_b32_e32 v135, 0
	ds_load_b64 v[135:136], v135 offset:40
	s_waitcnt lgkmcnt(0)
	v_mul_f64 v[129:130], v[129:130], v[135:136]
	scratch_store_b64 off, v[129:130], off offset:40
.LBB63_674:
	;; [unrolled: 58-line block ×34, first 2 shown]
	s_or_b32 exec_lo, exec_lo, s0
	scratch_load_b64 v[129:130], off, off offset:304
	s_mov_b32 s0, exec_lo
	s_waitcnt vmcnt(0)
	ds_store_b64 v132, v[129:130]
	s_waitcnt lgkmcnt(0)
	s_waitcnt_vscnt null, 0x0
	s_barrier
	buffer_gl0_inv
	v_cmpx_gt_u32_e32 38, v0
	s_cbranch_execz .LBB63_1004
; %bb.995:
	v_cmp_ne_u32_e32 vcc_lo, 1, v134
	s_cbranch_vccnz .LBB63_997
; %bb.996:
	scratch_load_b64 v[129:130], v133, off
	ds_load_b64 v[135:136], v132
	s_waitcnt vmcnt(0) lgkmcnt(0)
	v_mul_f64 v[129:130], v[129:130], v[135:136]
	s_cbranch_execz .LBB63_998
	s_branch .LBB63_999
.LBB63_997:
                                        ; implicit-def: $vgpr129_vgpr130
.LBB63_998:
	ds_load_b64 v[129:130], v132
.LBB63_999:
	s_mov_b32 s1, exec_lo
	v_cmpx_ne_u32_e32 37, v0
	s_cbranch_execz .LBB63_1003
; %bb.1000:
	v_add_nc_u32_e32 v135, 0x208, v131
	v_add3_u32 v136, 0, v131, 8
	v_mov_b32_e32 v137, v0
	s_mov_b32 s2, 0
.LBB63_1001:                            ; =>This Inner Loop Header: Depth=1
	scratch_load_b64 v[138:139], v136, off
	ds_load_b64 v[140:141], v135
	v_add_nc_u32_e32 v137, 1, v137
	v_add_nc_u32_e32 v135, 8, v135
	v_add_nc_u32_e32 v136, 8, v136
	s_delay_alu instid0(VALU_DEP_3)
	v_cmp_lt_u32_e32 vcc_lo, 36, v137
	s_or_b32 s2, vcc_lo, s2
	s_waitcnt vmcnt(0) lgkmcnt(0)
	v_fma_f64 v[129:130], v[138:139], v[140:141], v[129:130]
	s_and_not1_b32 exec_lo, exec_lo, s2
	s_cbranch_execnz .LBB63_1001
; %bb.1002:
	s_or_b32 exec_lo, exec_lo, s2
.LBB63_1003:
	s_delay_alu instid0(SALU_CYCLE_1)
	s_or_b32 exec_lo, exec_lo, s1
	v_mov_b32_e32 v135, 0
	ds_load_b64 v[135:136], v135 offset:304
	s_waitcnt lgkmcnt(0)
	v_mul_f64 v[129:130], v[129:130], v[135:136]
	scratch_store_b64 off, v[129:130], off offset:304
.LBB63_1004:
	s_or_b32 exec_lo, exec_lo, s0
	scratch_load_b64 v[129:130], off, off offset:312
	s_mov_b32 s0, exec_lo
	s_waitcnt vmcnt(0)
	ds_store_b64 v132, v[129:130]
	s_waitcnt lgkmcnt(0)
	s_waitcnt_vscnt null, 0x0
	s_barrier
	buffer_gl0_inv
	v_cmpx_gt_u32_e32 39, v0
	s_cbranch_execz .LBB63_1014
; %bb.1005:
	v_cmp_ne_u32_e32 vcc_lo, 1, v134
	s_cbranch_vccnz .LBB63_1007
; %bb.1006:
	scratch_load_b64 v[129:130], v133, off
	ds_load_b64 v[135:136], v132
	s_waitcnt vmcnt(0) lgkmcnt(0)
	v_mul_f64 v[129:130], v[129:130], v[135:136]
	s_cbranch_execz .LBB63_1008
	s_branch .LBB63_1009
.LBB63_1007:
                                        ; implicit-def: $vgpr129_vgpr130
.LBB63_1008:
	ds_load_b64 v[129:130], v132
.LBB63_1009:
	s_mov_b32 s1, exec_lo
	v_cmpx_ne_u32_e32 38, v0
	s_cbranch_execz .LBB63_1013
; %bb.1010:
	v_add_nc_u32_e32 v135, 0x208, v131
	v_add3_u32 v136, 0, v131, 8
	v_mov_b32_e32 v137, v0
	s_mov_b32 s2, 0
.LBB63_1011:                            ; =>This Inner Loop Header: Depth=1
	scratch_load_b64 v[138:139], v136, off
	ds_load_b64 v[140:141], v135
	v_add_nc_u32_e32 v137, 1, v137
	v_add_nc_u32_e32 v135, 8, v135
	v_add_nc_u32_e32 v136, 8, v136
	s_delay_alu instid0(VALU_DEP_3)
	v_cmp_lt_u32_e32 vcc_lo, 37, v137
	s_or_b32 s2, vcc_lo, s2
	s_waitcnt vmcnt(0) lgkmcnt(0)
	v_fma_f64 v[129:130], v[138:139], v[140:141], v[129:130]
	s_and_not1_b32 exec_lo, exec_lo, s2
	s_cbranch_execnz .LBB63_1011
; %bb.1012:
	s_or_b32 exec_lo, exec_lo, s2
.LBB63_1013:
	s_delay_alu instid0(SALU_CYCLE_1)
	s_or_b32 exec_lo, exec_lo, s1
	v_mov_b32_e32 v135, 0
	ds_load_b64 v[135:136], v135 offset:312
	s_waitcnt lgkmcnt(0)
	v_mul_f64 v[129:130], v[129:130], v[135:136]
	scratch_store_b64 off, v[129:130], off offset:312
.LBB63_1014:
	s_or_b32 exec_lo, exec_lo, s0
	scratch_load_b64 v[129:130], off, off offset:320
	s_mov_b32 s0, exec_lo
	s_waitcnt vmcnt(0)
	ds_store_b64 v132, v[129:130]
	s_waitcnt lgkmcnt(0)
	s_waitcnt_vscnt null, 0x0
	s_barrier
	buffer_gl0_inv
	v_cmpx_gt_u32_e32 40, v0
	s_cbranch_execz .LBB63_1024
; %bb.1015:
	v_cmp_ne_u32_e32 vcc_lo, 1, v134
	s_cbranch_vccnz .LBB63_1017
; %bb.1016:
	scratch_load_b64 v[129:130], v133, off
	ds_load_b64 v[135:136], v132
	s_waitcnt vmcnt(0) lgkmcnt(0)
	v_mul_f64 v[129:130], v[129:130], v[135:136]
	s_cbranch_execz .LBB63_1018
	s_branch .LBB63_1019
.LBB63_1017:
                                        ; implicit-def: $vgpr129_vgpr130
.LBB63_1018:
	ds_load_b64 v[129:130], v132
.LBB63_1019:
	s_mov_b32 s1, exec_lo
	v_cmpx_ne_u32_e32 39, v0
	s_cbranch_execz .LBB63_1023
; %bb.1020:
	v_add_nc_u32_e32 v135, 0x208, v131
	v_add3_u32 v136, 0, v131, 8
	v_mov_b32_e32 v137, v0
	s_mov_b32 s2, 0
.LBB63_1021:                            ; =>This Inner Loop Header: Depth=1
	scratch_load_b64 v[138:139], v136, off
	ds_load_b64 v[140:141], v135
	v_add_nc_u32_e32 v137, 1, v137
	v_add_nc_u32_e32 v135, 8, v135
	v_add_nc_u32_e32 v136, 8, v136
	s_delay_alu instid0(VALU_DEP_3)
	v_cmp_lt_u32_e32 vcc_lo, 38, v137
	s_or_b32 s2, vcc_lo, s2
	s_waitcnt vmcnt(0) lgkmcnt(0)
	v_fma_f64 v[129:130], v[138:139], v[140:141], v[129:130]
	s_and_not1_b32 exec_lo, exec_lo, s2
	s_cbranch_execnz .LBB63_1021
; %bb.1022:
	s_or_b32 exec_lo, exec_lo, s2
.LBB63_1023:
	s_delay_alu instid0(SALU_CYCLE_1)
	s_or_b32 exec_lo, exec_lo, s1
	v_mov_b32_e32 v135, 0
	ds_load_b64 v[135:136], v135 offset:320
	s_waitcnt lgkmcnt(0)
	v_mul_f64 v[129:130], v[129:130], v[135:136]
	scratch_store_b64 off, v[129:130], off offset:320
.LBB63_1024:
	s_or_b32 exec_lo, exec_lo, s0
	scratch_load_b64 v[129:130], off, off offset:328
	s_mov_b32 s0, exec_lo
	s_waitcnt vmcnt(0)
	ds_store_b64 v132, v[129:130]
	s_waitcnt lgkmcnt(0)
	s_waitcnt_vscnt null, 0x0
	s_barrier
	buffer_gl0_inv
	v_cmpx_gt_u32_e32 41, v0
	s_cbranch_execz .LBB63_1034
; %bb.1025:
	v_cmp_ne_u32_e32 vcc_lo, 1, v134
	s_cbranch_vccnz .LBB63_1027
; %bb.1026:
	scratch_load_b64 v[129:130], v133, off
	ds_load_b64 v[135:136], v132
	s_waitcnt vmcnt(0) lgkmcnt(0)
	v_mul_f64 v[129:130], v[129:130], v[135:136]
	s_cbranch_execz .LBB63_1028
	s_branch .LBB63_1029
.LBB63_1027:
                                        ; implicit-def: $vgpr129_vgpr130
.LBB63_1028:
	ds_load_b64 v[129:130], v132
.LBB63_1029:
	s_mov_b32 s1, exec_lo
	v_cmpx_ne_u32_e32 40, v0
	s_cbranch_execz .LBB63_1033
; %bb.1030:
	v_add_nc_u32_e32 v135, 0x208, v131
	v_add3_u32 v136, 0, v131, 8
	v_mov_b32_e32 v137, v0
	s_mov_b32 s2, 0
.LBB63_1031:                            ; =>This Inner Loop Header: Depth=1
	scratch_load_b64 v[138:139], v136, off
	ds_load_b64 v[140:141], v135
	v_add_nc_u32_e32 v137, 1, v137
	v_add_nc_u32_e32 v135, 8, v135
	v_add_nc_u32_e32 v136, 8, v136
	s_delay_alu instid0(VALU_DEP_3)
	v_cmp_lt_u32_e32 vcc_lo, 39, v137
	s_or_b32 s2, vcc_lo, s2
	s_waitcnt vmcnt(0) lgkmcnt(0)
	v_fma_f64 v[129:130], v[138:139], v[140:141], v[129:130]
	s_and_not1_b32 exec_lo, exec_lo, s2
	s_cbranch_execnz .LBB63_1031
; %bb.1032:
	s_or_b32 exec_lo, exec_lo, s2
.LBB63_1033:
	s_delay_alu instid0(SALU_CYCLE_1)
	s_or_b32 exec_lo, exec_lo, s1
	v_mov_b32_e32 v135, 0
	ds_load_b64 v[135:136], v135 offset:328
	s_waitcnt lgkmcnt(0)
	v_mul_f64 v[129:130], v[129:130], v[135:136]
	scratch_store_b64 off, v[129:130], off offset:328
.LBB63_1034:
	s_or_b32 exec_lo, exec_lo, s0
	scratch_load_b64 v[129:130], off, off offset:336
	s_mov_b32 s0, exec_lo
	s_waitcnt vmcnt(0)
	ds_store_b64 v132, v[129:130]
	s_waitcnt lgkmcnt(0)
	s_waitcnt_vscnt null, 0x0
	s_barrier
	buffer_gl0_inv
	v_cmpx_gt_u32_e32 42, v0
	s_cbranch_execz .LBB63_1044
; %bb.1035:
	v_cmp_ne_u32_e32 vcc_lo, 1, v134
	s_cbranch_vccnz .LBB63_1037
; %bb.1036:
	scratch_load_b64 v[129:130], v133, off
	ds_load_b64 v[135:136], v132
	s_waitcnt vmcnt(0) lgkmcnt(0)
	v_mul_f64 v[129:130], v[129:130], v[135:136]
	s_cbranch_execz .LBB63_1038
	s_branch .LBB63_1039
.LBB63_1037:
                                        ; implicit-def: $vgpr129_vgpr130
.LBB63_1038:
	ds_load_b64 v[129:130], v132
.LBB63_1039:
	s_mov_b32 s1, exec_lo
	v_cmpx_ne_u32_e32 41, v0
	s_cbranch_execz .LBB63_1043
; %bb.1040:
	v_add_nc_u32_e32 v135, 0x208, v131
	v_add3_u32 v136, 0, v131, 8
	v_mov_b32_e32 v137, v0
	s_mov_b32 s2, 0
.LBB63_1041:                            ; =>This Inner Loop Header: Depth=1
	scratch_load_b64 v[138:139], v136, off
	ds_load_b64 v[140:141], v135
	v_add_nc_u32_e32 v137, 1, v137
	v_add_nc_u32_e32 v135, 8, v135
	v_add_nc_u32_e32 v136, 8, v136
	s_delay_alu instid0(VALU_DEP_3)
	v_cmp_lt_u32_e32 vcc_lo, 40, v137
	s_or_b32 s2, vcc_lo, s2
	s_waitcnt vmcnt(0) lgkmcnt(0)
	v_fma_f64 v[129:130], v[138:139], v[140:141], v[129:130]
	s_and_not1_b32 exec_lo, exec_lo, s2
	s_cbranch_execnz .LBB63_1041
; %bb.1042:
	s_or_b32 exec_lo, exec_lo, s2
.LBB63_1043:
	s_delay_alu instid0(SALU_CYCLE_1)
	s_or_b32 exec_lo, exec_lo, s1
	v_mov_b32_e32 v135, 0
	ds_load_b64 v[135:136], v135 offset:336
	s_waitcnt lgkmcnt(0)
	v_mul_f64 v[129:130], v[129:130], v[135:136]
	scratch_store_b64 off, v[129:130], off offset:336
.LBB63_1044:
	s_or_b32 exec_lo, exec_lo, s0
	scratch_load_b64 v[129:130], off, off offset:344
	s_mov_b32 s0, exec_lo
	s_waitcnt vmcnt(0)
	ds_store_b64 v132, v[129:130]
	s_waitcnt lgkmcnt(0)
	s_waitcnt_vscnt null, 0x0
	s_barrier
	buffer_gl0_inv
	v_cmpx_gt_u32_e32 43, v0
	s_cbranch_execz .LBB63_1054
; %bb.1045:
	v_cmp_ne_u32_e32 vcc_lo, 1, v134
	s_cbranch_vccnz .LBB63_1047
; %bb.1046:
	scratch_load_b64 v[129:130], v133, off
	ds_load_b64 v[135:136], v132
	s_waitcnt vmcnt(0) lgkmcnt(0)
	v_mul_f64 v[129:130], v[129:130], v[135:136]
	s_cbranch_execz .LBB63_1048
	s_branch .LBB63_1049
.LBB63_1047:
                                        ; implicit-def: $vgpr129_vgpr130
.LBB63_1048:
	ds_load_b64 v[129:130], v132
.LBB63_1049:
	s_mov_b32 s1, exec_lo
	v_cmpx_ne_u32_e32 42, v0
	s_cbranch_execz .LBB63_1053
; %bb.1050:
	v_add_nc_u32_e32 v135, 0x208, v131
	v_add3_u32 v136, 0, v131, 8
	v_mov_b32_e32 v137, v0
	s_mov_b32 s2, 0
.LBB63_1051:                            ; =>This Inner Loop Header: Depth=1
	scratch_load_b64 v[138:139], v136, off
	ds_load_b64 v[140:141], v135
	v_add_nc_u32_e32 v137, 1, v137
	v_add_nc_u32_e32 v135, 8, v135
	v_add_nc_u32_e32 v136, 8, v136
	s_delay_alu instid0(VALU_DEP_3)
	v_cmp_lt_u32_e32 vcc_lo, 41, v137
	s_or_b32 s2, vcc_lo, s2
	s_waitcnt vmcnt(0) lgkmcnt(0)
	v_fma_f64 v[129:130], v[138:139], v[140:141], v[129:130]
	s_and_not1_b32 exec_lo, exec_lo, s2
	s_cbranch_execnz .LBB63_1051
; %bb.1052:
	s_or_b32 exec_lo, exec_lo, s2
.LBB63_1053:
	s_delay_alu instid0(SALU_CYCLE_1)
	s_or_b32 exec_lo, exec_lo, s1
	v_mov_b32_e32 v135, 0
	ds_load_b64 v[135:136], v135 offset:344
	s_waitcnt lgkmcnt(0)
	v_mul_f64 v[129:130], v[129:130], v[135:136]
	scratch_store_b64 off, v[129:130], off offset:344
.LBB63_1054:
	s_or_b32 exec_lo, exec_lo, s0
	scratch_load_b64 v[129:130], off, off offset:352
	s_mov_b32 s0, exec_lo
	s_waitcnt vmcnt(0)
	ds_store_b64 v132, v[129:130]
	s_waitcnt lgkmcnt(0)
	s_waitcnt_vscnt null, 0x0
	s_barrier
	buffer_gl0_inv
	v_cmpx_gt_u32_e32 44, v0
	s_cbranch_execz .LBB63_1064
; %bb.1055:
	v_cmp_ne_u32_e32 vcc_lo, 1, v134
	s_cbranch_vccnz .LBB63_1057
; %bb.1056:
	scratch_load_b64 v[129:130], v133, off
	ds_load_b64 v[135:136], v132
	s_waitcnt vmcnt(0) lgkmcnt(0)
	v_mul_f64 v[129:130], v[129:130], v[135:136]
	s_cbranch_execz .LBB63_1058
	s_branch .LBB63_1059
.LBB63_1057:
                                        ; implicit-def: $vgpr129_vgpr130
.LBB63_1058:
	ds_load_b64 v[129:130], v132
.LBB63_1059:
	s_mov_b32 s1, exec_lo
	v_cmpx_ne_u32_e32 43, v0
	s_cbranch_execz .LBB63_1063
; %bb.1060:
	v_add_nc_u32_e32 v135, 0x208, v131
	v_add3_u32 v136, 0, v131, 8
	v_mov_b32_e32 v137, v0
	s_mov_b32 s2, 0
.LBB63_1061:                            ; =>This Inner Loop Header: Depth=1
	scratch_load_b64 v[138:139], v136, off
	ds_load_b64 v[140:141], v135
	v_add_nc_u32_e32 v137, 1, v137
	v_add_nc_u32_e32 v135, 8, v135
	v_add_nc_u32_e32 v136, 8, v136
	s_delay_alu instid0(VALU_DEP_3)
	v_cmp_lt_u32_e32 vcc_lo, 42, v137
	s_or_b32 s2, vcc_lo, s2
	s_waitcnt vmcnt(0) lgkmcnt(0)
	v_fma_f64 v[129:130], v[138:139], v[140:141], v[129:130]
	s_and_not1_b32 exec_lo, exec_lo, s2
	s_cbranch_execnz .LBB63_1061
; %bb.1062:
	s_or_b32 exec_lo, exec_lo, s2
.LBB63_1063:
	s_delay_alu instid0(SALU_CYCLE_1)
	s_or_b32 exec_lo, exec_lo, s1
	v_mov_b32_e32 v135, 0
	ds_load_b64 v[135:136], v135 offset:352
	s_waitcnt lgkmcnt(0)
	v_mul_f64 v[129:130], v[129:130], v[135:136]
	scratch_store_b64 off, v[129:130], off offset:352
.LBB63_1064:
	s_or_b32 exec_lo, exec_lo, s0
	scratch_load_b64 v[129:130], off, off offset:360
	s_mov_b32 s0, exec_lo
	s_waitcnt vmcnt(0)
	ds_store_b64 v132, v[129:130]
	s_waitcnt lgkmcnt(0)
	s_waitcnt_vscnt null, 0x0
	s_barrier
	buffer_gl0_inv
	v_cmpx_gt_u32_e32 45, v0
	s_cbranch_execz .LBB63_1074
; %bb.1065:
	v_cmp_ne_u32_e32 vcc_lo, 1, v134
	s_cbranch_vccnz .LBB63_1067
; %bb.1066:
	scratch_load_b64 v[129:130], v133, off
	ds_load_b64 v[135:136], v132
	s_waitcnt vmcnt(0) lgkmcnt(0)
	v_mul_f64 v[129:130], v[129:130], v[135:136]
	s_cbranch_execz .LBB63_1068
	s_branch .LBB63_1069
.LBB63_1067:
                                        ; implicit-def: $vgpr129_vgpr130
.LBB63_1068:
	ds_load_b64 v[129:130], v132
.LBB63_1069:
	s_mov_b32 s1, exec_lo
	v_cmpx_ne_u32_e32 44, v0
	s_cbranch_execz .LBB63_1073
; %bb.1070:
	v_add_nc_u32_e32 v135, 0x208, v131
	v_add3_u32 v136, 0, v131, 8
	v_mov_b32_e32 v137, v0
	s_mov_b32 s2, 0
.LBB63_1071:                            ; =>This Inner Loop Header: Depth=1
	scratch_load_b64 v[138:139], v136, off
	ds_load_b64 v[140:141], v135
	v_add_nc_u32_e32 v137, 1, v137
	v_add_nc_u32_e32 v135, 8, v135
	v_add_nc_u32_e32 v136, 8, v136
	s_delay_alu instid0(VALU_DEP_3)
	v_cmp_lt_u32_e32 vcc_lo, 43, v137
	s_or_b32 s2, vcc_lo, s2
	s_waitcnt vmcnt(0) lgkmcnt(0)
	v_fma_f64 v[129:130], v[138:139], v[140:141], v[129:130]
	s_and_not1_b32 exec_lo, exec_lo, s2
	s_cbranch_execnz .LBB63_1071
; %bb.1072:
	s_or_b32 exec_lo, exec_lo, s2
.LBB63_1073:
	s_delay_alu instid0(SALU_CYCLE_1)
	s_or_b32 exec_lo, exec_lo, s1
	v_mov_b32_e32 v135, 0
	ds_load_b64 v[135:136], v135 offset:360
	s_waitcnt lgkmcnt(0)
	v_mul_f64 v[129:130], v[129:130], v[135:136]
	scratch_store_b64 off, v[129:130], off offset:360
.LBB63_1074:
	s_or_b32 exec_lo, exec_lo, s0
	scratch_load_b64 v[129:130], off, off offset:368
	s_mov_b32 s0, exec_lo
	s_waitcnt vmcnt(0)
	ds_store_b64 v132, v[129:130]
	s_waitcnt lgkmcnt(0)
	s_waitcnt_vscnt null, 0x0
	s_barrier
	buffer_gl0_inv
	v_cmpx_gt_u32_e32 46, v0
	s_cbranch_execz .LBB63_1084
; %bb.1075:
	v_cmp_ne_u32_e32 vcc_lo, 1, v134
	s_cbranch_vccnz .LBB63_1077
; %bb.1076:
	scratch_load_b64 v[129:130], v133, off
	ds_load_b64 v[135:136], v132
	s_waitcnt vmcnt(0) lgkmcnt(0)
	v_mul_f64 v[129:130], v[129:130], v[135:136]
	s_cbranch_execz .LBB63_1078
	s_branch .LBB63_1079
.LBB63_1077:
                                        ; implicit-def: $vgpr129_vgpr130
.LBB63_1078:
	ds_load_b64 v[129:130], v132
.LBB63_1079:
	s_mov_b32 s1, exec_lo
	v_cmpx_ne_u32_e32 45, v0
	s_cbranch_execz .LBB63_1083
; %bb.1080:
	v_add_nc_u32_e32 v135, 0x208, v131
	v_add3_u32 v136, 0, v131, 8
	v_mov_b32_e32 v137, v0
	s_mov_b32 s2, 0
.LBB63_1081:                            ; =>This Inner Loop Header: Depth=1
	scratch_load_b64 v[138:139], v136, off
	ds_load_b64 v[140:141], v135
	v_add_nc_u32_e32 v137, 1, v137
	v_add_nc_u32_e32 v135, 8, v135
	v_add_nc_u32_e32 v136, 8, v136
	s_delay_alu instid0(VALU_DEP_3)
	v_cmp_lt_u32_e32 vcc_lo, 44, v137
	s_or_b32 s2, vcc_lo, s2
	s_waitcnt vmcnt(0) lgkmcnt(0)
	v_fma_f64 v[129:130], v[138:139], v[140:141], v[129:130]
	s_and_not1_b32 exec_lo, exec_lo, s2
	s_cbranch_execnz .LBB63_1081
; %bb.1082:
	s_or_b32 exec_lo, exec_lo, s2
.LBB63_1083:
	s_delay_alu instid0(SALU_CYCLE_1)
	s_or_b32 exec_lo, exec_lo, s1
	v_mov_b32_e32 v135, 0
	ds_load_b64 v[135:136], v135 offset:368
	s_waitcnt lgkmcnt(0)
	v_mul_f64 v[129:130], v[129:130], v[135:136]
	scratch_store_b64 off, v[129:130], off offset:368
.LBB63_1084:
	s_or_b32 exec_lo, exec_lo, s0
	scratch_load_b64 v[129:130], off, off offset:376
	s_mov_b32 s0, exec_lo
	s_waitcnt vmcnt(0)
	ds_store_b64 v132, v[129:130]
	s_waitcnt lgkmcnt(0)
	s_waitcnt_vscnt null, 0x0
	s_barrier
	buffer_gl0_inv
	v_cmpx_gt_u32_e32 47, v0
	s_cbranch_execz .LBB63_1094
; %bb.1085:
	v_cmp_ne_u32_e32 vcc_lo, 1, v134
	s_cbranch_vccnz .LBB63_1087
; %bb.1086:
	scratch_load_b64 v[129:130], v133, off
	ds_load_b64 v[135:136], v132
	s_waitcnt vmcnt(0) lgkmcnt(0)
	v_mul_f64 v[129:130], v[129:130], v[135:136]
	s_cbranch_execz .LBB63_1088
	s_branch .LBB63_1089
.LBB63_1087:
                                        ; implicit-def: $vgpr129_vgpr130
.LBB63_1088:
	ds_load_b64 v[129:130], v132
.LBB63_1089:
	s_mov_b32 s1, exec_lo
	v_cmpx_ne_u32_e32 46, v0
	s_cbranch_execz .LBB63_1093
; %bb.1090:
	v_add_nc_u32_e32 v135, 0x208, v131
	v_add3_u32 v136, 0, v131, 8
	v_mov_b32_e32 v137, v0
	s_mov_b32 s2, 0
.LBB63_1091:                            ; =>This Inner Loop Header: Depth=1
	scratch_load_b64 v[138:139], v136, off
	ds_load_b64 v[140:141], v135
	v_add_nc_u32_e32 v137, 1, v137
	v_add_nc_u32_e32 v135, 8, v135
	v_add_nc_u32_e32 v136, 8, v136
	s_delay_alu instid0(VALU_DEP_3)
	v_cmp_lt_u32_e32 vcc_lo, 45, v137
	s_or_b32 s2, vcc_lo, s2
	s_waitcnt vmcnt(0) lgkmcnt(0)
	v_fma_f64 v[129:130], v[138:139], v[140:141], v[129:130]
	s_and_not1_b32 exec_lo, exec_lo, s2
	s_cbranch_execnz .LBB63_1091
; %bb.1092:
	s_or_b32 exec_lo, exec_lo, s2
.LBB63_1093:
	s_delay_alu instid0(SALU_CYCLE_1)
	s_or_b32 exec_lo, exec_lo, s1
	v_mov_b32_e32 v135, 0
	ds_load_b64 v[135:136], v135 offset:376
	s_waitcnt lgkmcnt(0)
	v_mul_f64 v[129:130], v[129:130], v[135:136]
	scratch_store_b64 off, v[129:130], off offset:376
.LBB63_1094:
	s_or_b32 exec_lo, exec_lo, s0
	scratch_load_b64 v[129:130], off, off offset:384
	s_mov_b32 s0, exec_lo
	s_waitcnt vmcnt(0)
	ds_store_b64 v132, v[129:130]
	s_waitcnt lgkmcnt(0)
	s_waitcnt_vscnt null, 0x0
	s_barrier
	buffer_gl0_inv
	v_cmpx_gt_u32_e32 48, v0
	s_cbranch_execz .LBB63_1104
; %bb.1095:
	v_cmp_ne_u32_e32 vcc_lo, 1, v134
	s_cbranch_vccnz .LBB63_1097
; %bb.1096:
	scratch_load_b64 v[129:130], v133, off
	ds_load_b64 v[135:136], v132
	s_waitcnt vmcnt(0) lgkmcnt(0)
	v_mul_f64 v[129:130], v[129:130], v[135:136]
	s_cbranch_execz .LBB63_1098
	s_branch .LBB63_1099
.LBB63_1097:
                                        ; implicit-def: $vgpr129_vgpr130
.LBB63_1098:
	ds_load_b64 v[129:130], v132
.LBB63_1099:
	s_mov_b32 s1, exec_lo
	v_cmpx_ne_u32_e32 47, v0
	s_cbranch_execz .LBB63_1103
; %bb.1100:
	v_add_nc_u32_e32 v135, 0x208, v131
	v_add3_u32 v136, 0, v131, 8
	v_mov_b32_e32 v137, v0
	s_mov_b32 s2, 0
.LBB63_1101:                            ; =>This Inner Loop Header: Depth=1
	scratch_load_b64 v[138:139], v136, off
	ds_load_b64 v[140:141], v135
	v_add_nc_u32_e32 v137, 1, v137
	v_add_nc_u32_e32 v135, 8, v135
	v_add_nc_u32_e32 v136, 8, v136
	s_delay_alu instid0(VALU_DEP_3)
	v_cmp_lt_u32_e32 vcc_lo, 46, v137
	s_or_b32 s2, vcc_lo, s2
	s_waitcnt vmcnt(0) lgkmcnt(0)
	v_fma_f64 v[129:130], v[138:139], v[140:141], v[129:130]
	s_and_not1_b32 exec_lo, exec_lo, s2
	s_cbranch_execnz .LBB63_1101
; %bb.1102:
	s_or_b32 exec_lo, exec_lo, s2
.LBB63_1103:
	s_delay_alu instid0(SALU_CYCLE_1)
	s_or_b32 exec_lo, exec_lo, s1
	v_mov_b32_e32 v135, 0
	ds_load_b64 v[135:136], v135 offset:384
	s_waitcnt lgkmcnt(0)
	v_mul_f64 v[129:130], v[129:130], v[135:136]
	scratch_store_b64 off, v[129:130], off offset:384
.LBB63_1104:
	s_or_b32 exec_lo, exec_lo, s0
	scratch_load_b64 v[129:130], off, off offset:392
	s_mov_b32 s0, exec_lo
	s_waitcnt vmcnt(0)
	ds_store_b64 v132, v[129:130]
	s_waitcnt lgkmcnt(0)
	s_waitcnt_vscnt null, 0x0
	s_barrier
	buffer_gl0_inv
	v_cmpx_gt_u32_e32 49, v0
	s_cbranch_execz .LBB63_1114
; %bb.1105:
	v_cmp_ne_u32_e32 vcc_lo, 1, v134
	s_cbranch_vccnz .LBB63_1107
; %bb.1106:
	scratch_load_b64 v[129:130], v133, off
	ds_load_b64 v[135:136], v132
	s_waitcnt vmcnt(0) lgkmcnt(0)
	v_mul_f64 v[129:130], v[129:130], v[135:136]
	s_cbranch_execz .LBB63_1108
	s_branch .LBB63_1109
.LBB63_1107:
                                        ; implicit-def: $vgpr129_vgpr130
.LBB63_1108:
	ds_load_b64 v[129:130], v132
.LBB63_1109:
	s_mov_b32 s1, exec_lo
	v_cmpx_ne_u32_e32 48, v0
	s_cbranch_execz .LBB63_1113
; %bb.1110:
	v_add_nc_u32_e32 v135, 0x208, v131
	v_add3_u32 v136, 0, v131, 8
	v_mov_b32_e32 v137, v0
	s_mov_b32 s2, 0
.LBB63_1111:                            ; =>This Inner Loop Header: Depth=1
	scratch_load_b64 v[138:139], v136, off
	ds_load_b64 v[140:141], v135
	v_add_nc_u32_e32 v137, 1, v137
	v_add_nc_u32_e32 v135, 8, v135
	v_add_nc_u32_e32 v136, 8, v136
	s_delay_alu instid0(VALU_DEP_3)
	v_cmp_lt_u32_e32 vcc_lo, 47, v137
	s_or_b32 s2, vcc_lo, s2
	s_waitcnt vmcnt(0) lgkmcnt(0)
	v_fma_f64 v[129:130], v[138:139], v[140:141], v[129:130]
	s_and_not1_b32 exec_lo, exec_lo, s2
	s_cbranch_execnz .LBB63_1111
; %bb.1112:
	s_or_b32 exec_lo, exec_lo, s2
.LBB63_1113:
	s_delay_alu instid0(SALU_CYCLE_1)
	s_or_b32 exec_lo, exec_lo, s1
	v_mov_b32_e32 v135, 0
	ds_load_b64 v[135:136], v135 offset:392
	s_waitcnt lgkmcnt(0)
	v_mul_f64 v[129:130], v[129:130], v[135:136]
	scratch_store_b64 off, v[129:130], off offset:392
.LBB63_1114:
	s_or_b32 exec_lo, exec_lo, s0
	scratch_load_b64 v[129:130], off, off offset:400
	s_mov_b32 s0, exec_lo
	s_waitcnt vmcnt(0)
	ds_store_b64 v132, v[129:130]
	s_waitcnt lgkmcnt(0)
	s_waitcnt_vscnt null, 0x0
	s_barrier
	buffer_gl0_inv
	v_cmpx_gt_u32_e32 50, v0
	s_cbranch_execz .LBB63_1124
; %bb.1115:
	v_cmp_ne_u32_e32 vcc_lo, 1, v134
	s_cbranch_vccnz .LBB63_1117
; %bb.1116:
	scratch_load_b64 v[129:130], v133, off
	ds_load_b64 v[135:136], v132
	s_waitcnt vmcnt(0) lgkmcnt(0)
	v_mul_f64 v[129:130], v[129:130], v[135:136]
	s_cbranch_execz .LBB63_1118
	s_branch .LBB63_1119
.LBB63_1117:
                                        ; implicit-def: $vgpr129_vgpr130
.LBB63_1118:
	ds_load_b64 v[129:130], v132
.LBB63_1119:
	s_mov_b32 s1, exec_lo
	v_cmpx_ne_u32_e32 49, v0
	s_cbranch_execz .LBB63_1123
; %bb.1120:
	v_add_nc_u32_e32 v135, 0x208, v131
	v_add3_u32 v136, 0, v131, 8
	v_mov_b32_e32 v137, v0
	s_mov_b32 s2, 0
.LBB63_1121:                            ; =>This Inner Loop Header: Depth=1
	scratch_load_b64 v[138:139], v136, off
	ds_load_b64 v[140:141], v135
	v_add_nc_u32_e32 v137, 1, v137
	v_add_nc_u32_e32 v135, 8, v135
	v_add_nc_u32_e32 v136, 8, v136
	s_delay_alu instid0(VALU_DEP_3)
	v_cmp_lt_u32_e32 vcc_lo, 48, v137
	s_or_b32 s2, vcc_lo, s2
	s_waitcnt vmcnt(0) lgkmcnt(0)
	v_fma_f64 v[129:130], v[138:139], v[140:141], v[129:130]
	s_and_not1_b32 exec_lo, exec_lo, s2
	s_cbranch_execnz .LBB63_1121
; %bb.1122:
	s_or_b32 exec_lo, exec_lo, s2
.LBB63_1123:
	s_delay_alu instid0(SALU_CYCLE_1)
	s_or_b32 exec_lo, exec_lo, s1
	v_mov_b32_e32 v135, 0
	ds_load_b64 v[135:136], v135 offset:400
	s_waitcnt lgkmcnt(0)
	v_mul_f64 v[129:130], v[129:130], v[135:136]
	scratch_store_b64 off, v[129:130], off offset:400
.LBB63_1124:
	s_or_b32 exec_lo, exec_lo, s0
	scratch_load_b64 v[129:130], off, off offset:408
	s_mov_b32 s0, exec_lo
	s_waitcnt vmcnt(0)
	ds_store_b64 v132, v[129:130]
	s_waitcnt lgkmcnt(0)
	s_waitcnt_vscnt null, 0x0
	s_barrier
	buffer_gl0_inv
	v_cmpx_gt_u32_e32 51, v0
	s_cbranch_execz .LBB63_1134
; %bb.1125:
	v_cmp_ne_u32_e32 vcc_lo, 1, v134
	s_cbranch_vccnz .LBB63_1127
; %bb.1126:
	scratch_load_b64 v[129:130], v133, off
	ds_load_b64 v[135:136], v132
	s_waitcnt vmcnt(0) lgkmcnt(0)
	v_mul_f64 v[129:130], v[129:130], v[135:136]
	s_cbranch_execz .LBB63_1128
	s_branch .LBB63_1129
.LBB63_1127:
                                        ; implicit-def: $vgpr129_vgpr130
.LBB63_1128:
	ds_load_b64 v[129:130], v132
.LBB63_1129:
	s_mov_b32 s1, exec_lo
	v_cmpx_ne_u32_e32 50, v0
	s_cbranch_execz .LBB63_1133
; %bb.1130:
	v_add_nc_u32_e32 v135, 0x208, v131
	v_add3_u32 v136, 0, v131, 8
	v_mov_b32_e32 v137, v0
	s_mov_b32 s2, 0
.LBB63_1131:                            ; =>This Inner Loop Header: Depth=1
	scratch_load_b64 v[138:139], v136, off
	ds_load_b64 v[140:141], v135
	v_add_nc_u32_e32 v137, 1, v137
	v_add_nc_u32_e32 v135, 8, v135
	v_add_nc_u32_e32 v136, 8, v136
	s_delay_alu instid0(VALU_DEP_3)
	v_cmp_lt_u32_e32 vcc_lo, 49, v137
	s_or_b32 s2, vcc_lo, s2
	s_waitcnt vmcnt(0) lgkmcnt(0)
	v_fma_f64 v[129:130], v[138:139], v[140:141], v[129:130]
	s_and_not1_b32 exec_lo, exec_lo, s2
	s_cbranch_execnz .LBB63_1131
; %bb.1132:
	s_or_b32 exec_lo, exec_lo, s2
.LBB63_1133:
	s_delay_alu instid0(SALU_CYCLE_1)
	s_or_b32 exec_lo, exec_lo, s1
	v_mov_b32_e32 v135, 0
	ds_load_b64 v[135:136], v135 offset:408
	s_waitcnt lgkmcnt(0)
	v_mul_f64 v[129:130], v[129:130], v[135:136]
	scratch_store_b64 off, v[129:130], off offset:408
.LBB63_1134:
	s_or_b32 exec_lo, exec_lo, s0
	scratch_load_b64 v[129:130], off, off offset:416
	s_mov_b32 s0, exec_lo
	s_waitcnt vmcnt(0)
	ds_store_b64 v132, v[129:130]
	s_waitcnt lgkmcnt(0)
	s_waitcnt_vscnt null, 0x0
	s_barrier
	buffer_gl0_inv
	v_cmpx_gt_u32_e32 52, v0
	s_cbranch_execz .LBB63_1144
; %bb.1135:
	v_cmp_ne_u32_e32 vcc_lo, 1, v134
	s_cbranch_vccnz .LBB63_1137
; %bb.1136:
	scratch_load_b64 v[129:130], v133, off
	ds_load_b64 v[135:136], v132
	s_waitcnt vmcnt(0) lgkmcnt(0)
	v_mul_f64 v[129:130], v[129:130], v[135:136]
	s_cbranch_execz .LBB63_1138
	s_branch .LBB63_1139
.LBB63_1137:
                                        ; implicit-def: $vgpr129_vgpr130
.LBB63_1138:
	ds_load_b64 v[129:130], v132
.LBB63_1139:
	s_mov_b32 s1, exec_lo
	v_cmpx_ne_u32_e32 51, v0
	s_cbranch_execz .LBB63_1143
; %bb.1140:
	v_add_nc_u32_e32 v135, 0x208, v131
	v_add3_u32 v136, 0, v131, 8
	v_mov_b32_e32 v137, v0
	s_mov_b32 s2, 0
.LBB63_1141:                            ; =>This Inner Loop Header: Depth=1
	scratch_load_b64 v[138:139], v136, off
	ds_load_b64 v[140:141], v135
	v_add_nc_u32_e32 v137, 1, v137
	v_add_nc_u32_e32 v135, 8, v135
	v_add_nc_u32_e32 v136, 8, v136
	s_delay_alu instid0(VALU_DEP_3)
	v_cmp_lt_u32_e32 vcc_lo, 50, v137
	s_or_b32 s2, vcc_lo, s2
	s_waitcnt vmcnt(0) lgkmcnt(0)
	v_fma_f64 v[129:130], v[138:139], v[140:141], v[129:130]
	s_and_not1_b32 exec_lo, exec_lo, s2
	s_cbranch_execnz .LBB63_1141
; %bb.1142:
	s_or_b32 exec_lo, exec_lo, s2
.LBB63_1143:
	s_delay_alu instid0(SALU_CYCLE_1)
	s_or_b32 exec_lo, exec_lo, s1
	v_mov_b32_e32 v135, 0
	ds_load_b64 v[135:136], v135 offset:416
	s_waitcnt lgkmcnt(0)
	v_mul_f64 v[129:130], v[129:130], v[135:136]
	scratch_store_b64 off, v[129:130], off offset:416
.LBB63_1144:
	s_or_b32 exec_lo, exec_lo, s0
	scratch_load_b64 v[129:130], off, off offset:424
	s_mov_b32 s0, exec_lo
	s_waitcnt vmcnt(0)
	ds_store_b64 v132, v[129:130]
	s_waitcnt lgkmcnt(0)
	s_waitcnt_vscnt null, 0x0
	s_barrier
	buffer_gl0_inv
	v_cmpx_gt_u32_e32 53, v0
	s_cbranch_execz .LBB63_1154
; %bb.1145:
	v_cmp_ne_u32_e32 vcc_lo, 1, v134
	s_cbranch_vccnz .LBB63_1147
; %bb.1146:
	scratch_load_b64 v[129:130], v133, off
	ds_load_b64 v[135:136], v132
	s_waitcnt vmcnt(0) lgkmcnt(0)
	v_mul_f64 v[129:130], v[129:130], v[135:136]
	s_cbranch_execz .LBB63_1148
	s_branch .LBB63_1149
.LBB63_1147:
                                        ; implicit-def: $vgpr129_vgpr130
.LBB63_1148:
	ds_load_b64 v[129:130], v132
.LBB63_1149:
	s_mov_b32 s1, exec_lo
	v_cmpx_ne_u32_e32 52, v0
	s_cbranch_execz .LBB63_1153
; %bb.1150:
	v_add_nc_u32_e32 v135, 0x208, v131
	v_add3_u32 v136, 0, v131, 8
	v_mov_b32_e32 v137, v0
	s_mov_b32 s2, 0
.LBB63_1151:                            ; =>This Inner Loop Header: Depth=1
	scratch_load_b64 v[138:139], v136, off
	ds_load_b64 v[140:141], v135
	v_add_nc_u32_e32 v137, 1, v137
	v_add_nc_u32_e32 v135, 8, v135
	v_add_nc_u32_e32 v136, 8, v136
	s_delay_alu instid0(VALU_DEP_3)
	v_cmp_lt_u32_e32 vcc_lo, 51, v137
	s_or_b32 s2, vcc_lo, s2
	s_waitcnt vmcnt(0) lgkmcnt(0)
	v_fma_f64 v[129:130], v[138:139], v[140:141], v[129:130]
	s_and_not1_b32 exec_lo, exec_lo, s2
	s_cbranch_execnz .LBB63_1151
; %bb.1152:
	s_or_b32 exec_lo, exec_lo, s2
.LBB63_1153:
	s_delay_alu instid0(SALU_CYCLE_1)
	s_or_b32 exec_lo, exec_lo, s1
	v_mov_b32_e32 v135, 0
	ds_load_b64 v[135:136], v135 offset:424
	s_waitcnt lgkmcnt(0)
	v_mul_f64 v[129:130], v[129:130], v[135:136]
	scratch_store_b64 off, v[129:130], off offset:424
.LBB63_1154:
	s_or_b32 exec_lo, exec_lo, s0
	scratch_load_b64 v[129:130], off, off offset:432
	s_mov_b32 s0, exec_lo
	s_waitcnt vmcnt(0)
	ds_store_b64 v132, v[129:130]
	s_waitcnt lgkmcnt(0)
	s_waitcnt_vscnt null, 0x0
	s_barrier
	buffer_gl0_inv
	v_cmpx_gt_u32_e32 54, v0
	s_cbranch_execz .LBB63_1164
; %bb.1155:
	v_cmp_ne_u32_e32 vcc_lo, 1, v134
	s_cbranch_vccnz .LBB63_1157
; %bb.1156:
	scratch_load_b64 v[129:130], v133, off
	ds_load_b64 v[135:136], v132
	s_waitcnt vmcnt(0) lgkmcnt(0)
	v_mul_f64 v[129:130], v[129:130], v[135:136]
	s_cbranch_execz .LBB63_1158
	s_branch .LBB63_1159
.LBB63_1157:
                                        ; implicit-def: $vgpr129_vgpr130
.LBB63_1158:
	ds_load_b64 v[129:130], v132
.LBB63_1159:
	s_mov_b32 s1, exec_lo
	v_cmpx_ne_u32_e32 53, v0
	s_cbranch_execz .LBB63_1163
; %bb.1160:
	v_add_nc_u32_e32 v135, 0x208, v131
	v_add3_u32 v136, 0, v131, 8
	v_mov_b32_e32 v137, v0
	s_mov_b32 s2, 0
.LBB63_1161:                            ; =>This Inner Loop Header: Depth=1
	scratch_load_b64 v[138:139], v136, off
	ds_load_b64 v[140:141], v135
	v_add_nc_u32_e32 v137, 1, v137
	v_add_nc_u32_e32 v135, 8, v135
	v_add_nc_u32_e32 v136, 8, v136
	s_delay_alu instid0(VALU_DEP_3)
	v_cmp_lt_u32_e32 vcc_lo, 52, v137
	s_or_b32 s2, vcc_lo, s2
	s_waitcnt vmcnt(0) lgkmcnt(0)
	v_fma_f64 v[129:130], v[138:139], v[140:141], v[129:130]
	s_and_not1_b32 exec_lo, exec_lo, s2
	s_cbranch_execnz .LBB63_1161
; %bb.1162:
	s_or_b32 exec_lo, exec_lo, s2
.LBB63_1163:
	s_delay_alu instid0(SALU_CYCLE_1)
	s_or_b32 exec_lo, exec_lo, s1
	v_mov_b32_e32 v135, 0
	ds_load_b64 v[135:136], v135 offset:432
	s_waitcnt lgkmcnt(0)
	v_mul_f64 v[129:130], v[129:130], v[135:136]
	scratch_store_b64 off, v[129:130], off offset:432
.LBB63_1164:
	s_or_b32 exec_lo, exec_lo, s0
	scratch_load_b64 v[129:130], off, off offset:440
	s_mov_b32 s0, exec_lo
	s_waitcnt vmcnt(0)
	ds_store_b64 v132, v[129:130]
	s_waitcnt lgkmcnt(0)
	s_waitcnt_vscnt null, 0x0
	s_barrier
	buffer_gl0_inv
	v_cmpx_gt_u32_e32 55, v0
	s_cbranch_execz .LBB63_1174
; %bb.1165:
	v_cmp_ne_u32_e32 vcc_lo, 1, v134
	s_cbranch_vccnz .LBB63_1167
; %bb.1166:
	scratch_load_b64 v[129:130], v133, off
	ds_load_b64 v[135:136], v132
	s_waitcnt vmcnt(0) lgkmcnt(0)
	v_mul_f64 v[129:130], v[129:130], v[135:136]
	s_cbranch_execz .LBB63_1168
	s_branch .LBB63_1169
.LBB63_1167:
                                        ; implicit-def: $vgpr129_vgpr130
.LBB63_1168:
	ds_load_b64 v[129:130], v132
.LBB63_1169:
	s_mov_b32 s1, exec_lo
	v_cmpx_ne_u32_e32 54, v0
	s_cbranch_execz .LBB63_1173
; %bb.1170:
	v_add_nc_u32_e32 v135, 0x208, v131
	v_add3_u32 v136, 0, v131, 8
	v_mov_b32_e32 v137, v0
	s_mov_b32 s2, 0
.LBB63_1171:                            ; =>This Inner Loop Header: Depth=1
	scratch_load_b64 v[138:139], v136, off
	ds_load_b64 v[140:141], v135
	v_add_nc_u32_e32 v137, 1, v137
	v_add_nc_u32_e32 v135, 8, v135
	v_add_nc_u32_e32 v136, 8, v136
	s_delay_alu instid0(VALU_DEP_3)
	v_cmp_lt_u32_e32 vcc_lo, 53, v137
	s_or_b32 s2, vcc_lo, s2
	s_waitcnt vmcnt(0) lgkmcnt(0)
	v_fma_f64 v[129:130], v[138:139], v[140:141], v[129:130]
	s_and_not1_b32 exec_lo, exec_lo, s2
	s_cbranch_execnz .LBB63_1171
; %bb.1172:
	s_or_b32 exec_lo, exec_lo, s2
.LBB63_1173:
	s_delay_alu instid0(SALU_CYCLE_1)
	s_or_b32 exec_lo, exec_lo, s1
	v_mov_b32_e32 v135, 0
	ds_load_b64 v[135:136], v135 offset:440
	s_waitcnt lgkmcnt(0)
	v_mul_f64 v[129:130], v[129:130], v[135:136]
	scratch_store_b64 off, v[129:130], off offset:440
.LBB63_1174:
	s_or_b32 exec_lo, exec_lo, s0
	scratch_load_b64 v[129:130], off, off offset:448
	s_mov_b32 s0, exec_lo
	s_waitcnt vmcnt(0)
	ds_store_b64 v132, v[129:130]
	s_waitcnt lgkmcnt(0)
	s_waitcnt_vscnt null, 0x0
	s_barrier
	buffer_gl0_inv
	v_cmpx_gt_u32_e32 56, v0
	s_cbranch_execz .LBB63_1184
; %bb.1175:
	v_cmp_ne_u32_e32 vcc_lo, 1, v134
	s_cbranch_vccnz .LBB63_1177
; %bb.1176:
	scratch_load_b64 v[129:130], v133, off
	ds_load_b64 v[135:136], v132
	s_waitcnt vmcnt(0) lgkmcnt(0)
	v_mul_f64 v[129:130], v[129:130], v[135:136]
	s_cbranch_execz .LBB63_1178
	s_branch .LBB63_1179
.LBB63_1177:
                                        ; implicit-def: $vgpr129_vgpr130
.LBB63_1178:
	ds_load_b64 v[129:130], v132
.LBB63_1179:
	s_mov_b32 s1, exec_lo
	v_cmpx_ne_u32_e32 55, v0
	s_cbranch_execz .LBB63_1183
; %bb.1180:
	v_add_nc_u32_e32 v135, 0x208, v131
	v_add3_u32 v136, 0, v131, 8
	v_mov_b32_e32 v137, v0
	s_mov_b32 s2, 0
.LBB63_1181:                            ; =>This Inner Loop Header: Depth=1
	scratch_load_b64 v[138:139], v136, off
	ds_load_b64 v[140:141], v135
	v_add_nc_u32_e32 v137, 1, v137
	v_add_nc_u32_e32 v135, 8, v135
	v_add_nc_u32_e32 v136, 8, v136
	s_delay_alu instid0(VALU_DEP_3)
	v_cmp_lt_u32_e32 vcc_lo, 54, v137
	s_or_b32 s2, vcc_lo, s2
	s_waitcnt vmcnt(0) lgkmcnt(0)
	v_fma_f64 v[129:130], v[138:139], v[140:141], v[129:130]
	s_and_not1_b32 exec_lo, exec_lo, s2
	s_cbranch_execnz .LBB63_1181
; %bb.1182:
	s_or_b32 exec_lo, exec_lo, s2
.LBB63_1183:
	s_delay_alu instid0(SALU_CYCLE_1)
	s_or_b32 exec_lo, exec_lo, s1
	v_mov_b32_e32 v135, 0
	ds_load_b64 v[135:136], v135 offset:448
	s_waitcnt lgkmcnt(0)
	v_mul_f64 v[129:130], v[129:130], v[135:136]
	scratch_store_b64 off, v[129:130], off offset:448
.LBB63_1184:
	s_or_b32 exec_lo, exec_lo, s0
	scratch_load_b64 v[129:130], off, off offset:456
	s_mov_b32 s0, exec_lo
	s_waitcnt vmcnt(0)
	ds_store_b64 v132, v[129:130]
	s_waitcnt lgkmcnt(0)
	s_waitcnt_vscnt null, 0x0
	s_barrier
	buffer_gl0_inv
	v_cmpx_gt_u32_e32 57, v0
	s_cbranch_execz .LBB63_1194
; %bb.1185:
	v_cmp_ne_u32_e32 vcc_lo, 1, v134
	s_cbranch_vccnz .LBB63_1187
; %bb.1186:
	scratch_load_b64 v[129:130], v133, off
	ds_load_b64 v[135:136], v132
	s_waitcnt vmcnt(0) lgkmcnt(0)
	v_mul_f64 v[129:130], v[129:130], v[135:136]
	s_cbranch_execz .LBB63_1188
	s_branch .LBB63_1189
.LBB63_1187:
                                        ; implicit-def: $vgpr129_vgpr130
.LBB63_1188:
	ds_load_b64 v[129:130], v132
.LBB63_1189:
	s_mov_b32 s1, exec_lo
	v_cmpx_ne_u32_e32 56, v0
	s_cbranch_execz .LBB63_1193
; %bb.1190:
	v_add_nc_u32_e32 v135, 0x208, v131
	v_add3_u32 v136, 0, v131, 8
	v_mov_b32_e32 v137, v0
	s_mov_b32 s2, 0
.LBB63_1191:                            ; =>This Inner Loop Header: Depth=1
	scratch_load_b64 v[138:139], v136, off
	ds_load_b64 v[140:141], v135
	v_add_nc_u32_e32 v137, 1, v137
	v_add_nc_u32_e32 v135, 8, v135
	v_add_nc_u32_e32 v136, 8, v136
	s_delay_alu instid0(VALU_DEP_3)
	v_cmp_lt_u32_e32 vcc_lo, 55, v137
	s_or_b32 s2, vcc_lo, s2
	s_waitcnt vmcnt(0) lgkmcnt(0)
	v_fma_f64 v[129:130], v[138:139], v[140:141], v[129:130]
	s_and_not1_b32 exec_lo, exec_lo, s2
	s_cbranch_execnz .LBB63_1191
; %bb.1192:
	s_or_b32 exec_lo, exec_lo, s2
.LBB63_1193:
	s_delay_alu instid0(SALU_CYCLE_1)
	s_or_b32 exec_lo, exec_lo, s1
	v_mov_b32_e32 v135, 0
	ds_load_b64 v[135:136], v135 offset:456
	s_waitcnt lgkmcnt(0)
	v_mul_f64 v[129:130], v[129:130], v[135:136]
	scratch_store_b64 off, v[129:130], off offset:456
.LBB63_1194:
	s_or_b32 exec_lo, exec_lo, s0
	scratch_load_b64 v[129:130], off, off offset:464
	s_mov_b32 s0, exec_lo
	s_waitcnt vmcnt(0)
	ds_store_b64 v132, v[129:130]
	s_waitcnt lgkmcnt(0)
	s_waitcnt_vscnt null, 0x0
	s_barrier
	buffer_gl0_inv
	v_cmpx_gt_u32_e32 58, v0
	s_cbranch_execz .LBB63_1204
; %bb.1195:
	v_cmp_ne_u32_e32 vcc_lo, 1, v134
	s_cbranch_vccnz .LBB63_1197
; %bb.1196:
	scratch_load_b64 v[129:130], v133, off
	ds_load_b64 v[135:136], v132
	s_waitcnt vmcnt(0) lgkmcnt(0)
	v_mul_f64 v[129:130], v[129:130], v[135:136]
	s_cbranch_execz .LBB63_1198
	s_branch .LBB63_1199
.LBB63_1197:
                                        ; implicit-def: $vgpr129_vgpr130
.LBB63_1198:
	ds_load_b64 v[129:130], v132
.LBB63_1199:
	s_mov_b32 s1, exec_lo
	v_cmpx_ne_u32_e32 57, v0
	s_cbranch_execz .LBB63_1203
; %bb.1200:
	v_add_nc_u32_e32 v135, 0x208, v131
	v_add3_u32 v136, 0, v131, 8
	v_mov_b32_e32 v137, v0
	s_mov_b32 s2, 0
.LBB63_1201:                            ; =>This Inner Loop Header: Depth=1
	scratch_load_b64 v[138:139], v136, off
	ds_load_b64 v[140:141], v135
	v_add_nc_u32_e32 v137, 1, v137
	v_add_nc_u32_e32 v135, 8, v135
	v_add_nc_u32_e32 v136, 8, v136
	s_delay_alu instid0(VALU_DEP_3)
	v_cmp_lt_u32_e32 vcc_lo, 56, v137
	s_or_b32 s2, vcc_lo, s2
	s_waitcnt vmcnt(0) lgkmcnt(0)
	v_fma_f64 v[129:130], v[138:139], v[140:141], v[129:130]
	s_and_not1_b32 exec_lo, exec_lo, s2
	s_cbranch_execnz .LBB63_1201
; %bb.1202:
	s_or_b32 exec_lo, exec_lo, s2
.LBB63_1203:
	s_delay_alu instid0(SALU_CYCLE_1)
	s_or_b32 exec_lo, exec_lo, s1
	v_mov_b32_e32 v135, 0
	ds_load_b64 v[135:136], v135 offset:464
	s_waitcnt lgkmcnt(0)
	v_mul_f64 v[129:130], v[129:130], v[135:136]
	scratch_store_b64 off, v[129:130], off offset:464
.LBB63_1204:
	s_or_b32 exec_lo, exec_lo, s0
	scratch_load_b64 v[129:130], off, off offset:472
	s_mov_b32 s0, exec_lo
	s_waitcnt vmcnt(0)
	ds_store_b64 v132, v[129:130]
	s_waitcnt lgkmcnt(0)
	s_waitcnt_vscnt null, 0x0
	s_barrier
	buffer_gl0_inv
	v_cmpx_gt_u32_e32 59, v0
	s_cbranch_execz .LBB63_1214
; %bb.1205:
	v_cmp_ne_u32_e32 vcc_lo, 1, v134
	s_cbranch_vccnz .LBB63_1207
; %bb.1206:
	scratch_load_b64 v[129:130], v133, off
	ds_load_b64 v[135:136], v132
	s_waitcnt vmcnt(0) lgkmcnt(0)
	v_mul_f64 v[129:130], v[129:130], v[135:136]
	s_cbranch_execz .LBB63_1208
	s_branch .LBB63_1209
.LBB63_1207:
                                        ; implicit-def: $vgpr129_vgpr130
.LBB63_1208:
	ds_load_b64 v[129:130], v132
.LBB63_1209:
	s_mov_b32 s1, exec_lo
	v_cmpx_ne_u32_e32 58, v0
	s_cbranch_execz .LBB63_1213
; %bb.1210:
	v_add_nc_u32_e32 v135, 0x208, v131
	v_add3_u32 v136, 0, v131, 8
	v_mov_b32_e32 v137, v0
	s_mov_b32 s2, 0
.LBB63_1211:                            ; =>This Inner Loop Header: Depth=1
	scratch_load_b64 v[138:139], v136, off
	ds_load_b64 v[140:141], v135
	v_add_nc_u32_e32 v137, 1, v137
	v_add_nc_u32_e32 v135, 8, v135
	v_add_nc_u32_e32 v136, 8, v136
	s_delay_alu instid0(VALU_DEP_3)
	v_cmp_lt_u32_e32 vcc_lo, 57, v137
	s_or_b32 s2, vcc_lo, s2
	s_waitcnt vmcnt(0) lgkmcnt(0)
	v_fma_f64 v[129:130], v[138:139], v[140:141], v[129:130]
	s_and_not1_b32 exec_lo, exec_lo, s2
	s_cbranch_execnz .LBB63_1211
; %bb.1212:
	s_or_b32 exec_lo, exec_lo, s2
.LBB63_1213:
	s_delay_alu instid0(SALU_CYCLE_1)
	s_or_b32 exec_lo, exec_lo, s1
	v_mov_b32_e32 v135, 0
	ds_load_b64 v[135:136], v135 offset:472
	s_waitcnt lgkmcnt(0)
	v_mul_f64 v[129:130], v[129:130], v[135:136]
	scratch_store_b64 off, v[129:130], off offset:472
.LBB63_1214:
	s_or_b32 exec_lo, exec_lo, s0
	scratch_load_b64 v[129:130], off, off offset:480
	s_mov_b32 s0, exec_lo
	s_waitcnt vmcnt(0)
	ds_store_b64 v132, v[129:130]
	s_waitcnt lgkmcnt(0)
	s_waitcnt_vscnt null, 0x0
	s_barrier
	buffer_gl0_inv
	v_cmpx_gt_u32_e32 60, v0
	s_cbranch_execz .LBB63_1224
; %bb.1215:
	v_cmp_ne_u32_e32 vcc_lo, 1, v134
	s_cbranch_vccnz .LBB63_1217
; %bb.1216:
	scratch_load_b64 v[129:130], v133, off
	ds_load_b64 v[135:136], v132
	s_waitcnt vmcnt(0) lgkmcnt(0)
	v_mul_f64 v[129:130], v[129:130], v[135:136]
	s_cbranch_execz .LBB63_1218
	s_branch .LBB63_1219
.LBB63_1217:
                                        ; implicit-def: $vgpr129_vgpr130
.LBB63_1218:
	ds_load_b64 v[129:130], v132
.LBB63_1219:
	s_mov_b32 s1, exec_lo
	v_cmpx_ne_u32_e32 59, v0
	s_cbranch_execz .LBB63_1223
; %bb.1220:
	v_add_nc_u32_e32 v135, 0x208, v131
	v_add3_u32 v136, 0, v131, 8
	v_mov_b32_e32 v137, v0
	s_mov_b32 s2, 0
.LBB63_1221:                            ; =>This Inner Loop Header: Depth=1
	scratch_load_b64 v[138:139], v136, off
	ds_load_b64 v[140:141], v135
	v_add_nc_u32_e32 v137, 1, v137
	v_add_nc_u32_e32 v135, 8, v135
	v_add_nc_u32_e32 v136, 8, v136
	s_delay_alu instid0(VALU_DEP_3)
	v_cmp_lt_u32_e32 vcc_lo, 58, v137
	s_or_b32 s2, vcc_lo, s2
	s_waitcnt vmcnt(0) lgkmcnt(0)
	v_fma_f64 v[129:130], v[138:139], v[140:141], v[129:130]
	s_and_not1_b32 exec_lo, exec_lo, s2
	s_cbranch_execnz .LBB63_1221
; %bb.1222:
	s_or_b32 exec_lo, exec_lo, s2
.LBB63_1223:
	s_delay_alu instid0(SALU_CYCLE_1)
	s_or_b32 exec_lo, exec_lo, s1
	v_mov_b32_e32 v135, 0
	ds_load_b64 v[135:136], v135 offset:480
	s_waitcnt lgkmcnt(0)
	v_mul_f64 v[129:130], v[129:130], v[135:136]
	scratch_store_b64 off, v[129:130], off offset:480
.LBB63_1224:
	s_or_b32 exec_lo, exec_lo, s0
	scratch_load_b64 v[129:130], off, off offset:488
	s_mov_b32 s0, exec_lo
	s_waitcnt vmcnt(0)
	ds_store_b64 v132, v[129:130]
	s_waitcnt lgkmcnt(0)
	s_waitcnt_vscnt null, 0x0
	s_barrier
	buffer_gl0_inv
	v_cmpx_gt_u32_e32 61, v0
	s_cbranch_execz .LBB63_1234
; %bb.1225:
	v_cmp_ne_u32_e32 vcc_lo, 1, v134
	s_cbranch_vccnz .LBB63_1227
; %bb.1226:
	scratch_load_b64 v[129:130], v133, off
	ds_load_b64 v[135:136], v132
	s_waitcnt vmcnt(0) lgkmcnt(0)
	v_mul_f64 v[129:130], v[129:130], v[135:136]
	s_cbranch_execz .LBB63_1228
	s_branch .LBB63_1229
.LBB63_1227:
                                        ; implicit-def: $vgpr129_vgpr130
.LBB63_1228:
	ds_load_b64 v[129:130], v132
.LBB63_1229:
	s_mov_b32 s1, exec_lo
	v_cmpx_ne_u32_e32 60, v0
	s_cbranch_execz .LBB63_1233
; %bb.1230:
	v_add_nc_u32_e32 v135, 0x208, v131
	v_add3_u32 v136, 0, v131, 8
	v_mov_b32_e32 v137, v0
	s_mov_b32 s2, 0
.LBB63_1231:                            ; =>This Inner Loop Header: Depth=1
	scratch_load_b64 v[138:139], v136, off
	ds_load_b64 v[140:141], v135
	v_add_nc_u32_e32 v137, 1, v137
	v_add_nc_u32_e32 v135, 8, v135
	v_add_nc_u32_e32 v136, 8, v136
	s_delay_alu instid0(VALU_DEP_3)
	v_cmp_lt_u32_e32 vcc_lo, 59, v137
	s_or_b32 s2, vcc_lo, s2
	s_waitcnt vmcnt(0) lgkmcnt(0)
	v_fma_f64 v[129:130], v[138:139], v[140:141], v[129:130]
	s_and_not1_b32 exec_lo, exec_lo, s2
	s_cbranch_execnz .LBB63_1231
; %bb.1232:
	s_or_b32 exec_lo, exec_lo, s2
.LBB63_1233:
	s_delay_alu instid0(SALU_CYCLE_1)
	s_or_b32 exec_lo, exec_lo, s1
	v_mov_b32_e32 v135, 0
	ds_load_b64 v[135:136], v135 offset:488
	s_waitcnt lgkmcnt(0)
	v_mul_f64 v[129:130], v[129:130], v[135:136]
	scratch_store_b64 off, v[129:130], off offset:488
.LBB63_1234:
	s_or_b32 exec_lo, exec_lo, s0
	scratch_load_b64 v[129:130], off, off offset:496
	v_cmp_gt_u32_e64 s0, 62, v0
	s_waitcnt vmcnt(0)
	ds_store_b64 v132, v[129:130]
	s_waitcnt lgkmcnt(0)
	s_waitcnt_vscnt null, 0x0
	s_barrier
	buffer_gl0_inv
	s_and_saveexec_b32 s1, s0
	s_cbranch_execz .LBB63_1244
; %bb.1235:
	v_cmp_ne_u32_e32 vcc_lo, 1, v134
	s_cbranch_vccnz .LBB63_1237
; %bb.1236:
	scratch_load_b64 v[129:130], v133, off
	ds_load_b64 v[135:136], v132
	s_waitcnt vmcnt(0) lgkmcnt(0)
	v_mul_f64 v[129:130], v[129:130], v[135:136]
	s_cbranch_execz .LBB63_1238
	s_branch .LBB63_1239
.LBB63_1237:
                                        ; implicit-def: $vgpr129_vgpr130
.LBB63_1238:
	ds_load_b64 v[129:130], v132
.LBB63_1239:
	s_mov_b32 s2, exec_lo
	v_cmpx_ne_u32_e32 61, v0
	s_cbranch_execz .LBB63_1243
; %bb.1240:
	v_add_nc_u32_e32 v135, 0x208, v131
	v_add3_u32 v136, 0, v131, 8
	v_mov_b32_e32 v137, v0
	s_mov_b32 s3, 0
.LBB63_1241:                            ; =>This Inner Loop Header: Depth=1
	scratch_load_b64 v[138:139], v136, off
	ds_load_b64 v[140:141], v135
	v_add_nc_u32_e32 v137, 1, v137
	v_add_nc_u32_e32 v135, 8, v135
	;; [unrolled: 1-line block ×3, first 2 shown]
	s_delay_alu instid0(VALU_DEP_3)
	v_cmp_lt_u32_e32 vcc_lo, 60, v137
	s_or_b32 s3, vcc_lo, s3
	s_waitcnt vmcnt(0) lgkmcnt(0)
	v_fma_f64 v[129:130], v[138:139], v[140:141], v[129:130]
	s_and_not1_b32 exec_lo, exec_lo, s3
	s_cbranch_execnz .LBB63_1241
; %bb.1242:
	s_or_b32 exec_lo, exec_lo, s3
.LBB63_1243:
	s_delay_alu instid0(SALU_CYCLE_1)
	s_or_b32 exec_lo, exec_lo, s2
	v_mov_b32_e32 v135, 0
	ds_load_b64 v[135:136], v135 offset:496
	s_waitcnt lgkmcnt(0)
	v_mul_f64 v[129:130], v[129:130], v[135:136]
	scratch_store_b64 off, v[129:130], off offset:496
.LBB63_1244:
	s_or_b32 exec_lo, exec_lo, s1
	scratch_load_b64 v[129:130], off, off offset:504
	s_mov_b32 s1, exec_lo
	s_waitcnt vmcnt(0)
	ds_store_b64 v132, v[129:130]
	s_waitcnt lgkmcnt(0)
	s_waitcnt_vscnt null, 0x0
	s_barrier
	buffer_gl0_inv
	v_cmpx_ne_u32_e32 63, v0
	s_cbranch_execz .LBB63_1254
; %bb.1245:
	v_cmp_ne_u32_e32 vcc_lo, 1, v134
	s_cbranch_vccnz .LBB63_1247
; %bb.1246:
	scratch_load_b64 v[129:130], v133, off
	ds_load_b64 v[133:134], v132
	s_waitcnt vmcnt(0) lgkmcnt(0)
	v_mul_f64 v[129:130], v[129:130], v[133:134]
	s_cbranch_execz .LBB63_1248
	s_branch .LBB63_1249
.LBB63_1247:
                                        ; implicit-def: $vgpr129_vgpr130
.LBB63_1248:
	ds_load_b64 v[129:130], v132
.LBB63_1249:
	s_and_saveexec_b32 s2, s0
	s_cbranch_execz .LBB63_1253
; %bb.1250:
	v_add_nc_u32_e32 v132, 0x208, v131
	v_add3_u32 v131, 0, v131, 8
	s_mov_b32 s0, 0
.LBB63_1251:                            ; =>This Inner Loop Header: Depth=1
	scratch_load_b64 v[133:134], v131, off
	ds_load_b64 v[135:136], v132
	v_add_nc_u32_e32 v0, 1, v0
	v_add_nc_u32_e32 v132, 8, v132
	;; [unrolled: 1-line block ×3, first 2 shown]
	s_delay_alu instid0(VALU_DEP_3)
	v_cmp_lt_u32_e32 vcc_lo, 61, v0
	s_or_b32 s0, vcc_lo, s0
	s_waitcnt vmcnt(0) lgkmcnt(0)
	v_fma_f64 v[129:130], v[133:134], v[135:136], v[129:130]
	s_and_not1_b32 exec_lo, exec_lo, s0
	s_cbranch_execnz .LBB63_1251
; %bb.1252:
	s_or_b32 exec_lo, exec_lo, s0
.LBB63_1253:
	s_delay_alu instid0(SALU_CYCLE_1)
	s_or_b32 exec_lo, exec_lo, s2
	v_mov_b32_e32 v0, 0
	ds_load_b64 v[131:132], v0 offset:504
	s_waitcnt lgkmcnt(0)
	v_mul_f64 v[129:130], v[129:130], v[131:132]
	scratch_store_b64 off, v[129:130], off offset:504
.LBB63_1254:
	s_or_b32 exec_lo, exec_lo, s1
.LBB63_1255:
	s_clause 0x10
	scratch_load_b128 v[129:132], off, off
	scratch_load_b128 v[133:136], off, off offset:16
	scratch_load_b128 v[137:140], off, off offset:32
	;; [unrolled: 1-line block ×16, first 2 shown]
	s_waitcnt vmcnt(16)
	s_clause 0x1
	global_store_b64 v[39:40], v[129:130], off
	global_store_b64 v[29:30], v[131:132], off
	scratch_load_b128 v[129:132], off, off offset:240
	s_waitcnt vmcnt(16)
	s_clause 0x1
	global_store_b64 v[21:22], v[133:134], off
	global_store_b64 v[7:8], v[135:136], off
	scratch_load_b128 v[133:136], off, off offset:272
	s_waitcnt vmcnt(16)
	global_store_b64 v[19:20], v[137:138], off
	scratch_load_b128 v[19:22], off, off offset:288
	global_store_b64 v[5:6], v[139:140], off
	s_clause 0x1
	scratch_load_b128 v[5:8], off, off offset:304
	scratch_load_b128 v[137:140], off, off offset:320
	s_waitcnt vmcnt(18)
	s_clause 0x1
	global_store_b64 v[17:18], v[141:142], off
	global_store_b64 v[3:4], v[143:144], off
	scratch_load_b128 v[141:144], off, off offset:336
	s_waitcnt vmcnt(18)
	s_clause 0x1
	global_store_b64 v[9:10], v[145:146], off
	global_store_b64 v[1:2], v[147:148], off
	scratch_load_b128 v[0:3], off, off offset:368
	s_waitcnt vmcnt(18)
	global_store_b64 v[41:42], v[149:150], off
	s_clause 0x1
	scratch_load_b128 v[39:42], off, off offset:384
	scratch_load_b128 v[145:148], off, off offset:400
	global_store_b64 v[37:38], v[151:152], off
	scratch_load_b128 v[149:152], off, off offset:416
	s_waitcnt vmcnt(20)
	s_clause 0x1
	global_store_b64 v[33:34], v[153:154], off
	global_store_b64 v[31:32], v[155:156], off
	s_clause 0x1
	scratch_load_b128 v[29:32], off, off offset:432
	scratch_load_b128 v[153:156], off, off offset:448
	s_waitcnt vmcnt(21)
	s_clause 0x1
	global_store_b64 v[23:24], v[157:158], off
	global_store_b64 v[25:26], v[159:160], off
	s_clause 0x1
	scratch_load_b128 v[23:26], off, off offset:464
	scratch_load_b128 v[157:160], off, off offset:480
	s_waitcnt vmcnt(22)
	s_clause 0x1
	global_store_b64 v[13:14], v[161:162], off
	global_store_b64 v[15:16], v[163:164], off
	scratch_load_b128 v[13:16], off, off offset:496
	s_waitcnt vmcnt(22)
	s_clause 0x1
	global_store_b64 v[11:12], v[165:166], off
	global_store_b64 v[27:28], v[167:168], off
	s_waitcnt vmcnt(21)
	s_clause 0x1
	global_store_b64 v[35:36], v[169:170], off
	global_store_b64 v[43:44], v[171:172], off
	;; [unrolled: 4-line block ×7, first 2 shown]
	global_store_b64 v[67:68], v[189:190], off
	global_store_b64 v[69:70], v[191:192], off
	s_waitcnt vmcnt(13)
	s_clause 0x1
	global_store_b64 v[71:72], v[133:134], off
	global_store_b64 v[73:74], v[135:136], off
	s_waitcnt vmcnt(12)
	s_clause 0x1
	;; [unrolled: 4-line block ×5, first 2 shown]
	global_store_b64 v[87:88], v[141:142], off
	global_store_b64 v[89:90], v[143:144], off
	;; [unrolled: 1-line block ×4, first 2 shown]
	s_waitcnt vmcnt(8)
	s_clause 0x1
	global_store_b64 v[95:96], v[0:1], off
	global_store_b64 v[97:98], v[2:3], off
	s_waitcnt vmcnt(7)
	s_clause 0x1
	global_store_b64 v[99:100], v[39:40], off
	global_store_b64 v[101:102], v[41:42], off
	;; [unrolled: 4-line block ×9, first 2 shown]
.LBB63_1256:
	s_endpgm
	.section	.rodata,"a",@progbits
	.p2align	6, 0x0
	.amdhsa_kernel _ZN9rocsolver6v33100L18trti2_kernel_smallILi64EdPdEEv13rocblas_fill_17rocblas_diagonal_T1_iil
		.amdhsa_group_segment_fixed_size 1024
		.amdhsa_private_segment_fixed_size 528
		.amdhsa_kernarg_size 32
		.amdhsa_user_sgpr_count 15
		.amdhsa_user_sgpr_dispatch_ptr 0
		.amdhsa_user_sgpr_queue_ptr 0
		.amdhsa_user_sgpr_kernarg_segment_ptr 1
		.amdhsa_user_sgpr_dispatch_id 0
		.amdhsa_user_sgpr_private_segment_size 0
		.amdhsa_wavefront_size32 1
		.amdhsa_uses_dynamic_stack 0
		.amdhsa_enable_private_segment 1
		.amdhsa_system_sgpr_workgroup_id_x 1
		.amdhsa_system_sgpr_workgroup_id_y 0
		.amdhsa_system_sgpr_workgroup_id_z 0
		.amdhsa_system_sgpr_workgroup_info 0
		.amdhsa_system_vgpr_workitem_id 0
		.amdhsa_next_free_vgpr 197
		.amdhsa_next_free_sgpr 29
		.amdhsa_reserve_vcc 1
		.amdhsa_float_round_mode_32 0
		.amdhsa_float_round_mode_16_64 0
		.amdhsa_float_denorm_mode_32 3
		.amdhsa_float_denorm_mode_16_64 3
		.amdhsa_dx10_clamp 1
		.amdhsa_ieee_mode 1
		.amdhsa_fp16_overflow 0
		.amdhsa_workgroup_processor_mode 1
		.amdhsa_memory_ordered 1
		.amdhsa_forward_progress 0
		.amdhsa_shared_vgpr_count 0
		.amdhsa_exception_fp_ieee_invalid_op 0
		.amdhsa_exception_fp_denorm_src 0
		.amdhsa_exception_fp_ieee_div_zero 0
		.amdhsa_exception_fp_ieee_overflow 0
		.amdhsa_exception_fp_ieee_underflow 0
		.amdhsa_exception_fp_ieee_inexact 0
		.amdhsa_exception_int_div_zero 0
	.end_amdhsa_kernel
	.section	.text._ZN9rocsolver6v33100L18trti2_kernel_smallILi64EdPdEEv13rocblas_fill_17rocblas_diagonal_T1_iil,"axG",@progbits,_ZN9rocsolver6v33100L18trti2_kernel_smallILi64EdPdEEv13rocblas_fill_17rocblas_diagonal_T1_iil,comdat
.Lfunc_end63:
	.size	_ZN9rocsolver6v33100L18trti2_kernel_smallILi64EdPdEEv13rocblas_fill_17rocblas_diagonal_T1_iil, .Lfunc_end63-_ZN9rocsolver6v33100L18trti2_kernel_smallILi64EdPdEEv13rocblas_fill_17rocblas_diagonal_T1_iil
                                        ; -- End function
	.section	.AMDGPU.csdata,"",@progbits
; Kernel info:
; codeLenInByte = 35172
; NumSgprs: 31
; NumVgprs: 197
; ScratchSize: 528
; MemoryBound: 0
; FloatMode: 240
; IeeeMode: 1
; LDSByteSize: 1024 bytes/workgroup (compile time only)
; SGPRBlocks: 3
; VGPRBlocks: 24
; NumSGPRsForWavesPerEU: 31
; NumVGPRsForWavesPerEU: 197
; Occupancy: 7
; WaveLimiterHint : 0
; COMPUTE_PGM_RSRC2:SCRATCH_EN: 1
; COMPUTE_PGM_RSRC2:USER_SGPR: 15
; COMPUTE_PGM_RSRC2:TRAP_HANDLER: 0
; COMPUTE_PGM_RSRC2:TGID_X_EN: 1
; COMPUTE_PGM_RSRC2:TGID_Y_EN: 0
; COMPUTE_PGM_RSRC2:TGID_Z_EN: 0
; COMPUTE_PGM_RSRC2:TIDIG_COMP_CNT: 0
	.section	.text._ZN9rocsolver6v33100L18trti2_kernel_smallILi1EdPKPdEEv13rocblas_fill_17rocblas_diagonal_T1_iil,"axG",@progbits,_ZN9rocsolver6v33100L18trti2_kernel_smallILi1EdPKPdEEv13rocblas_fill_17rocblas_diagonal_T1_iil,comdat
	.globl	_ZN9rocsolver6v33100L18trti2_kernel_smallILi1EdPKPdEEv13rocblas_fill_17rocblas_diagonal_T1_iil ; -- Begin function _ZN9rocsolver6v33100L18trti2_kernel_smallILi1EdPKPdEEv13rocblas_fill_17rocblas_diagonal_T1_iil
	.p2align	8
	.type	_ZN9rocsolver6v33100L18trti2_kernel_smallILi1EdPKPdEEv13rocblas_fill_17rocblas_diagonal_T1_iil,@function
_ZN9rocsolver6v33100L18trti2_kernel_smallILi1EdPKPdEEv13rocblas_fill_17rocblas_diagonal_T1_iil: ; @_ZN9rocsolver6v33100L18trti2_kernel_smallILi1EdPKPdEEv13rocblas_fill_17rocblas_diagonal_T1_iil
; %bb.0:
	s_mov_b32 s3, exec_lo
	v_cmpx_eq_u32_e32 0, v0
	s_cbranch_execz .LBB64_2
; %bb.1:
	s_clause 0x1
	s_load_b32 s4, s[0:1], 0x10
	s_load_b64 s[6:7], s[0:1], 0x8
	s_mov_b32 s2, s15
	s_ashr_i32 s3, s15, 31
	s_load_b32 s0, s[0:1], 0x4
	s_lshl_b64 s[2:3], s[2:3], 3
	s_waitcnt lgkmcnt(0)
	s_ashr_i32 s5, s4, 31
	s_add_u32 s2, s6, s2
	s_addc_u32 s3, s7, s3
	s_lshl_b64 s[4:5], s[4:5], 3
	s_load_b64 s[2:3], s[2:3], 0x0
	s_waitcnt lgkmcnt(0)
	s_add_u32 s2, s2, s4
	s_addc_u32 s3, s3, s5
	s_cmpk_eq_i32 s0, 0x84
	s_load_b64 s[4:5], s[2:3], 0x0
	s_cselect_b32 s0, -1, 0
	s_waitcnt lgkmcnt(0)
	v_div_scale_f64 v[0:1], null, s[4:5], s[4:5], 1.0
	v_div_scale_f64 v[6:7], vcc_lo, 1.0, s[4:5], 1.0
	s_delay_alu instid0(VALU_DEP_2) | instskip(SKIP_2) | instid1(VALU_DEP_1)
	v_rcp_f64_e32 v[2:3], v[0:1]
	s_waitcnt_depctr 0xfff
	v_fma_f64 v[4:5], -v[0:1], v[2:3], 1.0
	v_fma_f64 v[2:3], v[2:3], v[4:5], v[2:3]
	s_delay_alu instid0(VALU_DEP_1) | instskip(NEXT) | instid1(VALU_DEP_1)
	v_fma_f64 v[4:5], -v[0:1], v[2:3], 1.0
	v_fma_f64 v[2:3], v[2:3], v[4:5], v[2:3]
	s_delay_alu instid0(VALU_DEP_1) | instskip(NEXT) | instid1(VALU_DEP_1)
	v_mul_f64 v[4:5], v[6:7], v[2:3]
	v_fma_f64 v[0:1], -v[0:1], v[4:5], v[6:7]
	s_delay_alu instid0(VALU_DEP_1) | instskip(SKIP_1) | instid1(VALU_DEP_2)
	v_div_fmas_f64 v[0:1], v[0:1], v[2:3], v[4:5]
	v_mov_b32_e32 v2, 0
	v_div_fixup_f64 v[0:1], v[0:1], s[4:5], 1.0
	s_delay_alu instid0(VALU_DEP_1) | instskip(NEXT) | instid1(VALU_DEP_2)
	v_cndmask_b32_e64 v1, v1, s5, s0
	v_cndmask_b32_e64 v0, v0, s4, s0
	global_store_b64 v2, v[0:1], s[2:3]
.LBB64_2:
	s_nop 0
	s_sendmsg sendmsg(MSG_DEALLOC_VGPRS)
	s_endpgm
	.section	.rodata,"a",@progbits
	.p2align	6, 0x0
	.amdhsa_kernel _ZN9rocsolver6v33100L18trti2_kernel_smallILi1EdPKPdEEv13rocblas_fill_17rocblas_diagonal_T1_iil
		.amdhsa_group_segment_fixed_size 0
		.amdhsa_private_segment_fixed_size 0
		.amdhsa_kernarg_size 32
		.amdhsa_user_sgpr_count 15
		.amdhsa_user_sgpr_dispatch_ptr 0
		.amdhsa_user_sgpr_queue_ptr 0
		.amdhsa_user_sgpr_kernarg_segment_ptr 1
		.amdhsa_user_sgpr_dispatch_id 0
		.amdhsa_user_sgpr_private_segment_size 0
		.amdhsa_wavefront_size32 1
		.amdhsa_uses_dynamic_stack 0
		.amdhsa_enable_private_segment 0
		.amdhsa_system_sgpr_workgroup_id_x 1
		.amdhsa_system_sgpr_workgroup_id_y 0
		.amdhsa_system_sgpr_workgroup_id_z 0
		.amdhsa_system_sgpr_workgroup_info 0
		.amdhsa_system_vgpr_workitem_id 0
		.amdhsa_next_free_vgpr 8
		.amdhsa_next_free_sgpr 16
		.amdhsa_reserve_vcc 1
		.amdhsa_float_round_mode_32 0
		.amdhsa_float_round_mode_16_64 0
		.amdhsa_float_denorm_mode_32 3
		.amdhsa_float_denorm_mode_16_64 3
		.amdhsa_dx10_clamp 1
		.amdhsa_ieee_mode 1
		.amdhsa_fp16_overflow 0
		.amdhsa_workgroup_processor_mode 1
		.amdhsa_memory_ordered 1
		.amdhsa_forward_progress 0
		.amdhsa_shared_vgpr_count 0
		.amdhsa_exception_fp_ieee_invalid_op 0
		.amdhsa_exception_fp_denorm_src 0
		.amdhsa_exception_fp_ieee_div_zero 0
		.amdhsa_exception_fp_ieee_overflow 0
		.amdhsa_exception_fp_ieee_underflow 0
		.amdhsa_exception_fp_ieee_inexact 0
		.amdhsa_exception_int_div_zero 0
	.end_amdhsa_kernel
	.section	.text._ZN9rocsolver6v33100L18trti2_kernel_smallILi1EdPKPdEEv13rocblas_fill_17rocblas_diagonal_T1_iil,"axG",@progbits,_ZN9rocsolver6v33100L18trti2_kernel_smallILi1EdPKPdEEv13rocblas_fill_17rocblas_diagonal_T1_iil,comdat
.Lfunc_end64:
	.size	_ZN9rocsolver6v33100L18trti2_kernel_smallILi1EdPKPdEEv13rocblas_fill_17rocblas_diagonal_T1_iil, .Lfunc_end64-_ZN9rocsolver6v33100L18trti2_kernel_smallILi1EdPKPdEEv13rocblas_fill_17rocblas_diagonal_T1_iil
                                        ; -- End function
	.section	.AMDGPU.csdata,"",@progbits
; Kernel info:
; codeLenInByte = 260
; NumSgprs: 18
; NumVgprs: 8
; ScratchSize: 0
; MemoryBound: 0
; FloatMode: 240
; IeeeMode: 1
; LDSByteSize: 0 bytes/workgroup (compile time only)
; SGPRBlocks: 2
; VGPRBlocks: 0
; NumSGPRsForWavesPerEU: 18
; NumVGPRsForWavesPerEU: 8
; Occupancy: 16
; WaveLimiterHint : 1
; COMPUTE_PGM_RSRC2:SCRATCH_EN: 0
; COMPUTE_PGM_RSRC2:USER_SGPR: 15
; COMPUTE_PGM_RSRC2:TRAP_HANDLER: 0
; COMPUTE_PGM_RSRC2:TGID_X_EN: 1
; COMPUTE_PGM_RSRC2:TGID_Y_EN: 0
; COMPUTE_PGM_RSRC2:TGID_Z_EN: 0
; COMPUTE_PGM_RSRC2:TIDIG_COMP_CNT: 0
	.section	.text._ZN9rocsolver6v33100L18trti2_kernel_smallILi2EdPKPdEEv13rocblas_fill_17rocblas_diagonal_T1_iil,"axG",@progbits,_ZN9rocsolver6v33100L18trti2_kernel_smallILi2EdPKPdEEv13rocblas_fill_17rocblas_diagonal_T1_iil,comdat
	.globl	_ZN9rocsolver6v33100L18trti2_kernel_smallILi2EdPKPdEEv13rocblas_fill_17rocblas_diagonal_T1_iil ; -- Begin function _ZN9rocsolver6v33100L18trti2_kernel_smallILi2EdPKPdEEv13rocblas_fill_17rocblas_diagonal_T1_iil
	.p2align	8
	.type	_ZN9rocsolver6v33100L18trti2_kernel_smallILi2EdPKPdEEv13rocblas_fill_17rocblas_diagonal_T1_iil,@function
_ZN9rocsolver6v33100L18trti2_kernel_smallILi2EdPKPdEEv13rocblas_fill_17rocblas_diagonal_T1_iil: ; @_ZN9rocsolver6v33100L18trti2_kernel_smallILi2EdPKPdEEv13rocblas_fill_17rocblas_diagonal_T1_iil
; %bb.0:
	s_mov_b32 s3, exec_lo
	v_cmpx_gt_u32_e32 2, v0
	s_cbranch_execz .LBB65_20
; %bb.1:
	s_clause 0x1
	s_load_b64 s[8:9], s[0:1], 0x10
	s_load_b128 s[4:7], s[0:1], 0x0
	s_mov_b32 s2, s15
	s_ashr_i32 s3, s15, 31
	v_lshlrev_b32_e32 v7, 3, v0
	s_lshl_b64 s[0:1], s[2:3], 3
	v_mov_b32_e32 v5, 0
	v_mov_b32_e32 v6, 0xbff00000
	s_waitcnt lgkmcnt(0)
	s_ashr_i32 s3, s8, 31
	s_add_u32 s0, s6, s0
	s_addc_u32 s1, s7, s1
	s_mov_b32 s2, s8
	s_load_b64 s[0:1], s[0:1], 0x0
	s_lshl_b64 s[2:3], s[2:3], 3
	s_mov_b32 s6, s9
	s_waitcnt lgkmcnt(0)
	s_add_u32 s0, s0, s2
	s_addc_u32 s1, s1, s3
	v_add_co_u32 v11, s2, s0, v7
	s_ashr_i32 s7, s9, 31
	v_add_co_ci_u32_e64 v12, null, s1, 0, s2
	s_lshl_b64 s[2:3], s[6:7], 3
	s_cmpk_lg_i32 s5, 0x84
	v_add_co_u32 v9, vcc_lo, v11, s2
	s_delay_alu instid0(VALU_DEP_2)
	v_add_co_ci_u32_e32 v10, vcc_lo, s3, v12, vcc_lo
	s_clause 0x1
	global_load_b64 v[1:2], v7, s[0:1]
	global_load_b64 v[3:4], v[9:10], off
	v_cmp_eq_u32_e64 s0, 0, v0
	s_cselect_b32 s2, -1, 0
	s_cmpk_eq_i32 s5, 0x84
	s_cbranch_scc1 .LBB65_3
; %bb.2:
	v_cmp_eq_u32_e64 s1, 1, v0
	s_waitcnt vmcnt(0)
	s_delay_alu instid0(VALU_DEP_1) | instskip(SKIP_1) | instid1(VALU_DEP_1)
	v_cndmask_b32_e64 v6, v2, v4, s1
	v_cndmask_b32_e64 v5, v1, v3, s1
	v_div_scale_f64 v[13:14], null, v[5:6], v[5:6], 1.0
	v_div_scale_f64 v[19:20], vcc_lo, 1.0, v[5:6], 1.0
	s_delay_alu instid0(VALU_DEP_2) | instskip(SKIP_2) | instid1(VALU_DEP_1)
	v_rcp_f64_e32 v[15:16], v[13:14]
	s_waitcnt_depctr 0xfff
	v_fma_f64 v[17:18], -v[13:14], v[15:16], 1.0
	v_fma_f64 v[15:16], v[15:16], v[17:18], v[15:16]
	s_delay_alu instid0(VALU_DEP_1) | instskip(NEXT) | instid1(VALU_DEP_1)
	v_fma_f64 v[17:18], -v[13:14], v[15:16], 1.0
	v_fma_f64 v[15:16], v[15:16], v[17:18], v[15:16]
	s_delay_alu instid0(VALU_DEP_1) | instskip(NEXT) | instid1(VALU_DEP_1)
	v_mul_f64 v[17:18], v[19:20], v[15:16]
	v_fma_f64 v[13:14], -v[13:14], v[17:18], v[19:20]
	s_delay_alu instid0(VALU_DEP_1) | instskip(NEXT) | instid1(VALU_DEP_1)
	v_div_fmas_f64 v[13:14], v[13:14], v[15:16], v[17:18]
	v_div_fixup_f64 v[5:6], v[13:14], v[5:6], 1.0
	s_delay_alu instid0(VALU_DEP_1) | instskip(NEXT) | instid1(VALU_DEP_2)
	v_cndmask_b32_e64 v4, v4, v6, s1
	v_cndmask_b32_e64 v3, v3, v5, s1
	;; [unrolled: 1-line block ×4, first 2 shown]
	v_xor_b32_e32 v6, 0x80000000, v6
.LBB65_3:
	v_add_nc_u32_e32 v13, 16, v7
	s_cmpk_lg_i32 s4, 0x79
	ds_store_b64 v7, v[5:6]
	s_cbranch_scc0 .LBB65_7
; %bb.4:
	s_waitcnt vmcnt(0)
	v_dual_mov_b32 v8, v4 :: v_dual_mov_b32 v7, v3
	v_dual_mov_b32 v6, v2 :: v_dual_mov_b32 v5, v1
	s_mov_b32 s0, exec_lo
	ds_store_b64 v13, v[1:2]
	s_waitcnt lgkmcnt(0)
	s_barrier
	buffer_gl0_inv
	v_cmpx_eq_u32_e32 1, v0
	s_cbranch_execz .LBB65_11
; %bb.5:
	s_and_b32 vcc_lo, exec_lo, s2
	s_cbranch_vccz .LBB65_8
; %bb.6:
	ds_load_b64 v[5:6], v13
	v_cmp_eq_u32_e32 vcc_lo, 1, v0
	v_dual_cndmask_b32 v8, v2, v4 :: v_dual_cndmask_b32 v7, v1, v3
	s_waitcnt lgkmcnt(0)
	s_delay_alu instid0(VALU_DEP_1)
	v_mul_f64 v[5:6], v[7:8], v[5:6]
	s_cbranch_execz .LBB65_9
	s_branch .LBB65_10
.LBB65_7:
                                        ; implicit-def: $vgpr5_vgpr6_vgpr7_vgpr8
	s_branch .LBB65_12
.LBB65_8:
                                        ; implicit-def: $vgpr5_vgpr6
.LBB65_9:
	ds_load_b64 v[5:6], v13
.LBB65_10:
	v_mov_b32_e32 v7, 0
	ds_load_b64 v[7:8], v7
	s_waitcnt lgkmcnt(0)
	v_mul_f64 v[14:15], v[5:6], v[7:8]
	v_dual_mov_b32 v8, v4 :: v_dual_mov_b32 v7, v3
	v_dual_mov_b32 v6, v2 :: v_dual_mov_b32 v5, v1
	s_delay_alu instid0(VALU_DEP_3)
	v_dual_mov_b32 v6, v15 :: v_dual_mov_b32 v5, v14
.LBB65_11:
	s_or_b32 exec_lo, exec_lo, s0
	s_cbranch_execnz .LBB65_19
.LBB65_12:
	s_mov_b32 s0, exec_lo
	s_waitcnt vmcnt(0)
	ds_store_b64 v13, v[3:4]
	s_waitcnt lgkmcnt(0)
	s_barrier
	buffer_gl0_inv
	v_cmpx_eq_u32_e32 0, v0
	s_cbranch_execz .LBB65_18
; %bb.13:
	s_and_b32 vcc_lo, exec_lo, s2
	s_cbranch_vccz .LBB65_15
; %bb.14:
	ds_load_b64 v[5:6], v13
	v_cmp_eq_u32_e32 vcc_lo, 1, v0
	v_dual_cndmask_b32 v4, v2, v4 :: v_dual_cndmask_b32 v3, v1, v3
	s_waitcnt lgkmcnt(0)
	s_delay_alu instid0(VALU_DEP_1)
	v_mul_f64 v[3:4], v[3:4], v[5:6]
	s_cbranch_execz .LBB65_16
	s_branch .LBB65_17
.LBB65_15:
                                        ; implicit-def: $vgpr3_vgpr4
.LBB65_16:
	ds_load_b64 v[3:4], v13
.LBB65_17:
	v_mov_b32_e32 v0, 0
	ds_load_b64 v[5:6], v0 offset:8
	s_waitcnt lgkmcnt(0)
	v_mul_f64 v[3:4], v[3:4], v[5:6]
.LBB65_18:
	s_or_b32 exec_lo, exec_lo, s0
	s_delay_alu instid0(VALU_DEP_1)
	v_dual_mov_b32 v8, v4 :: v_dual_mov_b32 v7, v3
	v_dual_mov_b32 v6, v2 :: v_dual_mov_b32 v5, v1
.LBB65_19:
	s_clause 0x1
	global_store_b64 v[11:12], v[5:6], off
	global_store_b64 v[9:10], v[7:8], off
.LBB65_20:
	s_nop 0
	s_sendmsg sendmsg(MSG_DEALLOC_VGPRS)
	s_endpgm
	.section	.rodata,"a",@progbits
	.p2align	6, 0x0
	.amdhsa_kernel _ZN9rocsolver6v33100L18trti2_kernel_smallILi2EdPKPdEEv13rocblas_fill_17rocblas_diagonal_T1_iil
		.amdhsa_group_segment_fixed_size 32
		.amdhsa_private_segment_fixed_size 0
		.amdhsa_kernarg_size 32
		.amdhsa_user_sgpr_count 15
		.amdhsa_user_sgpr_dispatch_ptr 0
		.amdhsa_user_sgpr_queue_ptr 0
		.amdhsa_user_sgpr_kernarg_segment_ptr 1
		.amdhsa_user_sgpr_dispatch_id 0
		.amdhsa_user_sgpr_private_segment_size 0
		.amdhsa_wavefront_size32 1
		.amdhsa_uses_dynamic_stack 0
		.amdhsa_enable_private_segment 0
		.amdhsa_system_sgpr_workgroup_id_x 1
		.amdhsa_system_sgpr_workgroup_id_y 0
		.amdhsa_system_sgpr_workgroup_id_z 0
		.amdhsa_system_sgpr_workgroup_info 0
		.amdhsa_system_vgpr_workitem_id 0
		.amdhsa_next_free_vgpr 21
		.amdhsa_next_free_sgpr 16
		.amdhsa_reserve_vcc 1
		.amdhsa_float_round_mode_32 0
		.amdhsa_float_round_mode_16_64 0
		.amdhsa_float_denorm_mode_32 3
		.amdhsa_float_denorm_mode_16_64 3
		.amdhsa_dx10_clamp 1
		.amdhsa_ieee_mode 1
		.amdhsa_fp16_overflow 0
		.amdhsa_workgroup_processor_mode 1
		.amdhsa_memory_ordered 1
		.amdhsa_forward_progress 0
		.amdhsa_shared_vgpr_count 0
		.amdhsa_exception_fp_ieee_invalid_op 0
		.amdhsa_exception_fp_denorm_src 0
		.amdhsa_exception_fp_ieee_div_zero 0
		.amdhsa_exception_fp_ieee_overflow 0
		.amdhsa_exception_fp_ieee_underflow 0
		.amdhsa_exception_fp_ieee_inexact 0
		.amdhsa_exception_int_div_zero 0
	.end_amdhsa_kernel
	.section	.text._ZN9rocsolver6v33100L18trti2_kernel_smallILi2EdPKPdEEv13rocblas_fill_17rocblas_diagonal_T1_iil,"axG",@progbits,_ZN9rocsolver6v33100L18trti2_kernel_smallILi2EdPKPdEEv13rocblas_fill_17rocblas_diagonal_T1_iil,comdat
.Lfunc_end65:
	.size	_ZN9rocsolver6v33100L18trti2_kernel_smallILi2EdPKPdEEv13rocblas_fill_17rocblas_diagonal_T1_iil, .Lfunc_end65-_ZN9rocsolver6v33100L18trti2_kernel_smallILi2EdPKPdEEv13rocblas_fill_17rocblas_diagonal_T1_iil
                                        ; -- End function
	.section	.AMDGPU.csdata,"",@progbits
; Kernel info:
; codeLenInByte = 752
; NumSgprs: 18
; NumVgprs: 21
; ScratchSize: 0
; MemoryBound: 0
; FloatMode: 240
; IeeeMode: 1
; LDSByteSize: 32 bytes/workgroup (compile time only)
; SGPRBlocks: 2
; VGPRBlocks: 2
; NumSGPRsForWavesPerEU: 18
; NumVGPRsForWavesPerEU: 21
; Occupancy: 16
; WaveLimiterHint : 1
; COMPUTE_PGM_RSRC2:SCRATCH_EN: 0
; COMPUTE_PGM_RSRC2:USER_SGPR: 15
; COMPUTE_PGM_RSRC2:TRAP_HANDLER: 0
; COMPUTE_PGM_RSRC2:TGID_X_EN: 1
; COMPUTE_PGM_RSRC2:TGID_Y_EN: 0
; COMPUTE_PGM_RSRC2:TGID_Z_EN: 0
; COMPUTE_PGM_RSRC2:TIDIG_COMP_CNT: 0
	.section	.text._ZN9rocsolver6v33100L18trti2_kernel_smallILi3EdPKPdEEv13rocblas_fill_17rocblas_diagonal_T1_iil,"axG",@progbits,_ZN9rocsolver6v33100L18trti2_kernel_smallILi3EdPKPdEEv13rocblas_fill_17rocblas_diagonal_T1_iil,comdat
	.globl	_ZN9rocsolver6v33100L18trti2_kernel_smallILi3EdPKPdEEv13rocblas_fill_17rocblas_diagonal_T1_iil ; -- Begin function _ZN9rocsolver6v33100L18trti2_kernel_smallILi3EdPKPdEEv13rocblas_fill_17rocblas_diagonal_T1_iil
	.p2align	8
	.type	_ZN9rocsolver6v33100L18trti2_kernel_smallILi3EdPKPdEEv13rocblas_fill_17rocblas_diagonal_T1_iil,@function
_ZN9rocsolver6v33100L18trti2_kernel_smallILi3EdPKPdEEv13rocblas_fill_17rocblas_diagonal_T1_iil: ; @_ZN9rocsolver6v33100L18trti2_kernel_smallILi3EdPKPdEEv13rocblas_fill_17rocblas_diagonal_T1_iil
; %bb.0:
	s_mov_b32 s3, exec_lo
	v_cmpx_gt_u32_e32 3, v0
	s_cbranch_execz .LBB66_36
; %bb.1:
	s_clause 0x1
	s_load_b64 s[8:9], s[0:1], 0x10
	s_load_b128 s[4:7], s[0:1], 0x0
	s_mov_b32 s2, s15
	s_ashr_i32 s3, s15, 31
	v_lshlrev_b32_e32 v9, 3, v0
	s_lshl_b64 s[0:1], s[2:3], 3
	v_mov_b32_e32 v7, 0
	v_mov_b32_e32 v8, 0xbff00000
	s_waitcnt lgkmcnt(0)
	s_ashr_i32 s3, s8, 31
	s_add_u32 s0, s6, s0
	s_addc_u32 s1, s7, s1
	v_add3_u32 v1, s9, s9, v0
	s_load_b64 s[0:1], s[0:1], 0x0
	s_mov_b32 s2, s8
	s_mov_b32 s6, s9
	s_lshl_b64 s[2:3], s[2:3], 3
	v_ashrrev_i32_e32 v2, 31, v1
	s_delay_alu instid0(VALU_DEP_1)
	v_lshlrev_b64 v[1:2], 3, v[1:2]
	s_waitcnt lgkmcnt(0)
	s_add_u32 s0, s0, s2
	s_addc_u32 s1, s1, s3
	v_add_co_u32 v17, s2, s0, v9
	s_ashr_i32 s7, s9, 31
	v_add_co_ci_u32_e64 v18, null, s1, 0, s2
	s_lshl_b64 s[2:3], s[6:7], 3
	s_cmpk_lg_i32 s5, 0x84
	v_add_co_u32 v15, vcc_lo, v17, s2
	s_delay_alu instid0(VALU_DEP_2)
	v_add_co_ci_u32_e32 v16, vcc_lo, s3, v18, vcc_lo
	v_add_co_u32 v13, vcc_lo, s0, v1
	v_add_co_ci_u32_e32 v14, vcc_lo, s1, v2, vcc_lo
	s_clause 0x2
	global_load_b64 v[3:4], v[15:16], off
	global_load_b64 v[1:2], v9, s[0:1]
	global_load_b64 v[5:6], v[13:14], off
	v_cmp_eq_u32_e64 s0, 0, v0
	s_cselect_b32 s3, -1, 0
	s_cmpk_eq_i32 s5, 0x84
	s_cbranch_scc1 .LBB66_3
; %bb.2:
	v_cmp_eq_u32_e64 s1, 1, v0
	v_cmp_eq_u32_e64 s2, 2, v0
	s_waitcnt vmcnt(1)
	s_delay_alu instid0(VALU_DEP_2) | instskip(SKIP_2) | instid1(VALU_DEP_2)
	v_cndmask_b32_e64 v7, v2, v4, s1
	v_cndmask_b32_e64 v10, v1, v3, s1
	s_waitcnt vmcnt(0)
	v_cndmask_b32_e64 v8, v7, v6, s2
	s_delay_alu instid0(VALU_DEP_2) | instskip(NEXT) | instid1(VALU_DEP_1)
	v_cndmask_b32_e64 v7, v10, v5, s2
	v_div_scale_f64 v[10:11], null, v[7:8], v[7:8], 1.0
	v_div_scale_f64 v[23:24], vcc_lo, 1.0, v[7:8], 1.0
	s_delay_alu instid0(VALU_DEP_2) | instskip(SKIP_2) | instid1(VALU_DEP_1)
	v_rcp_f64_e32 v[19:20], v[10:11]
	s_waitcnt_depctr 0xfff
	v_fma_f64 v[21:22], -v[10:11], v[19:20], 1.0
	v_fma_f64 v[19:20], v[19:20], v[21:22], v[19:20]
	s_delay_alu instid0(VALU_DEP_1) | instskip(NEXT) | instid1(VALU_DEP_1)
	v_fma_f64 v[21:22], -v[10:11], v[19:20], 1.0
	v_fma_f64 v[19:20], v[19:20], v[21:22], v[19:20]
	s_delay_alu instid0(VALU_DEP_1) | instskip(NEXT) | instid1(VALU_DEP_1)
	v_mul_f64 v[21:22], v[23:24], v[19:20]
	v_fma_f64 v[10:11], -v[10:11], v[21:22], v[23:24]
	s_delay_alu instid0(VALU_DEP_1) | instskip(NEXT) | instid1(VALU_DEP_1)
	v_div_fmas_f64 v[10:11], v[10:11], v[19:20], v[21:22]
	v_div_fixup_f64 v[7:8], v[10:11], v[7:8], 1.0
	s_delay_alu instid0(VALU_DEP_1) | instskip(NEXT) | instid1(VALU_DEP_2)
	v_cndmask_b32_e64 v6, v6, v8, s2
	v_cndmask_b32_e64 v5, v5, v7, s2
	;; [unrolled: 1-line block ×6, first 2 shown]
	v_xor_b32_e32 v8, 0x80000000, v8
.LBB66_3:
	v_add_nc_u32_e32 v19, 32, v9
	s_cmpk_eq_i32 s4, 0x79
	ds_store_b64 v9, v[7:8]
	s_cbranch_scc1 .LBB66_7
; %bb.4:
	s_waitcnt vmcnt(0)
	v_dual_mov_b32 v12, v6 :: v_dual_mov_b32 v11, v5
	v_cmp_eq_u32_e64 s0, 2, v0
	v_dual_mov_b32 v10, v4 :: v_dual_mov_b32 v9, v3
	v_dual_mov_b32 v8, v2 :: v_dual_mov_b32 v7, v1
	ds_store_b64 v19, v[3:4]
	s_waitcnt lgkmcnt(0)
	s_barrier
	buffer_gl0_inv
	s_and_saveexec_b32 s1, s0
	s_cbranch_execz .LBB66_11
; %bb.5:
	s_and_b32 vcc_lo, exec_lo, s3
	s_cbranch_vccz .LBB66_8
; %bb.6:
	ds_load_b64 v[7:8], v19
	v_cmp_eq_u32_e32 vcc_lo, 1, v0
	v_cndmask_b32_e32 v9, v2, v4, vcc_lo
	v_cndmask_b32_e32 v11, v1, v3, vcc_lo
	v_cmp_eq_u32_e32 vcc_lo, 2, v0
	s_delay_alu instid0(VALU_DEP_2) | instskip(SKIP_1) | instid1(VALU_DEP_1)
	v_dual_cndmask_b32 v10, v9, v6 :: v_dual_cndmask_b32 v9, v11, v5
	s_waitcnt lgkmcnt(0)
	v_mul_f64 v[7:8], v[9:10], v[7:8]
	s_cbranch_execz .LBB66_9
	s_branch .LBB66_10
.LBB66_7:
                                        ; implicit-def: $vgpr7_vgpr8_vgpr9_vgpr10_vgpr11_vgpr12
	s_cbranch_execnz .LBB66_20
	s_branch .LBB66_35
.LBB66_8:
                                        ; implicit-def: $vgpr7_vgpr8
.LBB66_9:
	ds_load_b64 v[7:8], v19
.LBB66_10:
	v_mov_b32_e32 v9, 0
	ds_load_b64 v[9:10], v9 offset:8
	s_waitcnt lgkmcnt(0)
	v_mul_f64 v[20:21], v[7:8], v[9:10]
	v_dual_mov_b32 v12, v6 :: v_dual_mov_b32 v11, v5
	v_dual_mov_b32 v10, v4 :: v_dual_mov_b32 v9, v3
	v_dual_mov_b32 v8, v2 :: v_dual_mov_b32 v7, v1
	s_delay_alu instid0(VALU_DEP_4)
	v_dual_mov_b32 v9, v20 :: v_dual_mov_b32 v10, v21
.LBB66_11:
	s_or_b32 exec_lo, exec_lo, s1
	s_mov_b32 s1, 0
	s_mov_b32 s2, exec_lo
	ds_store_b64 v19, v[7:8]
	s_waitcnt lgkmcnt(0)
	s_barrier
	buffer_gl0_inv
	v_cmpx_ne_u32_e32 0, v0
	s_cbranch_execz .LBB66_19
; %bb.12:
	s_and_not1_b32 vcc_lo, exec_lo, s3
	s_cbranch_vccnz .LBB66_14
; %bb.13:
	ds_load_b64 v[20:21], v19
	v_cmp_eq_u32_e32 vcc_lo, 1, v0
	v_dual_cndmask_b32 v8, v8, v10 :: v_dual_cndmask_b32 v7, v7, v9
	v_cmp_eq_u32_e32 vcc_lo, 2, v0
	s_delay_alu instid0(VALU_DEP_2) | instskip(SKIP_1) | instid1(VALU_DEP_1)
	v_dual_cndmask_b32 v8, v8, v12 :: v_dual_cndmask_b32 v7, v7, v11
	s_waitcnt lgkmcnt(0)
	v_mul_f64 v[7:8], v[7:8], v[20:21]
	s_cbranch_execz .LBB66_15
	s_branch .LBB66_16
.LBB66_14:
                                        ; implicit-def: $vgpr7_vgpr8
.LBB66_15:
	ds_load_b64 v[7:8], v19
.LBB66_16:
	s_and_saveexec_b32 s4, s0
	s_cbranch_execz .LBB66_18
; %bb.17:
	v_mov_b32_e32 v20, 0
	ds_load_b64 v[20:21], v20 offset:40
	s_waitcnt lgkmcnt(0)
	v_fma_f64 v[7:8], v[9:10], v[20:21], v[7:8]
.LBB66_18:
	s_or_b32 exec_lo, exec_lo, s4
	v_mov_b32_e32 v20, 0
	ds_load_b64 v[20:21], v20
	s_waitcnt lgkmcnt(0)
	v_mul_f64 v[7:8], v[7:8], v[20:21]
.LBB66_19:
	s_or_b32 exec_lo, exec_lo, s2
	s_delay_alu instid0(SALU_CYCLE_1)
	s_and_b32 vcc_lo, exec_lo, s1
	s_cbranch_vccz .LBB66_35
.LBB66_20:
	v_cmp_eq_u32_e64 s0, 0, v0
	s_waitcnt vmcnt(2)
	ds_store_b64 v19, v[3:4]
	s_waitcnt vmcnt(0) lgkmcnt(0)
	s_barrier
	buffer_gl0_inv
	s_and_saveexec_b32 s1, s0
	s_cbranch_execz .LBB66_26
; %bb.21:
	s_and_b32 vcc_lo, exec_lo, s3
	s_cbranch_vccz .LBB66_23
; %bb.22:
	ds_load_b64 v[7:8], v19
	v_cmp_eq_u32_e32 vcc_lo, 1, v0
	v_dual_cndmask_b32 v4, v2, v4 :: v_dual_cndmask_b32 v3, v1, v3
	v_cmp_eq_u32_e32 vcc_lo, 2, v0
	s_delay_alu instid0(VALU_DEP_2) | instskip(SKIP_1) | instid1(VALU_DEP_1)
	v_dual_cndmask_b32 v4, v4, v6 :: v_dual_cndmask_b32 v3, v3, v5
	s_waitcnt lgkmcnt(0)
	v_mul_f64 v[3:4], v[3:4], v[7:8]
	s_cbranch_execz .LBB66_24
	s_branch .LBB66_25
.LBB66_23:
                                        ; implicit-def: $vgpr3_vgpr4
.LBB66_24:
	ds_load_b64 v[3:4], v19
.LBB66_25:
	v_mov_b32_e32 v7, 0
	ds_load_b64 v[7:8], v7 offset:8
	s_waitcnt lgkmcnt(0)
	v_mul_f64 v[3:4], v[3:4], v[7:8]
.LBB66_26:
	s_or_b32 exec_lo, exec_lo, s1
	s_delay_alu instid0(SALU_CYCLE_1)
	s_mov_b32 s1, exec_lo
	ds_store_b64 v19, v[5:6]
	s_waitcnt lgkmcnt(0)
	s_barrier
	buffer_gl0_inv
	v_cmpx_ne_u32_e32 2, v0
	s_cbranch_execz .LBB66_34
; %bb.27:
	s_and_not1_b32 vcc_lo, exec_lo, s3
	s_cbranch_vccnz .LBB66_29
; %bb.28:
	ds_load_b64 v[7:8], v19
	v_cmp_eq_u32_e32 vcc_lo, 1, v0
	v_cndmask_b32_e32 v9, v2, v4, vcc_lo
	v_cndmask_b32_e32 v11, v1, v3, vcc_lo
	v_cmp_eq_u32_e32 vcc_lo, 2, v0
	s_delay_alu instid0(VALU_DEP_2) | instskip(SKIP_1) | instid1(VALU_DEP_1)
	v_dual_cndmask_b32 v10, v9, v6 :: v_dual_cndmask_b32 v9, v11, v5
	s_waitcnt lgkmcnt(0)
	v_mul_f64 v[7:8], v[9:10], v[7:8]
	s_cbranch_execz .LBB66_30
	s_branch .LBB66_31
.LBB66_29:
                                        ; implicit-def: $vgpr7_vgpr8
.LBB66_30:
	ds_load_b64 v[7:8], v19
.LBB66_31:
	s_and_saveexec_b32 s2, s0
	s_cbranch_execz .LBB66_33
; %bb.32:
	v_add_nc_u32_e32 v0, 1, v0
	ds_load_b64 v[9:10], v19 offset:8
	v_cmp_eq_u32_e32 vcc_lo, 1, v0
	v_dual_cndmask_b32 v11, v2, v4 :: v_dual_cndmask_b32 v12, v1, v3
	v_cmp_eq_u32_e32 vcc_lo, 2, v0
	s_delay_alu instid0(VALU_DEP_2) | instskip(SKIP_1) | instid1(VALU_DEP_1)
	v_dual_cndmask_b32 v6, v11, v6 :: v_dual_cndmask_b32 v5, v12, v5
	s_waitcnt lgkmcnt(0)
	v_fma_f64 v[7:8], v[5:6], v[9:10], v[7:8]
.LBB66_33:
	s_or_b32 exec_lo, exec_lo, s2
	v_mov_b32_e32 v0, 0
	ds_load_b64 v[5:6], v0 offset:16
	s_waitcnt lgkmcnt(0)
	v_mul_f64 v[5:6], v[7:8], v[5:6]
.LBB66_34:
	s_or_b32 exec_lo, exec_lo, s1
	s_delay_alu instid0(VALU_DEP_1)
	v_dual_mov_b32 v12, v6 :: v_dual_mov_b32 v11, v5
	v_dual_mov_b32 v10, v4 :: v_dual_mov_b32 v9, v3
	;; [unrolled: 1-line block ×3, first 2 shown]
.LBB66_35:
	s_clause 0x2
	global_store_b64 v[17:18], v[7:8], off
	global_store_b64 v[15:16], v[9:10], off
	;; [unrolled: 1-line block ×3, first 2 shown]
.LBB66_36:
	s_nop 0
	s_sendmsg sendmsg(MSG_DEALLOC_VGPRS)
	s_endpgm
	.section	.rodata,"a",@progbits
	.p2align	6, 0x0
	.amdhsa_kernel _ZN9rocsolver6v33100L18trti2_kernel_smallILi3EdPKPdEEv13rocblas_fill_17rocblas_diagonal_T1_iil
		.amdhsa_group_segment_fixed_size 56
		.amdhsa_private_segment_fixed_size 0
		.amdhsa_kernarg_size 32
		.amdhsa_user_sgpr_count 15
		.amdhsa_user_sgpr_dispatch_ptr 0
		.amdhsa_user_sgpr_queue_ptr 0
		.amdhsa_user_sgpr_kernarg_segment_ptr 1
		.amdhsa_user_sgpr_dispatch_id 0
		.amdhsa_user_sgpr_private_segment_size 0
		.amdhsa_wavefront_size32 1
		.amdhsa_uses_dynamic_stack 0
		.amdhsa_enable_private_segment 0
		.amdhsa_system_sgpr_workgroup_id_x 1
		.amdhsa_system_sgpr_workgroup_id_y 0
		.amdhsa_system_sgpr_workgroup_id_z 0
		.amdhsa_system_sgpr_workgroup_info 0
		.amdhsa_system_vgpr_workitem_id 0
		.amdhsa_next_free_vgpr 25
		.amdhsa_next_free_sgpr 16
		.amdhsa_reserve_vcc 1
		.amdhsa_float_round_mode_32 0
		.amdhsa_float_round_mode_16_64 0
		.amdhsa_float_denorm_mode_32 3
		.amdhsa_float_denorm_mode_16_64 3
		.amdhsa_dx10_clamp 1
		.amdhsa_ieee_mode 1
		.amdhsa_fp16_overflow 0
		.amdhsa_workgroup_processor_mode 1
		.amdhsa_memory_ordered 1
		.amdhsa_forward_progress 0
		.amdhsa_shared_vgpr_count 0
		.amdhsa_exception_fp_ieee_invalid_op 0
		.amdhsa_exception_fp_denorm_src 0
		.amdhsa_exception_fp_ieee_div_zero 0
		.amdhsa_exception_fp_ieee_overflow 0
		.amdhsa_exception_fp_ieee_underflow 0
		.amdhsa_exception_fp_ieee_inexact 0
		.amdhsa_exception_int_div_zero 0
	.end_amdhsa_kernel
	.section	.text._ZN9rocsolver6v33100L18trti2_kernel_smallILi3EdPKPdEEv13rocblas_fill_17rocblas_diagonal_T1_iil,"axG",@progbits,_ZN9rocsolver6v33100L18trti2_kernel_smallILi3EdPKPdEEv13rocblas_fill_17rocblas_diagonal_T1_iil,comdat
.Lfunc_end66:
	.size	_ZN9rocsolver6v33100L18trti2_kernel_smallILi3EdPKPdEEv13rocblas_fill_17rocblas_diagonal_T1_iil, .Lfunc_end66-_ZN9rocsolver6v33100L18trti2_kernel_smallILi3EdPKPdEEv13rocblas_fill_17rocblas_diagonal_T1_iil
                                        ; -- End function
	.section	.AMDGPU.csdata,"",@progbits
; Kernel info:
; codeLenInByte = 1300
; NumSgprs: 18
; NumVgprs: 25
; ScratchSize: 0
; MemoryBound: 0
; FloatMode: 240
; IeeeMode: 1
; LDSByteSize: 56 bytes/workgroup (compile time only)
; SGPRBlocks: 2
; VGPRBlocks: 3
; NumSGPRsForWavesPerEU: 18
; NumVGPRsForWavesPerEU: 25
; Occupancy: 16
; WaveLimiterHint : 1
; COMPUTE_PGM_RSRC2:SCRATCH_EN: 0
; COMPUTE_PGM_RSRC2:USER_SGPR: 15
; COMPUTE_PGM_RSRC2:TRAP_HANDLER: 0
; COMPUTE_PGM_RSRC2:TGID_X_EN: 1
; COMPUTE_PGM_RSRC2:TGID_Y_EN: 0
; COMPUTE_PGM_RSRC2:TGID_Z_EN: 0
; COMPUTE_PGM_RSRC2:TIDIG_COMP_CNT: 0
	.section	.text._ZN9rocsolver6v33100L18trti2_kernel_smallILi4EdPKPdEEv13rocblas_fill_17rocblas_diagonal_T1_iil,"axG",@progbits,_ZN9rocsolver6v33100L18trti2_kernel_smallILi4EdPKPdEEv13rocblas_fill_17rocblas_diagonal_T1_iil,comdat
	.globl	_ZN9rocsolver6v33100L18trti2_kernel_smallILi4EdPKPdEEv13rocblas_fill_17rocblas_diagonal_T1_iil ; -- Begin function _ZN9rocsolver6v33100L18trti2_kernel_smallILi4EdPKPdEEv13rocblas_fill_17rocblas_diagonal_T1_iil
	.p2align	8
	.type	_ZN9rocsolver6v33100L18trti2_kernel_smallILi4EdPKPdEEv13rocblas_fill_17rocblas_diagonal_T1_iil,@function
_ZN9rocsolver6v33100L18trti2_kernel_smallILi4EdPKPdEEv13rocblas_fill_17rocblas_diagonal_T1_iil: ; @_ZN9rocsolver6v33100L18trti2_kernel_smallILi4EdPKPdEEv13rocblas_fill_17rocblas_diagonal_T1_iil
; %bb.0:
	s_mov_b32 s3, exec_lo
	v_cmpx_gt_u32_e32 4, v0
	s_cbranch_execz .LBB67_62
; %bb.1:
	s_clause 0x1
	s_load_b64 s[8:9], s[0:1], 0x10
	s_load_b128 s[4:7], s[0:1], 0x0
	s_mov_b32 s2, s15
	s_ashr_i32 s3, s15, 31
	v_lshlrev_b32_e32 v11, 3, v0
	s_lshl_b64 s[0:1], s[2:3], 3
	v_mov_b32_e32 v9, 0
	v_mov_b32_e32 v10, 0xbff00000
	s_waitcnt lgkmcnt(0)
	s_ashr_i32 s3, s8, 31
	s_add_u32 s0, s6, s0
	s_addc_u32 s1, s7, s1
	v_add3_u32 v1, s9, s9, v0
	s_load_b64 s[0:1], s[0:1], 0x0
	s_mov_b32 s2, s8
	s_mov_b32 s6, s9
	s_lshl_b64 s[2:3], s[2:3], 3
	v_ashrrev_i32_e32 v2, 31, v1
	v_add_nc_u32_e32 v3, s9, v1
	s_delay_alu instid0(VALU_DEP_2) | instskip(NEXT) | instid1(VALU_DEP_2)
	v_lshlrev_b64 v[1:2], 3, v[1:2]
	v_ashrrev_i32_e32 v4, 31, v3
	s_delay_alu instid0(VALU_DEP_1)
	v_lshlrev_b64 v[3:4], 3, v[3:4]
	s_waitcnt lgkmcnt(0)
	s_add_u32 s0, s0, s2
	s_addc_u32 s1, s1, s3
	v_add_co_u32 v21, s2, s0, v11
	s_ashr_i32 s7, s9, 31
	v_add_co_ci_u32_e64 v22, null, s1, 0, s2
	v_add_co_u32 v19, vcc_lo, s0, v1
	s_lshl_b64 s[2:3], s[6:7], 3
	v_add_co_ci_u32_e32 v20, vcc_lo, s1, v2, vcc_lo
	v_add_co_u32 v23, vcc_lo, v21, s2
	v_add_co_ci_u32_e32 v24, vcc_lo, s3, v22, vcc_lo
	v_add_co_u32 v17, vcc_lo, s0, v3
	v_add_co_ci_u32_e32 v18, vcc_lo, s1, v4, vcc_lo
	s_clause 0x3
	global_load_b64 v[3:4], v[23:24], off
	global_load_b64 v[5:6], v[19:20], off
	global_load_b64 v[1:2], v11, s[0:1]
	global_load_b64 v[7:8], v[17:18], off
	v_cmp_eq_u32_e64 s0, 0, v0
	s_cmpk_lg_i32 s5, 0x84
	s_cselect_b32 s6, -1, 0
	s_cmpk_eq_i32 s5, 0x84
	s_cbranch_scc1 .LBB67_3
; %bb.2:
	v_cmp_eq_u32_e64 s1, 1, v0
	v_cmp_eq_u32_e64 s2, 2, v0
	;; [unrolled: 1-line block ×3, first 2 shown]
	s_waitcnt vmcnt(1)
	s_delay_alu instid0(VALU_DEP_3) | instskip(SKIP_1) | instid1(VALU_DEP_2)
	v_cndmask_b32_e64 v9, v2, v4, s1
	v_cndmask_b32_e64 v10, v1, v3, s1
	;; [unrolled: 1-line block ×3, first 2 shown]
	s_delay_alu instid0(VALU_DEP_2) | instskip(SKIP_1) | instid1(VALU_DEP_2)
	v_cndmask_b32_e64 v12, v10, v5, s2
	s_waitcnt vmcnt(0)
	v_cndmask_b32_e64 v10, v9, v8, s3
	s_delay_alu instid0(VALU_DEP_2) | instskip(NEXT) | instid1(VALU_DEP_1)
	v_cndmask_b32_e64 v9, v12, v7, s3
	v_div_scale_f64 v[12:13], null, v[9:10], v[9:10], 1.0
	v_div_scale_f64 v[27:28], vcc_lo, 1.0, v[9:10], 1.0
	s_delay_alu instid0(VALU_DEP_2) | instskip(SKIP_2) | instid1(VALU_DEP_1)
	v_rcp_f64_e32 v[14:15], v[12:13]
	s_waitcnt_depctr 0xfff
	v_fma_f64 v[25:26], -v[12:13], v[14:15], 1.0
	v_fma_f64 v[14:15], v[14:15], v[25:26], v[14:15]
	s_delay_alu instid0(VALU_DEP_1) | instskip(NEXT) | instid1(VALU_DEP_1)
	v_fma_f64 v[25:26], -v[12:13], v[14:15], 1.0
	v_fma_f64 v[14:15], v[14:15], v[25:26], v[14:15]
	s_delay_alu instid0(VALU_DEP_1) | instskip(NEXT) | instid1(VALU_DEP_1)
	v_mul_f64 v[25:26], v[27:28], v[14:15]
	v_fma_f64 v[12:13], -v[12:13], v[25:26], v[27:28]
	s_delay_alu instid0(VALU_DEP_1) | instskip(NEXT) | instid1(VALU_DEP_1)
	v_div_fmas_f64 v[12:13], v[12:13], v[14:15], v[25:26]
	v_div_fixup_f64 v[9:10], v[12:13], v[9:10], 1.0
	s_delay_alu instid0(VALU_DEP_1) | instskip(NEXT) | instid1(VALU_DEP_2)
	v_cndmask_b32_e64 v8, v8, v10, s3
	v_cndmask_b32_e64 v7, v7, v9, s3
	;; [unrolled: 1-line block ×8, first 2 shown]
	v_xor_b32_e32 v10, 0x80000000, v10
.LBB67_3:
	v_add_nc_u32_e32 v27, 32, v11
	s_cmpk_eq_i32 s4, 0x79
	ds_store_b64 v11, v[9:10]
	s_cbranch_scc1 .LBB67_7
; %bb.4:
	s_waitcnt vmcnt(0)
	v_dual_mov_b32 v16, v8 :: v_dual_mov_b32 v15, v7
	v_cmp_eq_u32_e64 s1, 3, v0
	v_dual_mov_b32 v14, v6 :: v_dual_mov_b32 v13, v5
	v_dual_mov_b32 v12, v4 :: v_dual_mov_b32 v11, v3
	;; [unrolled: 1-line block ×3, first 2 shown]
	ds_store_b64 v27, v[5:6]
	s_waitcnt lgkmcnt(0)
	s_barrier
	buffer_gl0_inv
	s_and_saveexec_b32 s0, s1
	s_cbranch_execz .LBB67_11
; %bb.5:
	s_and_b32 vcc_lo, exec_lo, s6
	s_cbranch_vccz .LBB67_8
; %bb.6:
	v_cmp_eq_u32_e32 vcc_lo, 1, v0
	ds_load_b64 v[9:10], v27
	v_dual_cndmask_b32 v11, v2, v4 :: v_dual_cndmask_b32 v12, v1, v3
	v_cmp_eq_u32_e32 vcc_lo, 2, v0
	s_delay_alu instid0(VALU_DEP_2) | instskip(NEXT) | instid1(VALU_DEP_3)
	v_cndmask_b32_e32 v11, v11, v6, vcc_lo
	v_cndmask_b32_e32 v13, v12, v5, vcc_lo
	v_cmp_eq_u32_e32 vcc_lo, 3, v0
	s_delay_alu instid0(VALU_DEP_2) | instskip(SKIP_1) | instid1(VALU_DEP_1)
	v_dual_cndmask_b32 v12, v11, v8 :: v_dual_cndmask_b32 v11, v13, v7
	s_waitcnt lgkmcnt(0)
	v_mul_f64 v[9:10], v[11:12], v[9:10]
	s_cbranch_execz .LBB67_9
	s_branch .LBB67_10
.LBB67_7:
                                        ; implicit-def: $vgpr9_vgpr10_vgpr11_vgpr12_vgpr13_vgpr14_vgpr15_vgpr16
	s_cbranch_execnz .LBB67_36
	s_branch .LBB67_61
.LBB67_8:
                                        ; implicit-def: $vgpr9_vgpr10
.LBB67_9:
	ds_load_b64 v[9:10], v27
.LBB67_10:
	v_mov_b32_e32 v11, 0
	ds_load_b64 v[11:12], v11 offset:16
	s_waitcnt lgkmcnt(0)
	v_mul_f64 v[25:26], v[9:10], v[11:12]
	v_dual_mov_b32 v16, v8 :: v_dual_mov_b32 v15, v7
	v_dual_mov_b32 v14, v6 :: v_dual_mov_b32 v13, v5
	;; [unrolled: 1-line block ×5, first 2 shown]
.LBB67_11:
	s_or_b32 exec_lo, exec_lo, s0
	v_cmp_lt_u32_e64 s0, 1, v0
	ds_store_b64 v27, v[11:12]
	s_waitcnt lgkmcnt(0)
	s_barrier
	buffer_gl0_inv
	s_and_saveexec_b32 s2, s0
	s_cbranch_execz .LBB67_19
; %bb.12:
	s_and_not1_b32 vcc_lo, exec_lo, s6
	s_cbranch_vccnz .LBB67_14
; %bb.13:
	v_cmp_eq_u32_e32 vcc_lo, 1, v0
	ds_load_b64 v[25:26], v27
	v_dual_cndmask_b32 v12, v10, v12 :: v_dual_cndmask_b32 v11, v9, v11
	v_cmp_eq_u32_e32 vcc_lo, 2, v0
	s_delay_alu instid0(VALU_DEP_2) | instskip(SKIP_1) | instid1(VALU_DEP_2)
	v_dual_cndmask_b32 v12, v12, v14 :: v_dual_cndmask_b32 v11, v11, v13
	v_cmp_eq_u32_e32 vcc_lo, 3, v0
	v_dual_cndmask_b32 v12, v12, v16 :: v_dual_cndmask_b32 v11, v11, v15
	s_waitcnt lgkmcnt(0)
	s_delay_alu instid0(VALU_DEP_1)
	v_mul_f64 v[11:12], v[11:12], v[25:26]
	s_cbranch_execz .LBB67_15
	s_branch .LBB67_16
.LBB67_14:
                                        ; implicit-def: $vgpr11_vgpr12
.LBB67_15:
	ds_load_b64 v[11:12], v27
.LBB67_16:
	s_and_saveexec_b32 s3, s1
	s_cbranch_execz .LBB67_18
; %bb.17:
	v_mov_b32_e32 v25, 0
	ds_load_b64 v[25:26], v25 offset:48
	s_waitcnt lgkmcnt(0)
	v_fma_f64 v[11:12], v[13:14], v[25:26], v[11:12]
.LBB67_18:
	s_or_b32 exec_lo, exec_lo, s3
	v_mov_b32_e32 v25, 0
	ds_load_b64 v[25:26], v25 offset:8
	s_waitcnt lgkmcnt(0)
	v_mul_f64 v[11:12], v[11:12], v[25:26]
.LBB67_19:
	s_or_b32 exec_lo, exec_lo, s2
	s_mov_b32 s2, 0
	s_mov_b32 s3, exec_lo
	ds_store_b64 v27, v[9:10]
	s_waitcnt lgkmcnt(0)
	s_barrier
	buffer_gl0_inv
	v_cmpx_ne_u32_e32 0, v0
	s_cbranch_execz .LBB67_35
; %bb.20:
	s_and_not1_b32 vcc_lo, exec_lo, s6
	s_cbranch_vccnz .LBB67_22
; %bb.21:
	v_cmp_eq_u32_e32 vcc_lo, 1, v0
	ds_load_b64 v[25:26], v27
	v_dual_cndmask_b32 v28, v10, v12 :: v_dual_cndmask_b32 v29, v9, v11
	v_cmp_eq_u32_e32 vcc_lo, 2, v0
	s_delay_alu instid0(VALU_DEP_2) | instskip(NEXT) | instid1(VALU_DEP_3)
	v_cndmask_b32_e32 v28, v28, v14, vcc_lo
	v_cndmask_b32_e32 v30, v29, v13, vcc_lo
	v_cmp_eq_u32_e32 vcc_lo, 3, v0
	s_delay_alu instid0(VALU_DEP_2) | instskip(SKIP_1) | instid1(VALU_DEP_1)
	v_dual_cndmask_b32 v29, v28, v16 :: v_dual_cndmask_b32 v28, v30, v15
	s_waitcnt lgkmcnt(0)
	v_mul_f64 v[25:26], v[28:29], v[25:26]
	s_cbranch_execz .LBB67_23
	s_branch .LBB67_24
.LBB67_22:
                                        ; implicit-def: $vgpr25_vgpr26
.LBB67_23:
	ds_load_b64 v[25:26], v27
.LBB67_24:
	s_and_saveexec_b32 s4, s0
	s_cbranch_execz .LBB67_34
; %bb.25:
	v_dual_mov_b32 v30, 1 :: v_dual_add_nc_u32 v29, -2, v0
	v_add_nc_u32_e32 v28, -1, v0
	s_mov_b32 s5, exec_lo
	s_delay_alu instid0(VALU_DEP_2)
	v_cmpx_lt_u32_e32 6, v29
	s_cbranch_execz .LBB67_29
; %bb.26:
	s_delay_alu instid0(VALU_DEP_2) | instskip(SKIP_3) | instid1(VALU_DEP_1)
	v_and_b32_e32 v29, -8, v28
	s_mov_b32 s7, 0
	s_mov_b64 s[0:1], 8
	s_mov_b32 s8, 40
	v_sub_nc_u32_e32 v29, 0, v29
.LBB67_27:                              ; =>This Inner Loop Header: Depth=1
	s_add_i32 s9, s0, -7
	s_delay_alu instid0(SALU_CYCLE_1)
	s_cmp_eq_u32 s9, 1
	s_cselect_b32 vcc_lo, -1, 0
	v_dual_mov_b32 v40, s8 :: v_dual_cndmask_b32 v35, v9, v11
	v_cndmask_b32_e32 v34, v10, v12, vcc_lo
	s_cmp_eq_u32 s9, 2
	ds_load_2addr_b64 v[30:33], v40 offset1:1
	s_cselect_b32 vcc_lo, -1, 0
	s_cmp_eq_u32 s9, 3
	v_dual_cndmask_b32 v35, v35, v13 :: v_dual_cndmask_b32 v34, v34, v14
	s_cselect_b32 vcc_lo, -1, 0
	s_add_i32 s9, s0, -6
	s_delay_alu instid0(VALU_DEP_1)
	v_dual_cndmask_b32 v38, v35, v15 :: v_dual_cndmask_b32 v39, v34, v16
	ds_load_2addr_b64 v[34:37], v40 offset0:2 offset1:3
	s_cmp_eq_u32 s9, 1
	s_cselect_b32 vcc_lo, -1, 0
	s_cmp_eq_u32 s9, 2
	s_waitcnt lgkmcnt(1)
	v_fma_f64 v[25:26], v[38:39], v[30:31], v[25:26]
	v_dual_cndmask_b32 v30, v10, v12 :: v_dual_cndmask_b32 v31, v9, v11
	s_cselect_b32 vcc_lo, -1, 0
	s_cmp_eq_u32 s9, 3
	s_delay_alu instid0(VALU_DEP_1) | instskip(NEXT) | instid1(VALU_DEP_2)
	v_cndmask_b32_e32 v30, v30, v14, vcc_lo
	v_cndmask_b32_e32 v38, v31, v13, vcc_lo
	s_cselect_b32 vcc_lo, -1, 0
	s_add_i32 s9, s0, -5
	s_delay_alu instid0(VALU_DEP_2) | instskip(NEXT) | instid1(VALU_DEP_2)
	v_cndmask_b32_e32 v31, v30, v16, vcc_lo
	v_cndmask_b32_e32 v30, v38, v15, vcc_lo
	s_cmp_eq_u32 s9, 1
	s_cselect_b32 vcc_lo, -1, 0
	s_cmp_eq_u32 s9, 2
	s_delay_alu instid0(VALU_DEP_1) | instskip(SKIP_3) | instid1(VALU_DEP_1)
	v_fma_f64 v[25:26], v[30:31], v[32:33], v[25:26]
	v_dual_cndmask_b32 v30, v10, v12 :: v_dual_cndmask_b32 v31, v9, v11
	s_cselect_b32 vcc_lo, -1, 0
	s_cmp_eq_u32 s9, 3
	v_cndmask_b32_e32 v30, v30, v14, vcc_lo
	s_delay_alu instid0(VALU_DEP_2) | instskip(SKIP_2) | instid1(VALU_DEP_1)
	v_cndmask_b32_e32 v32, v31, v13, vcc_lo
	s_cselect_b32 vcc_lo, -1, 0
	s_add_i32 s9, s0, -4
	v_dual_cndmask_b32 v31, v30, v16 :: v_dual_cndmask_b32 v30, v32, v15
	s_cmp_eq_u32 s9, 1
	s_cselect_b32 vcc_lo, -1, 0
	s_cmp_eq_u32 s9, 2
	s_waitcnt lgkmcnt(0)
	v_fma_f64 v[25:26], v[30:31], v[34:35], v[25:26]
	v_dual_cndmask_b32 v30, v10, v12 :: v_dual_cndmask_b32 v31, v9, v11
	s_cselect_b32 vcc_lo, -1, 0
	s_cmp_eq_u32 s9, 3
	s_delay_alu instid0(VALU_DEP_1) | instskip(NEXT) | instid1(VALU_DEP_2)
	v_cndmask_b32_e32 v30, v30, v14, vcc_lo
	v_cndmask_b32_e32 v32, v31, v13, vcc_lo
	s_cselect_b32 vcc_lo, -1, 0
	s_add_i32 s9, s0, -3
	s_delay_alu instid0(VALU_DEP_1)
	v_dual_cndmask_b32 v31, v30, v16 :: v_dual_cndmask_b32 v30, v32, v15
	s_cmp_eq_u32 s9, 1
	s_cselect_b32 vcc_lo, -1, 0
	s_cmp_eq_u32 s9, 2
	v_dual_cndmask_b32 v34, v10, v12 :: v_dual_cndmask_b32 v35, v9, v11
	s_cselect_b32 vcc_lo, -1, 0
	s_cmp_eq_u32 s9, 3
	s_delay_alu instid0(VALU_DEP_1) | instskip(SKIP_2) | instid1(VALU_DEP_1)
	v_dual_cndmask_b32 v34, v34, v14 :: v_dual_cndmask_b32 v35, v35, v13
	s_cselect_b32 vcc_lo, -1, 0
	s_add_i32 s9, s0, -2
	v_dual_cndmask_b32 v39, v34, v16 :: v_dual_cndmask_b32 v38, v35, v15
	s_cmp_eq_u32 s9, 1
	s_cselect_b32 vcc_lo, -1, 0
	s_cmp_eq_u32 s9, 2
	v_fma_f64 v[25:26], v[30:31], v[36:37], v[25:26]
	ds_load_2addr_b64 v[30:33], v40 offset0:4 offset1:5
	ds_load_2addr_b64 v[34:37], v40 offset0:6 offset1:7
	s_waitcnt lgkmcnt(1)
	v_fma_f64 v[25:26], v[38:39], v[30:31], v[25:26]
	v_dual_cndmask_b32 v30, v10, v12 :: v_dual_cndmask_b32 v31, v9, v11
	s_cselect_b32 vcc_lo, -1, 0
	s_cmp_eq_u32 s9, 3
	s_delay_alu instid0(VALU_DEP_1) | instskip(NEXT) | instid1(VALU_DEP_2)
	v_cndmask_b32_e32 v30, v30, v14, vcc_lo
	v_cndmask_b32_e32 v38, v31, v13, vcc_lo
	s_cselect_b32 vcc_lo, -1, 0
	s_add_i32 s9, s0, -1
	s_delay_alu instid0(VALU_DEP_2) | instskip(NEXT) | instid1(VALU_DEP_2)
	v_cndmask_b32_e32 v31, v30, v16, vcc_lo
	v_cndmask_b32_e32 v30, v38, v15, vcc_lo
	s_cmp_eq_u32 s9, 1
	s_cselect_b32 vcc_lo, -1, 0
	s_cmp_eq_u32 s9, 2
	s_delay_alu instid0(VALU_DEP_1) | instskip(SKIP_3) | instid1(VALU_DEP_1)
	v_fma_f64 v[25:26], v[30:31], v[32:33], v[25:26]
	v_dual_cndmask_b32 v30, v10, v12 :: v_dual_cndmask_b32 v31, v9, v11
	s_cselect_b32 vcc_lo, -1, 0
	s_cmp_eq_u32 s9, 3
	v_cndmask_b32_e32 v30, v30, v14, vcc_lo
	s_delay_alu instid0(VALU_DEP_2) | instskip(SKIP_2) | instid1(VALU_DEP_1)
	v_cndmask_b32_e32 v32, v31, v13, vcc_lo
	s_cselect_b32 vcc_lo, -1, 0
	s_cmp_eq_u32 s0, 1
	v_dual_cndmask_b32 v31, v30, v16 :: v_dual_cndmask_b32 v30, v32, v15
	s_cselect_b32 vcc_lo, -1, 0
	s_cmp_eq_u32 s0, 2
	s_waitcnt lgkmcnt(0)
	s_delay_alu instid0(VALU_DEP_1) | instskip(SKIP_3) | instid1(VALU_DEP_1)
	v_fma_f64 v[25:26], v[30:31], v[34:35], v[25:26]
	v_dual_cndmask_b32 v30, v10, v12 :: v_dual_cndmask_b32 v31, v9, v11
	s_cselect_b32 vcc_lo, -1, 0
	s_cmp_eq_u32 s0, 3
	v_cndmask_b32_e32 v30, v30, v14, vcc_lo
	s_delay_alu instid0(VALU_DEP_2) | instskip(SKIP_3) | instid1(VALU_DEP_1)
	v_cndmask_b32_e32 v32, v31, v13, vcc_lo
	s_cselect_b32 vcc_lo, -1, 0
	s_add_u32 s0, s0, 8
	s_addc_u32 s1, s1, 0
	v_dual_cndmask_b32 v31, v30, v16 :: v_dual_cndmask_b32 v30, v32, v15
	s_add_i32 s9, s0, -7
	s_add_i32 s8, s8, 64
	s_delay_alu instid0(VALU_DEP_1) | instskip(SKIP_1) | instid1(VALU_DEP_1)
	v_fma_f64 v[25:26], v[30:31], v[36:37], v[25:26]
	v_add_nc_u32_e32 v30, s0, v29
	v_cmp_eq_u32_e32 vcc_lo, 8, v30
	v_mov_b32_e32 v30, s9
	s_or_b32 s7, vcc_lo, s7
	s_delay_alu instid0(SALU_CYCLE_1)
	s_and_not1_b32 exec_lo, exec_lo, s7
	s_cbranch_execnz .LBB67_27
; %bb.28:
	s_or_b32 exec_lo, exec_lo, s7
.LBB67_29:
	s_delay_alu instid0(SALU_CYCLE_1) | instskip(SKIP_3) | instid1(VALU_DEP_1)
	s_or_b32 exec_lo, exec_lo, s5
	v_and_b32_e32 v28, 7, v28
	s_mov_b32 s5, 0
	s_mov_b32 s1, exec_lo
	v_cmpx_ne_u32_e32 0, v28
	s_cbranch_execz .LBB67_33
; %bb.30:
	v_lshl_add_u32 v29, v30, 3, 32
	v_mov_b32_e32 v31, 0
	.p2align	6
.LBB67_31:                              ; =>This Inner Loop Header: Depth=1
	ds_load_b64 v[32:33], v29
	v_cmp_eq_u32_e32 vcc_lo, 1, v30
	v_cmp_eq_u32_e64 s0, 2, v30
	v_add_nc_u32_e32 v28, -1, v28
	v_dual_cndmask_b32 v34, v10, v12 :: v_dual_add_nc_u32 v29, 8, v29
	v_cndmask_b32_e32 v35, v9, v11, vcc_lo
	v_cmp_eq_u32_e32 vcc_lo, 3, v30
	s_delay_alu instid0(VALU_DEP_3) | instskip(NEXT) | instid1(VALU_DEP_3)
	v_cndmask_b32_e64 v34, v34, v14, s0
	v_cndmask_b32_e64 v36, v35, v13, s0
	v_add_co_u32 v30, s0, v30, 1
	s_delay_alu instid0(VALU_DEP_1) | instskip(NEXT) | instid1(VALU_DEP_3)
	v_add_co_ci_u32_e64 v31, s0, 0, v31, s0
	v_dual_cndmask_b32 v35, v34, v16 :: v_dual_cndmask_b32 v34, v36, v15
	v_cmp_eq_u32_e32 vcc_lo, 0, v28
	s_waitcnt lgkmcnt(0)
	s_delay_alu instid0(VALU_DEP_2) | instskip(SKIP_1) | instid1(SALU_CYCLE_1)
	v_fma_f64 v[25:26], v[34:35], v[32:33], v[25:26]
	s_or_b32 s5, vcc_lo, s5
	s_and_not1_b32 exec_lo, exec_lo, s5
	s_cbranch_execnz .LBB67_31
; %bb.32:
	s_or_b32 exec_lo, exec_lo, s5
.LBB67_33:
	s_delay_alu instid0(SALU_CYCLE_1)
	s_or_b32 exec_lo, exec_lo, s1
.LBB67_34:
	s_delay_alu instid0(SALU_CYCLE_1)
	s_or_b32 exec_lo, exec_lo, s4
	v_mov_b32_e32 v9, 0
	ds_load_b64 v[9:10], v9
	s_waitcnt lgkmcnt(0)
	v_mul_f64 v[9:10], v[25:26], v[9:10]
.LBB67_35:
	s_or_b32 exec_lo, exec_lo, s3
	s_delay_alu instid0(SALU_CYCLE_1)
	s_and_b32 vcc_lo, exec_lo, s2
	s_cbranch_vccz .LBB67_61
.LBB67_36:
	v_cmp_eq_u32_e64 s0, 0, v0
	s_waitcnt vmcnt(3)
	ds_store_b64 v27, v[3:4]
	s_waitcnt vmcnt(0) lgkmcnt(0)
	s_barrier
	buffer_gl0_inv
	s_and_saveexec_b32 s1, s0
	s_cbranch_execz .LBB67_42
; %bb.37:
	s_and_b32 vcc_lo, exec_lo, s6
	s_cbranch_vccz .LBB67_39
; %bb.38:
	v_cmp_eq_u32_e32 vcc_lo, 1, v0
	ds_load_b64 v[9:10], v27
	v_dual_cndmask_b32 v4, v2, v4 :: v_dual_cndmask_b32 v3, v1, v3
	v_cmp_eq_u32_e32 vcc_lo, 2, v0
	s_delay_alu instid0(VALU_DEP_2) | instskip(SKIP_1) | instid1(VALU_DEP_2)
	v_dual_cndmask_b32 v4, v4, v6 :: v_dual_cndmask_b32 v3, v3, v5
	v_cmp_eq_u32_e32 vcc_lo, 3, v0
	v_dual_cndmask_b32 v4, v4, v8 :: v_dual_cndmask_b32 v3, v3, v7
	s_waitcnt lgkmcnt(0)
	s_delay_alu instid0(VALU_DEP_1)
	v_mul_f64 v[3:4], v[3:4], v[9:10]
	s_cbranch_execz .LBB67_40
	s_branch .LBB67_41
.LBB67_39:
                                        ; implicit-def: $vgpr3_vgpr4
.LBB67_40:
	ds_load_b64 v[3:4], v27
.LBB67_41:
	v_mov_b32_e32 v9, 0
	ds_load_b64 v[9:10], v9 offset:8
	s_waitcnt lgkmcnt(0)
	v_mul_f64 v[3:4], v[3:4], v[9:10]
.LBB67_42:
	s_or_b32 exec_lo, exec_lo, s1
	v_add_nc_u32_e32 v11, 1, v0
	v_cmp_gt_u32_e64 s1, 2, v0
	v_cndmask_b32_e64 v12, 0, 1, s6
	ds_store_b64 v27, v[5:6]
	s_waitcnt lgkmcnt(0)
	s_barrier
	buffer_gl0_inv
	s_and_saveexec_b32 s2, s1
	s_cbranch_execz .LBB67_50
; %bb.43:
	s_and_not1_b32 vcc_lo, exec_lo, s6
	s_cbranch_vccnz .LBB67_45
; %bb.44:
	v_cmp_eq_u32_e32 vcc_lo, 1, v0
	ds_load_b64 v[9:10], v27
	v_dual_cndmask_b32 v13, v2, v4 :: v_dual_cndmask_b32 v14, v1, v3
	v_cmp_eq_u32_e32 vcc_lo, 2, v0
	s_delay_alu instid0(VALU_DEP_2) | instskip(NEXT) | instid1(VALU_DEP_3)
	v_cndmask_b32_e32 v13, v13, v6, vcc_lo
	v_cndmask_b32_e32 v15, v14, v5, vcc_lo
	v_cmp_eq_u32_e32 vcc_lo, 3, v0
	s_delay_alu instid0(VALU_DEP_2) | instskip(SKIP_1) | instid1(VALU_DEP_1)
	v_dual_cndmask_b32 v14, v13, v8 :: v_dual_cndmask_b32 v13, v15, v7
	s_waitcnt lgkmcnt(0)
	v_mul_f64 v[9:10], v[13:14], v[9:10]
	s_cbranch_execz .LBB67_46
	s_branch .LBB67_47
.LBB67_45:
                                        ; implicit-def: $vgpr9_vgpr10
.LBB67_46:
	ds_load_b64 v[9:10], v27
.LBB67_47:
	s_and_saveexec_b32 s3, s0
	s_cbranch_execz .LBB67_49
; %bb.48:
	v_cmp_eq_u32_e32 vcc_lo, 1, v11
	ds_load_b64 v[13:14], v27 offset:8
	v_dual_cndmask_b32 v15, v2, v4 :: v_dual_cndmask_b32 v16, v1, v3
	v_cmp_eq_u32_e32 vcc_lo, 2, v11
	s_delay_alu instid0(VALU_DEP_2) | instskip(SKIP_1) | instid1(VALU_DEP_2)
	v_dual_cndmask_b32 v6, v15, v6 :: v_dual_cndmask_b32 v5, v16, v5
	v_cmp_eq_u32_e32 vcc_lo, 3, v11
	v_dual_cndmask_b32 v6, v6, v8 :: v_dual_cndmask_b32 v5, v5, v7
	s_waitcnt lgkmcnt(0)
	s_delay_alu instid0(VALU_DEP_1)
	v_fma_f64 v[9:10], v[5:6], v[13:14], v[9:10]
.LBB67_49:
	s_or_b32 exec_lo, exec_lo, s3
	v_mov_b32_e32 v5, 0
	ds_load_b64 v[5:6], v5 offset:16
	s_waitcnt lgkmcnt(0)
	v_mul_f64 v[5:6], v[9:10], v[5:6]
.LBB67_50:
	s_or_b32 exec_lo, exec_lo, s2
	s_delay_alu instid0(SALU_CYCLE_1)
	s_mov_b32 s2, exec_lo
	ds_store_b64 v27, v[7:8]
	s_waitcnt lgkmcnt(0)
	s_barrier
	buffer_gl0_inv
	v_cmpx_ne_u32_e32 3, v0
	s_cbranch_execz .LBB67_60
; %bb.51:
	v_cmp_ne_u32_e32 vcc_lo, 1, v12
	s_cbranch_vccnz .LBB67_53
; %bb.52:
	v_cmp_eq_u32_e32 vcc_lo, 1, v0
	ds_load_b64 v[9:10], v27
	v_dual_cndmask_b32 v12, v2, v4 :: v_dual_cndmask_b32 v13, v1, v3
	v_cmp_eq_u32_e32 vcc_lo, 2, v0
	s_delay_alu instid0(VALU_DEP_2) | instskip(NEXT) | instid1(VALU_DEP_3)
	v_cndmask_b32_e32 v12, v12, v6, vcc_lo
	v_cndmask_b32_e32 v14, v13, v5, vcc_lo
	v_cmp_eq_u32_e32 vcc_lo, 3, v0
	s_delay_alu instid0(VALU_DEP_2) | instskip(SKIP_1) | instid1(VALU_DEP_1)
	v_dual_cndmask_b32 v13, v12, v8 :: v_dual_cndmask_b32 v12, v14, v7
	s_waitcnt lgkmcnt(0)
	v_mul_f64 v[9:10], v[12:13], v[9:10]
	s_cbranch_execz .LBB67_54
	s_branch .LBB67_55
.LBB67_53:
                                        ; implicit-def: $vgpr9_vgpr10
.LBB67_54:
	ds_load_b64 v[9:10], v27
.LBB67_55:
	s_and_saveexec_b32 s3, s1
	s_cbranch_execz .LBB67_59
; %bb.56:
	v_cmp_eq_u32_e32 vcc_lo, 1, v11
	ds_load_b64 v[12:13], v27 offset:8
	v_cndmask_b32_e32 v0, v2, v4, vcc_lo
	v_cndmask_b32_e32 v14, v1, v3, vcc_lo
	v_cmp_eq_u32_e32 vcc_lo, 2, v11
	s_delay_alu instid0(VALU_DEP_2) | instskip(NEXT) | instid1(VALU_DEP_4)
	v_cndmask_b32_e32 v14, v14, v5, vcc_lo
	v_cndmask_b32_e32 v0, v0, v6, vcc_lo
	v_cmp_eq_u32_e32 vcc_lo, 3, v11
	s_delay_alu instid0(VALU_DEP_2) | instskip(SKIP_1) | instid1(VALU_DEP_1)
	v_dual_cndmask_b32 v7, v14, v7 :: v_dual_cndmask_b32 v8, v0, v8
	s_waitcnt lgkmcnt(0)
	v_fma_f64 v[9:10], v[7:8], v[12:13], v[9:10]
	s_and_saveexec_b32 s1, s0
	s_cbranch_execz .LBB67_58
; %bb.57:
	v_mov_b32_e32 v0, 0
	ds_load_b64 v[7:8], v0 offset:48
	s_waitcnt lgkmcnt(0)
	v_fma_f64 v[9:10], v[5:6], v[7:8], v[9:10]
.LBB67_58:
	s_or_b32 exec_lo, exec_lo, s1
.LBB67_59:
	s_delay_alu instid0(SALU_CYCLE_1)
	s_or_b32 exec_lo, exec_lo, s3
	v_mov_b32_e32 v0, 0
	ds_load_b64 v[7:8], v0 offset:24
	s_waitcnt lgkmcnt(0)
	v_mul_f64 v[7:8], v[9:10], v[7:8]
.LBB67_60:
	s_or_b32 exec_lo, exec_lo, s2
	s_delay_alu instid0(VALU_DEP_1)
	v_dual_mov_b32 v16, v8 :: v_dual_mov_b32 v15, v7
	v_dual_mov_b32 v14, v6 :: v_dual_mov_b32 v13, v5
	;; [unrolled: 1-line block ×4, first 2 shown]
.LBB67_61:
	s_clause 0x3
	global_store_b64 v[21:22], v[9:10], off
	global_store_b64 v[23:24], v[11:12], off
	;; [unrolled: 1-line block ×4, first 2 shown]
.LBB67_62:
	s_nop 0
	s_sendmsg sendmsg(MSG_DEALLOC_VGPRS)
	s_endpgm
	.section	.rodata,"a",@progbits
	.p2align	6, 0x0
	.amdhsa_kernel _ZN9rocsolver6v33100L18trti2_kernel_smallILi4EdPKPdEEv13rocblas_fill_17rocblas_diagonal_T1_iil
		.amdhsa_group_segment_fixed_size 64
		.amdhsa_private_segment_fixed_size 0
		.amdhsa_kernarg_size 32
		.amdhsa_user_sgpr_count 15
		.amdhsa_user_sgpr_dispatch_ptr 0
		.amdhsa_user_sgpr_queue_ptr 0
		.amdhsa_user_sgpr_kernarg_segment_ptr 1
		.amdhsa_user_sgpr_dispatch_id 0
		.amdhsa_user_sgpr_private_segment_size 0
		.amdhsa_wavefront_size32 1
		.amdhsa_uses_dynamic_stack 0
		.amdhsa_enable_private_segment 0
		.amdhsa_system_sgpr_workgroup_id_x 1
		.amdhsa_system_sgpr_workgroup_id_y 0
		.amdhsa_system_sgpr_workgroup_id_z 0
		.amdhsa_system_sgpr_workgroup_info 0
		.amdhsa_system_vgpr_workitem_id 0
		.amdhsa_next_free_vgpr 41
		.amdhsa_next_free_sgpr 16
		.amdhsa_reserve_vcc 1
		.amdhsa_float_round_mode_32 0
		.amdhsa_float_round_mode_16_64 0
		.amdhsa_float_denorm_mode_32 3
		.amdhsa_float_denorm_mode_16_64 3
		.amdhsa_dx10_clamp 1
		.amdhsa_ieee_mode 1
		.amdhsa_fp16_overflow 0
		.amdhsa_workgroup_processor_mode 1
		.amdhsa_memory_ordered 1
		.amdhsa_forward_progress 0
		.amdhsa_shared_vgpr_count 0
		.amdhsa_exception_fp_ieee_invalid_op 0
		.amdhsa_exception_fp_denorm_src 0
		.amdhsa_exception_fp_ieee_div_zero 0
		.amdhsa_exception_fp_ieee_overflow 0
		.amdhsa_exception_fp_ieee_underflow 0
		.amdhsa_exception_fp_ieee_inexact 0
		.amdhsa_exception_int_div_zero 0
	.end_amdhsa_kernel
	.section	.text._ZN9rocsolver6v33100L18trti2_kernel_smallILi4EdPKPdEEv13rocblas_fill_17rocblas_diagonal_T1_iil,"axG",@progbits,_ZN9rocsolver6v33100L18trti2_kernel_smallILi4EdPKPdEEv13rocblas_fill_17rocblas_diagonal_T1_iil,comdat
.Lfunc_end67:
	.size	_ZN9rocsolver6v33100L18trti2_kernel_smallILi4EdPKPdEEv13rocblas_fill_17rocblas_diagonal_T1_iil, .Lfunc_end67-_ZN9rocsolver6v33100L18trti2_kernel_smallILi4EdPKPdEEv13rocblas_fill_17rocblas_diagonal_T1_iil
                                        ; -- End function
	.section	.AMDGPU.csdata,"",@progbits
; Kernel info:
; codeLenInByte = 2804
; NumSgprs: 18
; NumVgprs: 41
; ScratchSize: 0
; MemoryBound: 0
; FloatMode: 240
; IeeeMode: 1
; LDSByteSize: 64 bytes/workgroup (compile time only)
; SGPRBlocks: 2
; VGPRBlocks: 5
; NumSGPRsForWavesPerEU: 18
; NumVGPRsForWavesPerEU: 41
; Occupancy: 16
; WaveLimiterHint : 1
; COMPUTE_PGM_RSRC2:SCRATCH_EN: 0
; COMPUTE_PGM_RSRC2:USER_SGPR: 15
; COMPUTE_PGM_RSRC2:TRAP_HANDLER: 0
; COMPUTE_PGM_RSRC2:TGID_X_EN: 1
; COMPUTE_PGM_RSRC2:TGID_Y_EN: 0
; COMPUTE_PGM_RSRC2:TGID_Z_EN: 0
; COMPUTE_PGM_RSRC2:TIDIG_COMP_CNT: 0
	.section	.text._ZN9rocsolver6v33100L18trti2_kernel_smallILi5EdPKPdEEv13rocblas_fill_17rocblas_diagonal_T1_iil,"axG",@progbits,_ZN9rocsolver6v33100L18trti2_kernel_smallILi5EdPKPdEEv13rocblas_fill_17rocblas_diagonal_T1_iil,comdat
	.globl	_ZN9rocsolver6v33100L18trti2_kernel_smallILi5EdPKPdEEv13rocblas_fill_17rocblas_diagonal_T1_iil ; -- Begin function _ZN9rocsolver6v33100L18trti2_kernel_smallILi5EdPKPdEEv13rocblas_fill_17rocblas_diagonal_T1_iil
	.p2align	8
	.type	_ZN9rocsolver6v33100L18trti2_kernel_smallILi5EdPKPdEEv13rocblas_fill_17rocblas_diagonal_T1_iil,@function
_ZN9rocsolver6v33100L18trti2_kernel_smallILi5EdPKPdEEv13rocblas_fill_17rocblas_diagonal_T1_iil: ; @_ZN9rocsolver6v33100L18trti2_kernel_smallILi5EdPKPdEEv13rocblas_fill_17rocblas_diagonal_T1_iil
; %bb.0:
	s_mov_b32 s3, exec_lo
	v_cmpx_gt_u32_e32 5, v0
	s_cbranch_execz .LBB68_88
; %bb.1:
	s_clause 0x1
	s_load_b64 s[4:5], s[0:1], 0x10
	s_load_b128 s[8:11], s[0:1], 0x0
	s_mov_b32 s2, s15
	s_ashr_i32 s3, s15, 31
	v_mov_b32_e32 v17, 0
	s_lshl_b64 s[0:1], s[2:3], 3
	v_lshlrev_b32_e32 v19, 3, v0
	v_dual_mov_b32 v43, 0 :: v_dual_mov_b32 v18, 0xbff00000
	s_waitcnt lgkmcnt(0)
	s_ashr_i32 s3, s4, 31
	s_add_u32 s0, s10, s0
	s_addc_u32 s1, s11, s1
	v_add3_u32 v1, s5, s5, v0
	s_load_b64 s[0:1], s[0:1], 0x0
	s_mov_b32 s2, s4
	s_mov_b32 s4, s5
	s_lshl_b64 s[2:3], s[2:3], 3
	v_add_nc_u32_e32 v3, s5, v1
	v_ashrrev_i32_e32 v2, 31, v1
	s_delay_alu instid0(VALU_DEP_2) | instskip(SKIP_1) | instid1(VALU_DEP_3)
	v_ashrrev_i32_e32 v4, 31, v3
	v_add_nc_u32_e32 v5, s5, v3
	v_lshlrev_b64 v[1:2], 3, v[1:2]
	s_delay_alu instid0(VALU_DEP_3) | instskip(NEXT) | instid1(VALU_DEP_3)
	v_lshlrev_b64 v[3:4], 3, v[3:4]
	v_ashrrev_i32_e32 v6, 31, v5
	s_delay_alu instid0(VALU_DEP_1)
	v_lshlrev_b64 v[5:6], 3, v[5:6]
	s_waitcnt lgkmcnt(0)
	s_add_u32 s0, s0, s2
	s_addc_u32 s1, s1, s3
	v_add_co_u32 v37, vcc_lo, s0, v1
	v_add_co_u32 v39, s2, s0, v19
	s_ashr_i32 s5, s5, 31
	v_add_co_ci_u32_e32 v38, vcc_lo, s1, v2, vcc_lo
	v_add_co_ci_u32_e64 v40, null, s1, 0, s2
	v_add_co_u32 v35, vcc_lo, s0, v3
	s_lshl_b64 s[2:3], s[4:5], 3
	v_add_co_ci_u32_e32 v36, vcc_lo, s1, v4, vcc_lo
	v_add_co_u32 v41, vcc_lo, v39, s2
	v_add_co_ci_u32_e32 v42, vcc_lo, s3, v40, vcc_lo
	v_add_co_u32 v33, vcc_lo, s0, v5
	v_add_co_ci_u32_e32 v34, vcc_lo, s1, v6, vcc_lo
	s_clause 0x4
	global_load_b64 v[1:2], v19, s[0:1]
	global_load_b64 v[3:4], v[41:42], off
	global_load_b64 v[5:6], v[37:38], off
	global_load_b64 v[7:8], v[35:36], off
	global_load_b64 v[9:10], v[33:34], off
	v_cmp_eq_u32_e64 s0, 0, v0
	s_cmpk_lg_i32 s9, 0x84
	s_cselect_b32 s5, -1, 0
	s_cmpk_eq_i32 s9, 0x84
	s_cbranch_scc1 .LBB68_3
; %bb.2:
	v_cmp_eq_u32_e64 s1, 1, v0
	v_cmp_eq_u32_e64 s2, 2, v0
	;; [unrolled: 1-line block ×4, first 2 shown]
	s_waitcnt vmcnt(3)
	v_cndmask_b32_e64 v11, v2, v4, s1
	v_cndmask_b32_e64 v12, v1, v3, s1
	s_waitcnt vmcnt(2)
	s_delay_alu instid0(VALU_DEP_2) | instskip(NEXT) | instid1(VALU_DEP_2)
	v_cndmask_b32_e64 v11, v11, v6, s2
	v_cndmask_b32_e64 v12, v12, v5, s2
	s_waitcnt vmcnt(1)
	s_delay_alu instid0(VALU_DEP_2) | instskip(NEXT) | instid1(VALU_DEP_2)
	;; [unrolled: 4-line block ×3, first 2 shown]
	v_cndmask_b32_e64 v12, v11, v10, s4
	v_cndmask_b32_e64 v11, v13, v9, s4
	s_delay_alu instid0(VALU_DEP_1) | instskip(SKIP_1) | instid1(VALU_DEP_2)
	v_div_scale_f64 v[13:14], null, v[11:12], v[11:12], 1.0
	v_div_scale_f64 v[20:21], vcc_lo, 1.0, v[11:12], 1.0
	v_rcp_f64_e32 v[15:16], v[13:14]
	s_waitcnt_depctr 0xfff
	v_fma_f64 v[17:18], -v[13:14], v[15:16], 1.0
	s_delay_alu instid0(VALU_DEP_1) | instskip(NEXT) | instid1(VALU_DEP_1)
	v_fma_f64 v[15:16], v[15:16], v[17:18], v[15:16]
	v_fma_f64 v[17:18], -v[13:14], v[15:16], 1.0
	s_delay_alu instid0(VALU_DEP_1) | instskip(NEXT) | instid1(VALU_DEP_1)
	v_fma_f64 v[15:16], v[15:16], v[17:18], v[15:16]
	v_mul_f64 v[17:18], v[20:21], v[15:16]
	s_delay_alu instid0(VALU_DEP_1) | instskip(NEXT) | instid1(VALU_DEP_1)
	v_fma_f64 v[13:14], -v[13:14], v[17:18], v[20:21]
	v_div_fmas_f64 v[13:14], v[13:14], v[15:16], v[17:18]
	s_delay_alu instid0(VALU_DEP_1) | instskip(NEXT) | instid1(VALU_DEP_1)
	v_div_fixup_f64 v[17:18], v[13:14], v[11:12], 1.0
	v_cndmask_b32_e64 v10, v10, v18, s4
	s_delay_alu instid0(VALU_DEP_2)
	v_cndmask_b32_e64 v9, v9, v17, s4
	v_cndmask_b32_e64 v8, v8, v18, s3
	;; [unrolled: 1-line block ×9, first 2 shown]
	v_xor_b32_e32 v18, 0x80000000, v18
.LBB68_3:
	v_add_nc_u32_e32 v44, 48, v19
	s_cmpk_eq_i32 s8, 0x79
	ds_store_b64 v19, v[17:18]
	s_cbranch_scc1 .LBB68_7
; %bb.4:
	s_waitcnt vmcnt(0)
	v_dual_mov_b32 v32, v16 :: v_dual_mov_b32 v31, v15
	v_dual_mov_b32 v26, v10 :: v_dual_mov_b32 v25, v9
	;; [unrolled: 1-line block ×6, first 2 shown]
	v_cmp_eq_u32_e64 s0, 4, v0
	v_dual_mov_b32 v30, v14 :: v_dual_mov_b32 v29, v13
	v_dual_mov_b32 v28, v12 :: v_dual_mov_b32 v27, v11
	ds_store_b64 v44, v[7:8]
	s_waitcnt lgkmcnt(0)
	s_barrier
	buffer_gl0_inv
	s_and_saveexec_b32 s1, s0
	s_cbranch_execz .LBB68_11
; %bb.5:
	s_and_b32 vcc_lo, exec_lo, s5
	s_cbranch_vccz .LBB68_8
; %bb.6:
	v_cmp_eq_u32_e32 vcc_lo, 1, v0
	ds_load_b64 v[17:18], v44
	v_dual_cndmask_b32 v19, v2, v4 :: v_dual_cndmask_b32 v20, v1, v3
	v_cmp_eq_u32_e32 vcc_lo, 2, v0
	s_delay_alu instid0(VALU_DEP_2) | instskip(SKIP_1) | instid1(VALU_DEP_2)
	v_dual_cndmask_b32 v19, v19, v6 :: v_dual_cndmask_b32 v20, v20, v5
	v_cmp_eq_u32_e32 vcc_lo, 3, v0
	v_cndmask_b32_e32 v19, v19, v8, vcc_lo
	s_delay_alu instid0(VALU_DEP_3) | instskip(SKIP_1) | instid1(VALU_DEP_2)
	v_cndmask_b32_e32 v21, v20, v7, vcc_lo
	v_cmp_eq_u32_e32 vcc_lo, 4, v0
	v_dual_cndmask_b32 v20, v19, v10 :: v_dual_cndmask_b32 v19, v21, v9
	s_waitcnt lgkmcnt(0)
	s_delay_alu instid0(VALU_DEP_1)
	v_mul_f64 v[17:18], v[19:20], v[17:18]
	s_cbranch_execz .LBB68_9
	s_branch .LBB68_10
.LBB68_7:
                                        ; implicit-def: $vgpr17_vgpr18_vgpr19_vgpr20_vgpr21_vgpr22_vgpr23_vgpr24_vgpr25_vgpr26_vgpr27_vgpr28_vgpr29_vgpr30_vgpr31_vgpr32
	s_cbranch_execnz .LBB68_52
	s_branch .LBB68_87
.LBB68_8:
                                        ; implicit-def: $vgpr17_vgpr18
.LBB68_9:
	ds_load_b64 v[17:18], v44
.LBB68_10:
	v_mov_b32_e32 v19, 0
	v_dual_mov_b32 v21, v5 :: v_dual_mov_b32 v26, v10
	v_dual_mov_b32 v25, v9 :: v_dual_mov_b32 v22, v6
	ds_load_b64 v[19:20], v19 offset:24
	s_waitcnt lgkmcnt(0)
	v_mul_f64 v[23:24], v[17:18], v[19:20]
	v_dual_mov_b32 v17, v1 :: v_dual_mov_b32 v20, v4
	v_dual_mov_b32 v18, v2 :: v_dual_mov_b32 v19, v3
.LBB68_11:
	s_or_b32 exec_lo, exec_lo, s1
	v_cmp_lt_u32_e64 s1, 2, v0
	ds_store_b64 v44, v[21:22]
	s_waitcnt lgkmcnt(0)
	s_barrier
	buffer_gl0_inv
	s_and_saveexec_b32 s2, s1
	s_cbranch_execz .LBB68_19
; %bb.12:
	s_and_not1_b32 vcc_lo, exec_lo, s5
	s_cbranch_vccnz .LBB68_14
; %bb.13:
	v_cmp_eq_u32_e32 vcc_lo, 1, v0
	ds_load_b64 v[27:28], v44
	v_dual_cndmask_b32 v29, v18, v20 :: v_dual_cndmask_b32 v30, v17, v19
	v_cmp_eq_u32_e32 vcc_lo, 2, v0
	s_delay_alu instid0(VALU_DEP_2) | instskip(SKIP_1) | instid1(VALU_DEP_2)
	v_dual_cndmask_b32 v22, v29, v22 :: v_dual_cndmask_b32 v21, v30, v21
	v_cmp_eq_u32_e32 vcc_lo, 3, v0
	v_dual_cndmask_b32 v22, v22, v24 :: v_dual_cndmask_b32 v21, v21, v23
	v_cmp_eq_u32_e32 vcc_lo, 4, v0
	s_delay_alu instid0(VALU_DEP_2) | instskip(SKIP_1) | instid1(VALU_DEP_1)
	v_dual_cndmask_b32 v22, v22, v26 :: v_dual_cndmask_b32 v21, v21, v25
	s_waitcnt lgkmcnt(0)
	v_mul_f64 v[21:22], v[21:22], v[27:28]
	s_cbranch_execz .LBB68_15
	s_branch .LBB68_16
.LBB68_14:
                                        ; implicit-def: $vgpr21_vgpr22
.LBB68_15:
	ds_load_b64 v[21:22], v44
.LBB68_16:
	s_and_saveexec_b32 s3, s0
	s_cbranch_execz .LBB68_18
; %bb.17:
	v_mov_b32_e32 v27, 0
	ds_load_b64 v[27:28], v27 offset:72
	s_waitcnt lgkmcnt(0)
	v_fma_f64 v[21:22], v[23:24], v[27:28], v[21:22]
.LBB68_18:
	s_or_b32 exec_lo, exec_lo, s3
	v_mov_b32_e32 v27, 0
	ds_load_b64 v[27:28], v27 offset:16
	s_waitcnt lgkmcnt(0)
	v_mul_f64 v[21:22], v[21:22], v[27:28]
.LBB68_19:
	s_or_b32 exec_lo, exec_lo, s2
	v_cmp_lt_u32_e64 s0, 1, v0
	ds_store_b64 v44, v[19:20]
	s_waitcnt lgkmcnt(0)
	s_barrier
	buffer_gl0_inv
	s_and_saveexec_b32 s4, s0
	s_cbranch_execz .LBB68_35
; %bb.20:
	s_and_not1_b32 vcc_lo, exec_lo, s5
	s_cbranch_vccnz .LBB68_22
; %bb.21:
	v_cmp_eq_u32_e32 vcc_lo, 1, v0
	ds_load_b64 v[27:28], v44
	v_dual_cndmask_b32 v29, v18, v20 :: v_dual_cndmask_b32 v30, v17, v19
	v_cmp_eq_u32_e32 vcc_lo, 2, v0
	s_delay_alu instid0(VALU_DEP_2) | instskip(SKIP_1) | instid1(VALU_DEP_2)
	v_dual_cndmask_b32 v29, v29, v22 :: v_dual_cndmask_b32 v30, v30, v21
	v_cmp_eq_u32_e32 vcc_lo, 3, v0
	v_cndmask_b32_e32 v29, v29, v24, vcc_lo
	s_delay_alu instid0(VALU_DEP_3) | instskip(SKIP_1) | instid1(VALU_DEP_2)
	v_cndmask_b32_e32 v31, v30, v23, vcc_lo
	v_cmp_eq_u32_e32 vcc_lo, 4, v0
	v_dual_cndmask_b32 v30, v29, v26 :: v_dual_cndmask_b32 v29, v31, v25
	s_waitcnt lgkmcnt(0)
	s_delay_alu instid0(VALU_DEP_1)
	v_mul_f64 v[27:28], v[29:30], v[27:28]
	s_cbranch_execz .LBB68_23
	s_branch .LBB68_24
.LBB68_22:
                                        ; implicit-def: $vgpr27_vgpr28
.LBB68_23:
	ds_load_b64 v[27:28], v44
.LBB68_24:
	s_and_saveexec_b32 s6, s1
	s_cbranch_execz .LBB68_34
; %bb.25:
	v_dual_mov_b32 v31, 2 :: v_dual_add_nc_u32 v30, -3, v0
	v_add_nc_u32_e32 v29, -2, v0
	s_mov_b32 s1, exec_lo
	s_delay_alu instid0(VALU_DEP_2)
	v_cmpx_lt_u32_e32 6, v30
	s_cbranch_execz .LBB68_29
; %bb.26:
	s_delay_alu instid0(VALU_DEP_2) | instskip(SKIP_3) | instid1(VALU_DEP_1)
	v_and_b32_e32 v30, -8, v29
	s_mov_b32 s7, 0
	s_mov_b64 s[2:3], 9
	s_mov_b32 s8, 64
	v_sub_nc_u32_e32 v30, 0, v30
.LBB68_27:                              ; =>This Inner Loop Header: Depth=1
	s_add_i32 s9, s2, -7
	s_delay_alu instid0(SALU_CYCLE_1)
	s_cmp_eq_u32 s9, 1
	s_cselect_b32 vcc_lo, -1, 0
	v_dual_mov_b32 v53, s8 :: v_dual_cndmask_b32 v32, v17, v19
	v_cndmask_b32_e32 v31, v18, v20, vcc_lo
	s_cmp_eq_u32 s9, 2
	ds_load_b128 v[45:48], v53
	s_cselect_b32 vcc_lo, -1, 0
	s_cmp_eq_u32 s9, 3
	v_dual_cndmask_b32 v32, v32, v21 :: v_dual_cndmask_b32 v31, v31, v22
	s_cselect_b32 vcc_lo, -1, 0
	s_cmp_eq_u32 s9, 4
	s_delay_alu instid0(VALU_DEP_1) | instskip(NEXT) | instid1(VALU_DEP_2)
	v_cndmask_b32_e32 v31, v31, v24, vcc_lo
	v_cndmask_b32_e32 v49, v32, v23, vcc_lo
	s_cselect_b32 vcc_lo, -1, 0
	s_add_i32 s9, s2, -6
	s_delay_alu instid0(VALU_DEP_1)
	v_dual_cndmask_b32 v32, v31, v26 :: v_dual_cndmask_b32 v31, v49, v25
	ds_load_b128 v[49:52], v53 offset:16
	s_cmp_eq_u32 s9, 1
	s_cselect_b32 vcc_lo, -1, 0
	s_waitcnt lgkmcnt(1)
	v_fma_f64 v[27:28], v[31:32], v[45:46], v[27:28]
	v_dual_cndmask_b32 v31, v18, v20 :: v_dual_cndmask_b32 v32, v17, v19
	s_cmp_eq_u32 s9, 2
	s_cselect_b32 vcc_lo, -1, 0
	s_cmp_eq_u32 s9, 3
	s_delay_alu instid0(VALU_DEP_1) | instskip(SKIP_2) | instid1(VALU_DEP_1)
	v_dual_cndmask_b32 v31, v31, v22 :: v_dual_cndmask_b32 v32, v32, v21
	s_cselect_b32 vcc_lo, -1, 0
	s_cmp_eq_u32 s9, 4
	v_cndmask_b32_e32 v31, v31, v24, vcc_lo
	s_delay_alu instid0(VALU_DEP_2) | instskip(SKIP_2) | instid1(VALU_DEP_1)
	v_cndmask_b32_e32 v45, v32, v23, vcc_lo
	s_cselect_b32 vcc_lo, -1, 0
	s_add_i32 s9, s2, -5
	v_dual_cndmask_b32 v32, v31, v26 :: v_dual_cndmask_b32 v31, v45, v25
	s_cmp_eq_u32 s9, 1
	s_cselect_b32 vcc_lo, -1, 0
	s_cmp_eq_u32 s9, 2
	s_delay_alu instid0(VALU_DEP_1) | instskip(SKIP_3) | instid1(VALU_DEP_1)
	v_fma_f64 v[27:28], v[31:32], v[47:48], v[27:28]
	v_dual_cndmask_b32 v31, v18, v20 :: v_dual_cndmask_b32 v32, v17, v19
	s_cselect_b32 vcc_lo, -1, 0
	s_cmp_eq_u32 s9, 3
	v_dual_cndmask_b32 v31, v31, v22 :: v_dual_cndmask_b32 v32, v32, v21
	s_cselect_b32 vcc_lo, -1, 0
	s_cmp_eq_u32 s9, 4
	s_delay_alu instid0(VALU_DEP_1) | instskip(NEXT) | instid1(VALU_DEP_2)
	v_cndmask_b32_e32 v31, v31, v24, vcc_lo
	v_cndmask_b32_e32 v45, v32, v23, vcc_lo
	s_cselect_b32 vcc_lo, -1, 0
	s_add_i32 s9, s2, -4
	s_delay_alu instid0(VALU_DEP_1)
	v_dual_cndmask_b32 v32, v31, v26 :: v_dual_cndmask_b32 v31, v45, v25
	s_cmp_eq_u32 s9, 1
	s_cselect_b32 vcc_lo, -1, 0
	s_cmp_eq_u32 s9, 2
	s_waitcnt lgkmcnt(0)
	v_fma_f64 v[27:28], v[31:32], v[49:50], v[27:28]
	v_dual_cndmask_b32 v31, v18, v20 :: v_dual_cndmask_b32 v32, v17, v19
	s_cselect_b32 vcc_lo, -1, 0
	s_cmp_eq_u32 s9, 3
	s_delay_alu instid0(VALU_DEP_1) | instskip(SKIP_2) | instid1(VALU_DEP_1)
	v_dual_cndmask_b32 v31, v31, v22 :: v_dual_cndmask_b32 v32, v32, v21
	s_cselect_b32 vcc_lo, -1, 0
	s_cmp_eq_u32 s9, 4
	v_cndmask_b32_e32 v31, v31, v24, vcc_lo
	s_delay_alu instid0(VALU_DEP_2) | instskip(SKIP_2) | instid1(VALU_DEP_1)
	v_cndmask_b32_e32 v45, v32, v23, vcc_lo
	s_cselect_b32 vcc_lo, -1, 0
	s_add_i32 s9, s2, -3
	v_dual_cndmask_b32 v32, v31, v26 :: v_dual_cndmask_b32 v31, v45, v25
	s_cmp_eq_u32 s9, 1
	ds_load_b128 v[45:48], v53 offset:32
	s_cselect_b32 vcc_lo, -1, 0
	s_cmp_eq_u32 s9, 2
	v_fma_f64 v[27:28], v[31:32], v[51:52], v[27:28]
	v_dual_cndmask_b32 v31, v18, v20 :: v_dual_cndmask_b32 v32, v17, v19
	s_cselect_b32 vcc_lo, -1, 0
	s_cmp_eq_u32 s9, 3
	s_delay_alu instid0(VALU_DEP_1) | instskip(SKIP_2) | instid1(VALU_DEP_1)
	v_dual_cndmask_b32 v31, v31, v22 :: v_dual_cndmask_b32 v32, v32, v21
	s_cselect_b32 vcc_lo, -1, 0
	s_cmp_eq_u32 s9, 4
	v_cndmask_b32_e32 v31, v31, v24, vcc_lo
	s_delay_alu instid0(VALU_DEP_2) | instskip(SKIP_2) | instid1(VALU_DEP_1)
	v_cndmask_b32_e32 v49, v32, v23, vcc_lo
	s_cselect_b32 vcc_lo, -1, 0
	s_add_i32 s9, s2, -2
	v_dual_cndmask_b32 v32, v31, v26 :: v_dual_cndmask_b32 v31, v49, v25
	ds_load_b128 v[49:52], v53 offset:48
	s_cmp_eq_u32 s9, 1
	s_cselect_b32 vcc_lo, -1, 0
	s_cmp_eq_u32 s9, 2
	s_waitcnt lgkmcnt(1)
	v_fma_f64 v[27:28], v[31:32], v[45:46], v[27:28]
	v_dual_cndmask_b32 v31, v18, v20 :: v_dual_cndmask_b32 v32, v17, v19
	s_cselect_b32 vcc_lo, -1, 0
	s_cmp_eq_u32 s9, 3
	s_delay_alu instid0(VALU_DEP_1) | instskip(SKIP_2) | instid1(VALU_DEP_1)
	v_dual_cndmask_b32 v31, v31, v22 :: v_dual_cndmask_b32 v32, v32, v21
	s_cselect_b32 vcc_lo, -1, 0
	s_cmp_eq_u32 s9, 4
	v_cndmask_b32_e32 v31, v31, v24, vcc_lo
	s_delay_alu instid0(VALU_DEP_2) | instskip(SKIP_2) | instid1(VALU_DEP_1)
	v_cndmask_b32_e32 v45, v32, v23, vcc_lo
	s_cselect_b32 vcc_lo, -1, 0
	s_add_i32 s9, s2, -1
	v_dual_cndmask_b32 v32, v31, v26 :: v_dual_cndmask_b32 v31, v45, v25
	s_cmp_eq_u32 s9, 1
	s_cselect_b32 vcc_lo, -1, 0
	s_cmp_eq_u32 s9, 2
	s_delay_alu instid0(VALU_DEP_1) | instskip(SKIP_3) | instid1(VALU_DEP_1)
	v_fma_f64 v[27:28], v[31:32], v[47:48], v[27:28]
	v_dual_cndmask_b32 v31, v18, v20 :: v_dual_cndmask_b32 v32, v17, v19
	s_cselect_b32 vcc_lo, -1, 0
	s_cmp_eq_u32 s9, 3
	v_dual_cndmask_b32 v31, v31, v22 :: v_dual_cndmask_b32 v32, v32, v21
	s_cselect_b32 vcc_lo, -1, 0
	s_cmp_eq_u32 s9, 4
	s_delay_alu instid0(VALU_DEP_1) | instskip(NEXT) | instid1(VALU_DEP_2)
	v_cndmask_b32_e32 v31, v31, v24, vcc_lo
	v_cndmask_b32_e32 v45, v32, v23, vcc_lo
	s_cselect_b32 vcc_lo, -1, 0
	s_cmp_eq_u32 s2, 1
	s_delay_alu instid0(VALU_DEP_1) | instskip(SKIP_3) | instid1(VALU_DEP_1)
	v_dual_cndmask_b32 v32, v31, v26 :: v_dual_cndmask_b32 v31, v45, v25
	s_cselect_b32 vcc_lo, -1, 0
	s_cmp_eq_u32 s2, 2
	s_waitcnt lgkmcnt(0)
	v_fma_f64 v[27:28], v[31:32], v[49:50], v[27:28]
	v_dual_cndmask_b32 v31, v18, v20 :: v_dual_cndmask_b32 v32, v17, v19
	s_cselect_b32 vcc_lo, -1, 0
	s_cmp_eq_u32 s2, 3
	s_delay_alu instid0(VALU_DEP_1) | instskip(SKIP_2) | instid1(VALU_DEP_1)
	v_dual_cndmask_b32 v31, v31, v22 :: v_dual_cndmask_b32 v32, v32, v21
	s_cselect_b32 vcc_lo, -1, 0
	s_cmp_eq_u32 s2, 4
	v_cndmask_b32_e32 v31, v31, v24, vcc_lo
	s_delay_alu instid0(VALU_DEP_2) | instskip(SKIP_3) | instid1(VALU_DEP_1)
	v_cndmask_b32_e32 v45, v32, v23, vcc_lo
	s_cselect_b32 vcc_lo, -1, 0
	s_add_u32 s2, s2, 8
	s_addc_u32 s3, s3, 0
	v_dual_cndmask_b32 v32, v31, v26 :: v_dual_cndmask_b32 v31, v45, v25
	s_add_i32 s9, s2, -7
	s_add_i32 s8, s8, 64
	s_delay_alu instid0(VALU_DEP_1) | instskip(SKIP_1) | instid1(VALU_DEP_1)
	v_fma_f64 v[27:28], v[31:32], v[51:52], v[27:28]
	v_add_nc_u32_e32 v31, s2, v30
	v_cmp_eq_u32_e32 vcc_lo, 9, v31
	v_mov_b32_e32 v31, s9
	s_or_b32 s7, vcc_lo, s7
	s_delay_alu instid0(SALU_CYCLE_1)
	s_and_not1_b32 exec_lo, exec_lo, s7
	s_cbranch_execnz .LBB68_27
; %bb.28:
	s_or_b32 exec_lo, exec_lo, s7
.LBB68_29:
	s_delay_alu instid0(SALU_CYCLE_1) | instskip(SKIP_3) | instid1(VALU_DEP_1)
	s_or_b32 exec_lo, exec_lo, s1
	v_and_b32_e32 v29, 7, v29
	s_mov_b32 s3, 0
	s_mov_b32 s2, exec_lo
	v_cmpx_ne_u32_e32 0, v29
	s_cbranch_execz .LBB68_33
; %bb.30:
	v_lshl_add_u32 v30, v31, 3, 48
	v_mov_b32_e32 v32, 0
	.p2align	6
.LBB68_31:                              ; =>This Inner Loop Header: Depth=1
	v_cmp_eq_u32_e32 vcc_lo, 1, v31
	ds_load_b64 v[45:46], v30
	v_cmp_eq_u32_e64 s1, 2, v31
	v_add_nc_u32_e32 v29, -1, v29
	v_dual_cndmask_b32 v47, v18, v20 :: v_dual_add_nc_u32 v30, 8, v30
	v_cndmask_b32_e32 v48, v17, v19, vcc_lo
	v_cmp_eq_u32_e32 vcc_lo, 3, v31
	s_delay_alu instid0(VALU_DEP_3) | instskip(NEXT) | instid1(VALU_DEP_3)
	v_cndmask_b32_e64 v47, v47, v22, s1
	v_cndmask_b32_e64 v48, v48, v21, s1
	v_cmp_eq_u32_e64 s1, 4, v31
	s_delay_alu instid0(VALU_DEP_3) | instskip(NEXT) | instid1(VALU_DEP_3)
	v_cndmask_b32_e32 v47, v47, v24, vcc_lo
	v_cndmask_b32_e32 v49, v48, v23, vcc_lo
	v_cmp_eq_u32_e32 vcc_lo, 0, v29
	s_delay_alu instid0(VALU_DEP_3) | instskip(NEXT) | instid1(VALU_DEP_3)
	v_cndmask_b32_e64 v48, v47, v26, s1
	v_cndmask_b32_e64 v47, v49, v25, s1
	v_add_co_u32 v31, s1, v31, 1
	s_delay_alu instid0(VALU_DEP_1) | instskip(SKIP_1) | instid1(VALU_DEP_3)
	v_add_co_ci_u32_e64 v32, s1, 0, v32, s1
	s_waitcnt lgkmcnt(0)
	v_fma_f64 v[27:28], v[47:48], v[45:46], v[27:28]
	s_or_b32 s3, vcc_lo, s3
	s_delay_alu instid0(SALU_CYCLE_1)
	s_and_not1_b32 exec_lo, exec_lo, s3
	s_cbranch_execnz .LBB68_31
; %bb.32:
	s_or_b32 exec_lo, exec_lo, s3
.LBB68_33:
	s_delay_alu instid0(SALU_CYCLE_1)
	s_or_b32 exec_lo, exec_lo, s2
.LBB68_34:
	s_delay_alu instid0(SALU_CYCLE_1)
	s_or_b32 exec_lo, exec_lo, s6
	v_mov_b32_e32 v19, 0
	ds_load_b64 v[19:20], v19 offset:8
	s_waitcnt lgkmcnt(0)
	v_mul_f64 v[19:20], v[27:28], v[19:20]
.LBB68_35:
	s_or_b32 exec_lo, exec_lo, s4
	s_mov_b32 s2, 0
	s_mov_b32 s3, exec_lo
	ds_store_b64 v44, v[17:18]
	s_waitcnt lgkmcnt(0)
	s_barrier
	buffer_gl0_inv
	v_cmpx_ne_u32_e32 0, v0
	s_cbranch_execz .LBB68_51
; %bb.36:
	s_and_not1_b32 vcc_lo, exec_lo, s5
	s_cbranch_vccnz .LBB68_38
; %bb.37:
	v_cmp_eq_u32_e32 vcc_lo, 1, v0
	ds_load_b64 v[27:28], v44
	v_dual_cndmask_b32 v29, v18, v20 :: v_dual_cndmask_b32 v30, v17, v19
	v_cmp_eq_u32_e32 vcc_lo, 2, v0
	s_delay_alu instid0(VALU_DEP_2) | instskip(SKIP_1) | instid1(VALU_DEP_2)
	v_dual_cndmask_b32 v29, v29, v22 :: v_dual_cndmask_b32 v30, v30, v21
	v_cmp_eq_u32_e32 vcc_lo, 3, v0
	v_cndmask_b32_e32 v29, v29, v24, vcc_lo
	s_delay_alu instid0(VALU_DEP_3) | instskip(SKIP_1) | instid1(VALU_DEP_2)
	v_cndmask_b32_e32 v31, v30, v23, vcc_lo
	v_cmp_eq_u32_e32 vcc_lo, 4, v0
	v_dual_cndmask_b32 v30, v29, v26 :: v_dual_cndmask_b32 v29, v31, v25
	s_waitcnt lgkmcnt(0)
	s_delay_alu instid0(VALU_DEP_1)
	v_mul_f64 v[27:28], v[29:30], v[27:28]
	s_cbranch_execz .LBB68_39
	s_branch .LBB68_40
.LBB68_38:
                                        ; implicit-def: $vgpr27_vgpr28
.LBB68_39:
	ds_load_b64 v[27:28], v44
.LBB68_40:
	s_and_saveexec_b32 s4, s0
	s_cbranch_execz .LBB68_50
; %bb.41:
	v_dual_mov_b32 v31, 1 :: v_dual_add_nc_u32 v30, -2, v0
	v_add_nc_u32_e32 v29, -1, v0
	s_mov_b32 s6, exec_lo
	s_delay_alu instid0(VALU_DEP_2)
	v_cmpx_lt_u32_e32 6, v30
	s_cbranch_execz .LBB68_45
; %bb.42:
	s_delay_alu instid0(VALU_DEP_2) | instskip(SKIP_3) | instid1(VALU_DEP_1)
	v_and_b32_e32 v30, -8, v29
	s_mov_b32 s7, 0
	s_mov_b64 s[0:1], 8
	s_mov_b32 s8, 56
	v_sub_nc_u32_e32 v30, 0, v30
.LBB68_43:                              ; =>This Inner Loop Header: Depth=1
	s_add_i32 s9, s0, -7
	s_delay_alu instid0(SALU_CYCLE_1)
	s_cmp_eq_u32 s9, 1
	s_cselect_b32 vcc_lo, -1, 0
	v_dual_mov_b32 v53, s8 :: v_dual_cndmask_b32 v32, v17, v19
	v_cndmask_b32_e32 v31, v18, v20, vcc_lo
	s_cmp_eq_u32 s9, 2
	ds_load_2addr_b64 v[45:48], v53 offset1:1
	s_cselect_b32 vcc_lo, -1, 0
	s_cmp_eq_u32 s9, 3
	v_dual_cndmask_b32 v32, v32, v21 :: v_dual_cndmask_b32 v31, v31, v22
	s_cselect_b32 vcc_lo, -1, 0
	s_cmp_eq_u32 s9, 4
	s_delay_alu instid0(VALU_DEP_1) | instskip(NEXT) | instid1(VALU_DEP_2)
	v_cndmask_b32_e32 v31, v31, v24, vcc_lo
	v_cndmask_b32_e32 v49, v32, v23, vcc_lo
	s_cselect_b32 vcc_lo, -1, 0
	s_add_i32 s9, s0, -6
	s_delay_alu instid0(VALU_DEP_1)
	v_dual_cndmask_b32 v32, v31, v26 :: v_dual_cndmask_b32 v31, v49, v25
	ds_load_2addr_b64 v[49:52], v53 offset0:2 offset1:3
	s_cmp_eq_u32 s9, 1
	s_cselect_b32 vcc_lo, -1, 0
	s_waitcnt lgkmcnt(1)
	v_fma_f64 v[27:28], v[31:32], v[45:46], v[27:28]
	v_dual_cndmask_b32 v31, v18, v20 :: v_dual_cndmask_b32 v32, v17, v19
	s_cmp_eq_u32 s9, 2
	s_cselect_b32 vcc_lo, -1, 0
	s_cmp_eq_u32 s9, 3
	s_delay_alu instid0(VALU_DEP_1) | instskip(SKIP_2) | instid1(VALU_DEP_1)
	v_dual_cndmask_b32 v31, v31, v22 :: v_dual_cndmask_b32 v32, v32, v21
	s_cselect_b32 vcc_lo, -1, 0
	s_cmp_eq_u32 s9, 4
	v_cndmask_b32_e32 v31, v31, v24, vcc_lo
	s_delay_alu instid0(VALU_DEP_2) | instskip(SKIP_2) | instid1(VALU_DEP_1)
	v_cndmask_b32_e32 v45, v32, v23, vcc_lo
	s_cselect_b32 vcc_lo, -1, 0
	s_add_i32 s9, s0, -5
	v_dual_cndmask_b32 v32, v31, v26 :: v_dual_cndmask_b32 v31, v45, v25
	s_cmp_eq_u32 s9, 1
	s_cselect_b32 vcc_lo, -1, 0
	s_cmp_eq_u32 s9, 2
	s_delay_alu instid0(VALU_DEP_1) | instskip(SKIP_3) | instid1(VALU_DEP_1)
	v_fma_f64 v[27:28], v[31:32], v[47:48], v[27:28]
	v_dual_cndmask_b32 v31, v18, v20 :: v_dual_cndmask_b32 v32, v17, v19
	s_cselect_b32 vcc_lo, -1, 0
	s_cmp_eq_u32 s9, 3
	v_dual_cndmask_b32 v31, v31, v22 :: v_dual_cndmask_b32 v32, v32, v21
	s_cselect_b32 vcc_lo, -1, 0
	s_cmp_eq_u32 s9, 4
	s_delay_alu instid0(VALU_DEP_1) | instskip(NEXT) | instid1(VALU_DEP_2)
	v_cndmask_b32_e32 v31, v31, v24, vcc_lo
	v_cndmask_b32_e32 v45, v32, v23, vcc_lo
	s_cselect_b32 vcc_lo, -1, 0
	s_add_i32 s9, s0, -4
	s_delay_alu instid0(VALU_DEP_1)
	v_dual_cndmask_b32 v32, v31, v26 :: v_dual_cndmask_b32 v31, v45, v25
	s_cmp_eq_u32 s9, 1
	s_cselect_b32 vcc_lo, -1, 0
	s_cmp_eq_u32 s9, 2
	s_waitcnt lgkmcnt(0)
	v_fma_f64 v[27:28], v[31:32], v[49:50], v[27:28]
	v_dual_cndmask_b32 v31, v18, v20 :: v_dual_cndmask_b32 v32, v17, v19
	s_cselect_b32 vcc_lo, -1, 0
	s_cmp_eq_u32 s9, 3
	s_delay_alu instid0(VALU_DEP_1) | instskip(SKIP_2) | instid1(VALU_DEP_1)
	v_dual_cndmask_b32 v31, v31, v22 :: v_dual_cndmask_b32 v32, v32, v21
	s_cselect_b32 vcc_lo, -1, 0
	s_cmp_eq_u32 s9, 4
	v_cndmask_b32_e32 v31, v31, v24, vcc_lo
	s_delay_alu instid0(VALU_DEP_2) | instskip(SKIP_2) | instid1(VALU_DEP_1)
	v_cndmask_b32_e32 v45, v32, v23, vcc_lo
	s_cselect_b32 vcc_lo, -1, 0
	s_add_i32 s9, s0, -3
	v_dual_cndmask_b32 v32, v31, v26 :: v_dual_cndmask_b32 v31, v45, v25
	s_cmp_eq_u32 s9, 1
	ds_load_2addr_b64 v[45:48], v53 offset0:4 offset1:5
	s_cselect_b32 vcc_lo, -1, 0
	s_cmp_eq_u32 s9, 2
	v_fma_f64 v[27:28], v[31:32], v[51:52], v[27:28]
	v_dual_cndmask_b32 v31, v18, v20 :: v_dual_cndmask_b32 v32, v17, v19
	s_cselect_b32 vcc_lo, -1, 0
	s_cmp_eq_u32 s9, 3
	s_delay_alu instid0(VALU_DEP_1) | instskip(SKIP_2) | instid1(VALU_DEP_1)
	v_dual_cndmask_b32 v31, v31, v22 :: v_dual_cndmask_b32 v32, v32, v21
	s_cselect_b32 vcc_lo, -1, 0
	s_cmp_eq_u32 s9, 4
	v_cndmask_b32_e32 v31, v31, v24, vcc_lo
	s_delay_alu instid0(VALU_DEP_2) | instskip(SKIP_2) | instid1(VALU_DEP_1)
	v_cndmask_b32_e32 v49, v32, v23, vcc_lo
	s_cselect_b32 vcc_lo, -1, 0
	s_add_i32 s9, s0, -2
	v_dual_cndmask_b32 v32, v31, v26 :: v_dual_cndmask_b32 v31, v49, v25
	ds_load_2addr_b64 v[49:52], v53 offset0:6 offset1:7
	s_cmp_eq_u32 s9, 1
	s_cselect_b32 vcc_lo, -1, 0
	s_cmp_eq_u32 s9, 2
	s_waitcnt lgkmcnt(1)
	v_fma_f64 v[27:28], v[31:32], v[45:46], v[27:28]
	v_dual_cndmask_b32 v31, v18, v20 :: v_dual_cndmask_b32 v32, v17, v19
	s_cselect_b32 vcc_lo, -1, 0
	s_cmp_eq_u32 s9, 3
	s_delay_alu instid0(VALU_DEP_1) | instskip(SKIP_2) | instid1(VALU_DEP_1)
	v_dual_cndmask_b32 v31, v31, v22 :: v_dual_cndmask_b32 v32, v32, v21
	s_cselect_b32 vcc_lo, -1, 0
	s_cmp_eq_u32 s9, 4
	v_cndmask_b32_e32 v31, v31, v24, vcc_lo
	s_delay_alu instid0(VALU_DEP_2) | instskip(SKIP_2) | instid1(VALU_DEP_1)
	v_cndmask_b32_e32 v45, v32, v23, vcc_lo
	s_cselect_b32 vcc_lo, -1, 0
	s_add_i32 s9, s0, -1
	v_dual_cndmask_b32 v32, v31, v26 :: v_dual_cndmask_b32 v31, v45, v25
	s_cmp_eq_u32 s9, 1
	s_cselect_b32 vcc_lo, -1, 0
	s_cmp_eq_u32 s9, 2
	s_delay_alu instid0(VALU_DEP_1) | instskip(SKIP_3) | instid1(VALU_DEP_1)
	v_fma_f64 v[27:28], v[31:32], v[47:48], v[27:28]
	v_dual_cndmask_b32 v31, v18, v20 :: v_dual_cndmask_b32 v32, v17, v19
	s_cselect_b32 vcc_lo, -1, 0
	s_cmp_eq_u32 s9, 3
	v_dual_cndmask_b32 v31, v31, v22 :: v_dual_cndmask_b32 v32, v32, v21
	s_cselect_b32 vcc_lo, -1, 0
	s_cmp_eq_u32 s9, 4
	s_delay_alu instid0(VALU_DEP_1) | instskip(NEXT) | instid1(VALU_DEP_2)
	v_cndmask_b32_e32 v31, v31, v24, vcc_lo
	v_cndmask_b32_e32 v45, v32, v23, vcc_lo
	s_cselect_b32 vcc_lo, -1, 0
	s_cmp_eq_u32 s0, 1
	s_delay_alu instid0(VALU_DEP_1) | instskip(SKIP_3) | instid1(VALU_DEP_1)
	v_dual_cndmask_b32 v32, v31, v26 :: v_dual_cndmask_b32 v31, v45, v25
	s_cselect_b32 vcc_lo, -1, 0
	s_cmp_eq_u32 s0, 2
	s_waitcnt lgkmcnt(0)
	v_fma_f64 v[27:28], v[31:32], v[49:50], v[27:28]
	v_dual_cndmask_b32 v31, v18, v20 :: v_dual_cndmask_b32 v32, v17, v19
	s_cselect_b32 vcc_lo, -1, 0
	s_cmp_eq_u32 s0, 3
	s_delay_alu instid0(VALU_DEP_1) | instskip(SKIP_2) | instid1(VALU_DEP_1)
	v_dual_cndmask_b32 v31, v31, v22 :: v_dual_cndmask_b32 v32, v32, v21
	s_cselect_b32 vcc_lo, -1, 0
	s_cmp_eq_u32 s0, 4
	v_cndmask_b32_e32 v31, v31, v24, vcc_lo
	s_delay_alu instid0(VALU_DEP_2) | instskip(SKIP_3) | instid1(VALU_DEP_1)
	v_cndmask_b32_e32 v45, v32, v23, vcc_lo
	s_cselect_b32 vcc_lo, -1, 0
	s_add_u32 s0, s0, 8
	s_addc_u32 s1, s1, 0
	v_dual_cndmask_b32 v32, v31, v26 :: v_dual_cndmask_b32 v31, v45, v25
	s_add_i32 s9, s0, -7
	s_add_i32 s8, s8, 64
	s_delay_alu instid0(VALU_DEP_1) | instskip(SKIP_1) | instid1(VALU_DEP_1)
	v_fma_f64 v[27:28], v[31:32], v[51:52], v[27:28]
	v_add_nc_u32_e32 v31, s0, v30
	v_cmp_eq_u32_e32 vcc_lo, 8, v31
	v_mov_b32_e32 v31, s9
	s_or_b32 s7, vcc_lo, s7
	s_delay_alu instid0(SALU_CYCLE_1)
	s_and_not1_b32 exec_lo, exec_lo, s7
	s_cbranch_execnz .LBB68_43
; %bb.44:
	s_or_b32 exec_lo, exec_lo, s7
.LBB68_45:
	s_delay_alu instid0(SALU_CYCLE_1) | instskip(SKIP_3) | instid1(VALU_DEP_1)
	s_or_b32 exec_lo, exec_lo, s6
	v_and_b32_e32 v29, 7, v29
	s_mov_b32 s6, 0
	s_mov_b32 s1, exec_lo
	v_cmpx_ne_u32_e32 0, v29
	s_cbranch_execz .LBB68_49
; %bb.46:
	v_lshl_add_u32 v30, v31, 3, 48
	v_mov_b32_e32 v32, 0
	.p2align	6
.LBB68_47:                              ; =>This Inner Loop Header: Depth=1
	v_cmp_eq_u32_e32 vcc_lo, 1, v31
	ds_load_b64 v[45:46], v30
	v_cmp_eq_u32_e64 s0, 2, v31
	v_add_nc_u32_e32 v29, -1, v29
	v_dual_cndmask_b32 v47, v18, v20 :: v_dual_add_nc_u32 v30, 8, v30
	v_cndmask_b32_e32 v48, v17, v19, vcc_lo
	v_cmp_eq_u32_e32 vcc_lo, 3, v31
	s_delay_alu instid0(VALU_DEP_3) | instskip(NEXT) | instid1(VALU_DEP_3)
	v_cndmask_b32_e64 v47, v47, v22, s0
	v_cndmask_b32_e64 v48, v48, v21, s0
	v_cmp_eq_u32_e64 s0, 4, v31
	s_delay_alu instid0(VALU_DEP_3) | instskip(NEXT) | instid1(VALU_DEP_3)
	v_cndmask_b32_e32 v47, v47, v24, vcc_lo
	v_cndmask_b32_e32 v49, v48, v23, vcc_lo
	v_cmp_eq_u32_e32 vcc_lo, 0, v29
	s_delay_alu instid0(VALU_DEP_3) | instskip(NEXT) | instid1(VALU_DEP_3)
	v_cndmask_b32_e64 v48, v47, v26, s0
	v_cndmask_b32_e64 v47, v49, v25, s0
	v_add_co_u32 v31, s0, v31, 1
	s_delay_alu instid0(VALU_DEP_1) | instskip(SKIP_1) | instid1(VALU_DEP_3)
	v_add_co_ci_u32_e64 v32, s0, 0, v32, s0
	s_waitcnt lgkmcnt(0)
	v_fma_f64 v[27:28], v[47:48], v[45:46], v[27:28]
	s_or_b32 s6, vcc_lo, s6
	s_delay_alu instid0(SALU_CYCLE_1)
	s_and_not1_b32 exec_lo, exec_lo, s6
	s_cbranch_execnz .LBB68_47
; %bb.48:
	s_or_b32 exec_lo, exec_lo, s6
.LBB68_49:
	s_delay_alu instid0(SALU_CYCLE_1)
	s_or_b32 exec_lo, exec_lo, s1
.LBB68_50:
	s_delay_alu instid0(SALU_CYCLE_1)
	s_or_b32 exec_lo, exec_lo, s4
	v_mov_b32_e32 v17, 0
	ds_load_b64 v[17:18], v17
	s_waitcnt lgkmcnt(0)
	v_mul_f64 v[17:18], v[27:28], v[17:18]
.LBB68_51:
	s_or_b32 exec_lo, exec_lo, s3
	s_delay_alu instid0(SALU_CYCLE_1)
	s_and_b32 vcc_lo, exec_lo, s2
	s_cbranch_vccz .LBB68_87
.LBB68_52:
	v_cmp_eq_u32_e64 s0, 0, v0
	s_waitcnt vmcnt(3)
	ds_store_b64 v44, v[3:4]
	s_waitcnt vmcnt(0) lgkmcnt(0)
	s_barrier
	buffer_gl0_inv
	s_and_saveexec_b32 s1, s0
	s_cbranch_execz .LBB68_58
; %bb.53:
	s_and_b32 vcc_lo, exec_lo, s5
	s_cbranch_vccz .LBB68_55
; %bb.54:
	v_cmp_eq_u32_e32 vcc_lo, 1, v0
	v_dual_cndmask_b32 v11, v2, v4 :: v_dual_cndmask_b32 v12, v1, v3
	v_cmp_eq_u32_e32 vcc_lo, 2, v0
	ds_load_b64 v[3:4], v44
	v_dual_cndmask_b32 v11, v11, v6 :: v_dual_cndmask_b32 v12, v12, v5
	v_cmp_eq_u32_e32 vcc_lo, 3, v0
	s_delay_alu instid0(VALU_DEP_2) | instskip(NEXT) | instid1(VALU_DEP_3)
	v_cndmask_b32_e32 v11, v11, v8, vcc_lo
	v_cndmask_b32_e32 v13, v12, v7, vcc_lo
	v_cmp_eq_u32_e32 vcc_lo, 4, v0
	s_delay_alu instid0(VALU_DEP_2) | instskip(SKIP_1) | instid1(VALU_DEP_1)
	v_dual_cndmask_b32 v12, v11, v10 :: v_dual_cndmask_b32 v11, v13, v9
	s_waitcnt lgkmcnt(0)
	v_mul_f64 v[3:4], v[11:12], v[3:4]
	s_cbranch_execz .LBB68_56
	s_branch .LBB68_57
.LBB68_55:
                                        ; implicit-def: $vgpr3_vgpr4
.LBB68_56:
	ds_load_b64 v[3:4], v44
.LBB68_57:
	v_mov_b32_e32 v11, 0
	ds_load_b64 v[11:12], v11 offset:8
	s_waitcnt lgkmcnt(0)
	v_mul_f64 v[3:4], v[3:4], v[11:12]
.LBB68_58:
	s_or_b32 exec_lo, exec_lo, s1
	v_add_nc_u32_e32 v18, 1, v0
	v_cndmask_b32_e64 v17, 0, 1, s5
	s_mov_b32 s1, exec_lo
	ds_store_b64 v44, v[5:6]
	s_waitcnt lgkmcnt(0)
	s_barrier
	buffer_gl0_inv
	v_cmpx_gt_u32_e32 2, v0
	s_cbranch_execz .LBB68_66
; %bb.59:
	s_and_not1_b32 vcc_lo, exec_lo, s5
	s_cbranch_vccnz .LBB68_61
; %bb.60:
	v_cmp_eq_u32_e32 vcc_lo, 1, v0
	ds_load_b64 v[11:12], v44
	v_dual_cndmask_b32 v13, v2, v4 :: v_dual_cndmask_b32 v14, v1, v3
	v_cmp_eq_u32_e32 vcc_lo, 2, v0
	s_delay_alu instid0(VALU_DEP_2) | instskip(SKIP_1) | instid1(VALU_DEP_2)
	v_dual_cndmask_b32 v13, v13, v6 :: v_dual_cndmask_b32 v14, v14, v5
	v_cmp_eq_u32_e32 vcc_lo, 3, v0
	v_cndmask_b32_e32 v13, v13, v8, vcc_lo
	s_delay_alu instid0(VALU_DEP_3) | instskip(SKIP_1) | instid1(VALU_DEP_2)
	v_cndmask_b32_e32 v15, v14, v7, vcc_lo
	v_cmp_eq_u32_e32 vcc_lo, 4, v0
	v_dual_cndmask_b32 v14, v13, v10 :: v_dual_cndmask_b32 v13, v15, v9
	s_waitcnt lgkmcnt(0)
	s_delay_alu instid0(VALU_DEP_1)
	v_mul_f64 v[11:12], v[13:14], v[11:12]
	s_cbranch_execz .LBB68_62
	s_branch .LBB68_63
.LBB68_61:
                                        ; implicit-def: $vgpr11_vgpr12
.LBB68_62:
	ds_load_b64 v[11:12], v44
.LBB68_63:
	s_and_saveexec_b32 s2, s0
	s_cbranch_execz .LBB68_65
; %bb.64:
	v_cmp_eq_u32_e32 vcc_lo, 1, v18
	ds_load_b64 v[13:14], v44 offset:8
	v_dual_cndmask_b32 v15, v2, v4 :: v_dual_cndmask_b32 v16, v1, v3
	v_cmp_eq_u32_e32 vcc_lo, 2, v18
	s_delay_alu instid0(VALU_DEP_2) | instskip(SKIP_1) | instid1(VALU_DEP_2)
	v_dual_cndmask_b32 v6, v15, v6 :: v_dual_cndmask_b32 v5, v16, v5
	v_cmp_eq_u32_e32 vcc_lo, 3, v18
	v_dual_cndmask_b32 v6, v6, v8 :: v_dual_cndmask_b32 v5, v5, v7
	v_cmp_eq_u32_e32 vcc_lo, 4, v18
	s_delay_alu instid0(VALU_DEP_2) | instskip(SKIP_1) | instid1(VALU_DEP_1)
	v_dual_cndmask_b32 v6, v6, v10 :: v_dual_cndmask_b32 v5, v5, v9
	s_waitcnt lgkmcnt(0)
	v_fma_f64 v[11:12], v[5:6], v[13:14], v[11:12]
.LBB68_65:
	s_or_b32 exec_lo, exec_lo, s2
	v_mov_b32_e32 v5, 0
	ds_load_b64 v[5:6], v5 offset:16
	s_waitcnt lgkmcnt(0)
	v_mul_f64 v[5:6], v[11:12], v[5:6]
.LBB68_66:
	s_or_b32 exec_lo, exec_lo, s1
	v_cmp_gt_u32_e64 s1, 3, v0
	ds_store_b64 v44, v[7:8]
	s_waitcnt lgkmcnt(0)
	s_barrier
	buffer_gl0_inv
	s_and_saveexec_b32 s2, s1
	s_cbranch_execz .LBB68_76
; %bb.67:
	v_cmp_ne_u32_e32 vcc_lo, 1, v17
	s_cbranch_vccnz .LBB68_69
; %bb.68:
	v_cmp_eq_u32_e32 vcc_lo, 1, v0
	ds_load_b64 v[11:12], v44
	v_dual_cndmask_b32 v13, v2, v4 :: v_dual_cndmask_b32 v14, v1, v3
	v_cmp_eq_u32_e32 vcc_lo, 2, v0
	s_delay_alu instid0(VALU_DEP_2) | instskip(SKIP_1) | instid1(VALU_DEP_2)
	v_dual_cndmask_b32 v13, v13, v6 :: v_dual_cndmask_b32 v14, v14, v5
	v_cmp_eq_u32_e32 vcc_lo, 3, v0
	v_cndmask_b32_e32 v13, v13, v8, vcc_lo
	s_delay_alu instid0(VALU_DEP_3) | instskip(SKIP_1) | instid1(VALU_DEP_2)
	v_cndmask_b32_e32 v15, v14, v7, vcc_lo
	v_cmp_eq_u32_e32 vcc_lo, 4, v0
	v_dual_cndmask_b32 v14, v13, v10 :: v_dual_cndmask_b32 v13, v15, v9
	s_waitcnt lgkmcnt(0)
	s_delay_alu instid0(VALU_DEP_1)
	v_mul_f64 v[11:12], v[13:14], v[11:12]
	s_cbranch_execz .LBB68_70
	s_branch .LBB68_71
.LBB68_69:
                                        ; implicit-def: $vgpr11_vgpr12
.LBB68_70:
	ds_load_b64 v[11:12], v44
.LBB68_71:
	s_mov_b32 s3, exec_lo
	v_cmpx_ne_u32_e32 2, v0
	s_cbranch_execz .LBB68_75
; %bb.72:
	v_cmp_eq_u32_e32 vcc_lo, 1, v18
	ds_load_b64 v[13:14], v44 offset:8
	v_dual_cndmask_b32 v15, v2, v4 :: v_dual_cndmask_b32 v16, v1, v3
	v_cmp_eq_u32_e32 vcc_lo, 2, v18
	s_delay_alu instid0(VALU_DEP_2) | instskip(SKIP_1) | instid1(VALU_DEP_2)
	v_dual_cndmask_b32 v15, v15, v6 :: v_dual_cndmask_b32 v16, v16, v5
	v_cmp_eq_u32_e32 vcc_lo, 3, v18
	v_dual_cndmask_b32 v8, v15, v8 :: v_dual_cndmask_b32 v7, v16, v7
	v_cmp_eq_u32_e32 vcc_lo, 4, v18
	s_delay_alu instid0(VALU_DEP_2) | instskip(SKIP_1) | instid1(VALU_DEP_1)
	v_dual_cndmask_b32 v8, v8, v10 :: v_dual_cndmask_b32 v7, v7, v9
	s_waitcnt lgkmcnt(0)
	v_fma_f64 v[11:12], v[7:8], v[13:14], v[11:12]
	s_and_saveexec_b32 s4, s0
	s_cbranch_execz .LBB68_74
; %bb.73:
	v_mov_b32_e32 v7, 0
	ds_load_b64 v[7:8], v7 offset:64
	s_waitcnt lgkmcnt(0)
	v_fma_f64 v[11:12], v[5:6], v[7:8], v[11:12]
.LBB68_74:
	s_or_b32 exec_lo, exec_lo, s4
.LBB68_75:
	s_delay_alu instid0(SALU_CYCLE_1)
	s_or_b32 exec_lo, exec_lo, s3
	v_mov_b32_e32 v7, 0
	ds_load_b64 v[7:8], v7 offset:24
	s_waitcnt lgkmcnt(0)
	v_mul_f64 v[7:8], v[11:12], v[7:8]
.LBB68_76:
	s_or_b32 exec_lo, exec_lo, s2
	s_delay_alu instid0(SALU_CYCLE_1)
	s_mov_b32 s2, exec_lo
	ds_store_b64 v44, v[9:10]
	s_waitcnt lgkmcnt(0)
	s_barrier
	buffer_gl0_inv
	v_cmpx_ne_u32_e32 4, v0
	s_cbranch_execz .LBB68_86
; %bb.77:
	v_cmp_ne_u32_e32 vcc_lo, 1, v17
	s_cbranch_vccnz .LBB68_79
; %bb.78:
	v_cmp_eq_u32_e32 vcc_lo, 1, v0
	ds_load_b64 v[11:12], v44
	v_dual_cndmask_b32 v13, v2, v4 :: v_dual_cndmask_b32 v14, v1, v3
	v_cmp_eq_u32_e32 vcc_lo, 2, v0
	s_delay_alu instid0(VALU_DEP_2) | instskip(SKIP_1) | instid1(VALU_DEP_2)
	v_dual_cndmask_b32 v13, v13, v6 :: v_dual_cndmask_b32 v14, v14, v5
	v_cmp_eq_u32_e32 vcc_lo, 3, v0
	v_cndmask_b32_e32 v13, v13, v8, vcc_lo
	s_delay_alu instid0(VALU_DEP_3) | instskip(SKIP_1) | instid1(VALU_DEP_2)
	v_cndmask_b32_e32 v15, v14, v7, vcc_lo
	v_cmp_eq_u32_e32 vcc_lo, 4, v0
	v_dual_cndmask_b32 v14, v13, v10 :: v_dual_cndmask_b32 v13, v15, v9
	s_waitcnt lgkmcnt(0)
	s_delay_alu instid0(VALU_DEP_1)
	v_mul_f64 v[11:12], v[13:14], v[11:12]
	s_cbranch_execz .LBB68_80
	s_branch .LBB68_81
.LBB68_79:
                                        ; implicit-def: $vgpr11_vgpr12
.LBB68_80:
	ds_load_b64 v[11:12], v44
.LBB68_81:
	s_and_saveexec_b32 s3, s1
	s_cbranch_execz .LBB68_85
; %bb.82:
	v_lshl_add_u32 v13, v0, 3, 56
	s_mov_b32 s1, 0
	.p2align	6
.LBB68_83:                              ; =>This Inner Loop Header: Depth=1
	v_add_co_u32 v0, vcc_lo, v0, 1
	v_add_co_ci_u32_e32 v43, vcc_lo, 0, v43, vcc_lo
	ds_load_b64 v[14:15], v13
	v_cmp_eq_u32_e32 vcc_lo, 1, v0
	v_cmp_eq_u32_e64 s0, 2, v0
	v_dual_cndmask_b32 v16, v2, v4 :: v_dual_add_nc_u32 v13, 8, v13
	v_cndmask_b32_e32 v17, v1, v3, vcc_lo
	v_cmp_eq_u32_e32 vcc_lo, 3, v0
	s_delay_alu instid0(VALU_DEP_3) | instskip(NEXT) | instid1(VALU_DEP_3)
	v_cndmask_b32_e64 v16, v16, v6, s0
	v_cndmask_b32_e64 v17, v17, v5, s0
	v_cmp_eq_u32_e64 s0, 4, v0
	s_delay_alu instid0(VALU_DEP_3) | instskip(NEXT) | instid1(VALU_DEP_3)
	v_cndmask_b32_e32 v16, v16, v8, vcc_lo
	v_cndmask_b32_e32 v18, v17, v7, vcc_lo
	v_cmp_lt_u32_e32 vcc_lo, 2, v0
	s_delay_alu instid0(VALU_DEP_3) | instskip(NEXT) | instid1(VALU_DEP_3)
	v_cndmask_b32_e64 v17, v16, v10, s0
	v_cndmask_b32_e64 v16, v18, v9, s0
	s_or_b32 s1, vcc_lo, s1
	s_waitcnt lgkmcnt(0)
	s_delay_alu instid0(VALU_DEP_1)
	v_fma_f64 v[11:12], v[16:17], v[14:15], v[11:12]
	s_and_not1_b32 exec_lo, exec_lo, s1
	s_cbranch_execnz .LBB68_83
; %bb.84:
	s_or_b32 exec_lo, exec_lo, s1
.LBB68_85:
	s_delay_alu instid0(SALU_CYCLE_1)
	s_or_b32 exec_lo, exec_lo, s3
	v_mov_b32_e32 v0, 0
	ds_load_b64 v[9:10], v0 offset:32
	s_waitcnt lgkmcnt(0)
	v_mul_f64 v[9:10], v[11:12], v[9:10]
.LBB68_86:
	s_or_b32 exec_lo, exec_lo, s2
	v_dual_mov_b32 v32, v16 :: v_dual_mov_b32 v31, v15
	v_dual_mov_b32 v30, v14 :: v_dual_mov_b32 v29, v13
	;; [unrolled: 1-line block ×3, first 2 shown]
	s_delay_alu instid0(VALU_DEP_4)
	v_dual_mov_b32 v26, v10 :: v_dual_mov_b32 v25, v9
	v_dual_mov_b32 v24, v8 :: v_dual_mov_b32 v23, v7
	;; [unrolled: 1-line block ×5, first 2 shown]
.LBB68_87:
	s_clause 0x4
	global_store_b64 v[39:40], v[17:18], off
	global_store_b64 v[41:42], v[19:20], off
	;; [unrolled: 1-line block ×5, first 2 shown]
.LBB68_88:
	s_nop 0
	s_sendmsg sendmsg(MSG_DEALLOC_VGPRS)
	s_endpgm
	.section	.rodata,"a",@progbits
	.p2align	6, 0x0
	.amdhsa_kernel _ZN9rocsolver6v33100L18trti2_kernel_smallILi5EdPKPdEEv13rocblas_fill_17rocblas_diagonal_T1_iil
		.amdhsa_group_segment_fixed_size 88
		.amdhsa_private_segment_fixed_size 0
		.amdhsa_kernarg_size 32
		.amdhsa_user_sgpr_count 15
		.amdhsa_user_sgpr_dispatch_ptr 0
		.amdhsa_user_sgpr_queue_ptr 0
		.amdhsa_user_sgpr_kernarg_segment_ptr 1
		.amdhsa_user_sgpr_dispatch_id 0
		.amdhsa_user_sgpr_private_segment_size 0
		.amdhsa_wavefront_size32 1
		.amdhsa_uses_dynamic_stack 0
		.amdhsa_enable_private_segment 0
		.amdhsa_system_sgpr_workgroup_id_x 1
		.amdhsa_system_sgpr_workgroup_id_y 0
		.amdhsa_system_sgpr_workgroup_id_z 0
		.amdhsa_system_sgpr_workgroup_info 0
		.amdhsa_system_vgpr_workitem_id 0
		.amdhsa_next_free_vgpr 54
		.amdhsa_next_free_sgpr 16
		.amdhsa_reserve_vcc 1
		.amdhsa_float_round_mode_32 0
		.amdhsa_float_round_mode_16_64 0
		.amdhsa_float_denorm_mode_32 3
		.amdhsa_float_denorm_mode_16_64 3
		.amdhsa_dx10_clamp 1
		.amdhsa_ieee_mode 1
		.amdhsa_fp16_overflow 0
		.amdhsa_workgroup_processor_mode 1
		.amdhsa_memory_ordered 1
		.amdhsa_forward_progress 0
		.amdhsa_shared_vgpr_count 0
		.amdhsa_exception_fp_ieee_invalid_op 0
		.amdhsa_exception_fp_denorm_src 0
		.amdhsa_exception_fp_ieee_div_zero 0
		.amdhsa_exception_fp_ieee_overflow 0
		.amdhsa_exception_fp_ieee_underflow 0
		.amdhsa_exception_fp_ieee_inexact 0
		.amdhsa_exception_int_div_zero 0
	.end_amdhsa_kernel
	.section	.text._ZN9rocsolver6v33100L18trti2_kernel_smallILi5EdPKPdEEv13rocblas_fill_17rocblas_diagonal_T1_iil,"axG",@progbits,_ZN9rocsolver6v33100L18trti2_kernel_smallILi5EdPKPdEEv13rocblas_fill_17rocblas_diagonal_T1_iil,comdat
.Lfunc_end68:
	.size	_ZN9rocsolver6v33100L18trti2_kernel_smallILi5EdPKPdEEv13rocblas_fill_17rocblas_diagonal_T1_iil, .Lfunc_end68-_ZN9rocsolver6v33100L18trti2_kernel_smallILi5EdPKPdEEv13rocblas_fill_17rocblas_diagonal_T1_iil
                                        ; -- End function
	.section	.AMDGPU.csdata,"",@progbits
; Kernel info:
; codeLenInByte = 4824
; NumSgprs: 18
; NumVgprs: 54
; ScratchSize: 0
; MemoryBound: 0
; FloatMode: 240
; IeeeMode: 1
; LDSByteSize: 88 bytes/workgroup (compile time only)
; SGPRBlocks: 2
; VGPRBlocks: 6
; NumSGPRsForWavesPerEU: 18
; NumVGPRsForWavesPerEU: 54
; Occupancy: 16
; WaveLimiterHint : 1
; COMPUTE_PGM_RSRC2:SCRATCH_EN: 0
; COMPUTE_PGM_RSRC2:USER_SGPR: 15
; COMPUTE_PGM_RSRC2:TRAP_HANDLER: 0
; COMPUTE_PGM_RSRC2:TGID_X_EN: 1
; COMPUTE_PGM_RSRC2:TGID_Y_EN: 0
; COMPUTE_PGM_RSRC2:TGID_Z_EN: 0
; COMPUTE_PGM_RSRC2:TIDIG_COMP_CNT: 0
	.section	.text._ZN9rocsolver6v33100L18trti2_kernel_smallILi6EdPKPdEEv13rocblas_fill_17rocblas_diagonal_T1_iil,"axG",@progbits,_ZN9rocsolver6v33100L18trti2_kernel_smallILi6EdPKPdEEv13rocblas_fill_17rocblas_diagonal_T1_iil,comdat
	.globl	_ZN9rocsolver6v33100L18trti2_kernel_smallILi6EdPKPdEEv13rocblas_fill_17rocblas_diagonal_T1_iil ; -- Begin function _ZN9rocsolver6v33100L18trti2_kernel_smallILi6EdPKPdEEv13rocblas_fill_17rocblas_diagonal_T1_iil
	.p2align	8
	.type	_ZN9rocsolver6v33100L18trti2_kernel_smallILi6EdPKPdEEv13rocblas_fill_17rocblas_diagonal_T1_iil,@function
_ZN9rocsolver6v33100L18trti2_kernel_smallILi6EdPKPdEEv13rocblas_fill_17rocblas_diagonal_T1_iil: ; @_ZN9rocsolver6v33100L18trti2_kernel_smallILi6EdPKPdEEv13rocblas_fill_17rocblas_diagonal_T1_iil
; %bb.0:
	s_mov_b32 s3, exec_lo
	v_cmpx_gt_u32_e32 6, v0
	s_cbranch_execz .LBB69_114
; %bb.1:
	s_clause 0x1
	s_load_b64 s[4:5], s[0:1], 0x10
	s_load_b128 s[8:11], s[0:1], 0x0
	s_mov_b32 s2, s15
	s_ashr_i32 s3, s15, 31
	v_lshlrev_b32_e32 v20, 3, v0
	s_lshl_b64 s[0:1], s[2:3], 3
	v_mov_b32_e32 v18, 0
	v_mov_b32_e32 v19, 0xbff00000
	s_waitcnt lgkmcnt(0)
	s_ashr_i32 s3, s4, 31
	s_add_u32 s0, s10, s0
	s_addc_u32 s1, s11, s1
	v_add3_u32 v1, s5, s5, v0
	s_load_b64 s[0:1], s[0:1], 0x0
	s_mov_b32 s2, s4
	s_mov_b32 s4, s5
	s_lshl_b64 s[2:3], s[2:3], 3
	v_add_nc_u32_e32 v3, s5, v1
	v_ashrrev_i32_e32 v2, 31, v1
	s_delay_alu instid0(VALU_DEP_2) | instskip(SKIP_1) | instid1(VALU_DEP_3)
	v_add_nc_u32_e32 v5, s5, v3
	v_ashrrev_i32_e32 v4, 31, v3
	v_lshlrev_b64 v[1:2], 3, v[1:2]
	s_delay_alu instid0(VALU_DEP_3) | instskip(NEXT) | instid1(VALU_DEP_3)
	v_ashrrev_i32_e32 v6, 31, v5
	v_lshlrev_b64 v[3:4], 3, v[3:4]
	v_add_nc_u32_e32 v7, s5, v5
	s_delay_alu instid0(VALU_DEP_3)
	v_lshlrev_b64 v[5:6], 3, v[5:6]
	s_waitcnt lgkmcnt(0)
	s_add_u32 s0, s0, s2
	s_addc_u32 s1, s1, s3
	v_add_co_u32 v40, vcc_lo, s0, v1
	v_add_co_ci_u32_e32 v41, vcc_lo, s1, v2, vcc_lo
	v_ashrrev_i32_e32 v8, 31, v7
	v_add_co_u32 v38, vcc_lo, s0, v3
	v_mov_b32_e32 v1, 0
	v_add_co_u32 v42, s2, s0, v20
	s_ashr_i32 s5, s5, 31
	v_add_co_ci_u32_e32 v39, vcc_lo, s1, v4, vcc_lo
	v_add_co_ci_u32_e64 v43, null, s1, 0, s2
	v_add_co_u32 v36, vcc_lo, s0, v5
	s_lshl_b64 s[2:3], s[4:5], 3
	v_lshlrev_b64 v[7:8], 3, v[7:8]
	v_add_co_ci_u32_e32 v37, vcc_lo, s1, v6, vcc_lo
	v_add_co_u32 v44, vcc_lo, v42, s2
	v_add_co_ci_u32_e32 v45, vcc_lo, s3, v43, vcc_lo
	s_delay_alu instid0(VALU_DEP_4)
	v_add_co_u32 v34, vcc_lo, s0, v7
	v_add_co_ci_u32_e32 v35, vcc_lo, s1, v8, vcc_lo
	s_clause 0x5
	global_load_b64 v[4:5], v[44:45], off
	global_load_b64 v[6:7], v[40:41], off
	;; [unrolled: 1-line block ×4, first 2 shown]
	global_load_b64 v[2:3], v20, s[0:1]
	global_load_b64 v[12:13], v[34:35], off
	v_cmp_eq_u32_e64 s0, 0, v0
	s_cmpk_lg_i32 s9, 0x84
	s_cselect_b32 s6, -1, 0
	s_cmpk_eq_i32 s9, 0x84
	s_cbranch_scc1 .LBB69_3
; %bb.2:
	v_cmp_eq_u32_e64 s1, 1, v0
	v_cmp_eq_u32_e64 s2, 2, v0
	;; [unrolled: 1-line block ×5, first 2 shown]
	s_waitcnt vmcnt(1)
	v_cndmask_b32_e64 v14, v3, v5, s1
	v_cndmask_b32_e64 v15, v2, v4, s1
	s_delay_alu instid0(VALU_DEP_2) | instskip(NEXT) | instid1(VALU_DEP_2)
	v_cndmask_b32_e64 v14, v14, v7, s2
	v_cndmask_b32_e64 v15, v15, v6, s2
	s_delay_alu instid0(VALU_DEP_2) | instskip(NEXT) | instid1(VALU_DEP_2)
	;; [unrolled: 3-line block ×3, first 2 shown]
	v_cndmask_b32_e64 v14, v14, v11, s4
	v_cndmask_b32_e64 v16, v15, v10, s4
	s_waitcnt vmcnt(0)
	s_delay_alu instid0(VALU_DEP_2) | instskip(NEXT) | instid1(VALU_DEP_2)
	v_cndmask_b32_e64 v15, v14, v13, s5
	v_cndmask_b32_e64 v14, v16, v12, s5
	s_delay_alu instid0(VALU_DEP_1) | instskip(SKIP_1) | instid1(VALU_DEP_2)
	v_div_scale_f64 v[16:17], null, v[14:15], v[14:15], 1.0
	v_div_scale_f64 v[23:24], vcc_lo, 1.0, v[14:15], 1.0
	v_rcp_f64_e32 v[18:19], v[16:17]
	s_waitcnt_depctr 0xfff
	v_fma_f64 v[21:22], -v[16:17], v[18:19], 1.0
	s_delay_alu instid0(VALU_DEP_1) | instskip(NEXT) | instid1(VALU_DEP_1)
	v_fma_f64 v[18:19], v[18:19], v[21:22], v[18:19]
	v_fma_f64 v[21:22], -v[16:17], v[18:19], 1.0
	s_delay_alu instid0(VALU_DEP_1) | instskip(NEXT) | instid1(VALU_DEP_1)
	v_fma_f64 v[18:19], v[18:19], v[21:22], v[18:19]
	v_mul_f64 v[21:22], v[23:24], v[18:19]
	s_delay_alu instid0(VALU_DEP_1) | instskip(NEXT) | instid1(VALU_DEP_1)
	v_fma_f64 v[16:17], -v[16:17], v[21:22], v[23:24]
	v_div_fmas_f64 v[16:17], v[16:17], v[18:19], v[21:22]
	s_delay_alu instid0(VALU_DEP_1) | instskip(NEXT) | instid1(VALU_DEP_1)
	v_div_fixup_f64 v[18:19], v[16:17], v[14:15], 1.0
	v_cndmask_b32_e64 v13, v13, v19, s5
	s_delay_alu instid0(VALU_DEP_2)
	v_cndmask_b32_e64 v12, v12, v18, s5
	v_cndmask_b32_e64 v11, v11, v19, s4
	;; [unrolled: 1-line block ×11, first 2 shown]
	v_xor_b32_e32 v19, 0x80000000, v19
.LBB69_3:
	v_add_nc_u32_e32 v48, 48, v20
	s_cmpk_eq_i32 s8, 0x79
	ds_store_b64 v20, v[18:19]
	s_cbranch_scc1 .LBB69_7
; %bb.4:
	s_waitcnt vmcnt(0)
	v_dual_mov_b32 v33, v17 :: v_dual_mov_b32 v32, v16
	v_dual_mov_b32 v31, v15 :: v_dual_mov_b32 v30, v14
	;; [unrolled: 1-line block ×8, first 2 shown]
	v_cmp_eq_u32_e64 s0, 5, v0
	ds_store_b64 v48, v[10:11]
	s_waitcnt lgkmcnt(0)
	s_barrier
	buffer_gl0_inv
	s_and_saveexec_b32 s1, s0
	s_cbranch_execz .LBB69_11
; %bb.5:
	s_and_b32 vcc_lo, exec_lo, s6
	s_cbranch_vccz .LBB69_8
; %bb.6:
	v_cmp_eq_u32_e32 vcc_lo, 1, v0
	v_dual_cndmask_b32 v18, v3, v5 :: v_dual_cndmask_b32 v19, v2, v4
	v_cmp_eq_u32_e32 vcc_lo, 2, v0
	s_delay_alu instid0(VALU_DEP_2) | instskip(SKIP_4) | instid1(VALU_DEP_2)
	v_dual_cndmask_b32 v20, v18, v7 :: v_dual_cndmask_b32 v21, v19, v6
	v_cmp_eq_u32_e32 vcc_lo, 3, v0
	ds_load_b64 v[18:19], v48
	v_dual_cndmask_b32 v20, v20, v9 :: v_dual_cndmask_b32 v21, v21, v8
	v_cmp_eq_u32_e32 vcc_lo, 4, v0
	v_cndmask_b32_e32 v20, v20, v11, vcc_lo
	s_delay_alu instid0(VALU_DEP_3) | instskip(SKIP_1) | instid1(VALU_DEP_2)
	v_cndmask_b32_e32 v22, v21, v10, vcc_lo
	v_cmp_eq_u32_e32 vcc_lo, 5, v0
	v_dual_cndmask_b32 v21, v20, v13 :: v_dual_cndmask_b32 v20, v22, v12
	s_waitcnt lgkmcnt(0)
	s_delay_alu instid0(VALU_DEP_1)
	v_mul_f64 v[18:19], v[20:21], v[18:19]
	s_cbranch_execz .LBB69_9
	s_branch .LBB69_10
.LBB69_7:
                                        ; implicit-def: $vgpr18_vgpr19_vgpr20_vgpr21_vgpr22_vgpr23_vgpr24_vgpr25_vgpr26_vgpr27_vgpr28_vgpr29_vgpr30_vgpr31_vgpr32_vgpr33
	s_cbranch_execnz .LBB69_68
	s_branch .LBB69_113
.LBB69_8:
                                        ; implicit-def: $vgpr18_vgpr19
.LBB69_9:
	ds_load_b64 v[18:19], v48
.LBB69_10:
	v_mov_b32_e32 v20, 0
	v_dual_mov_b32 v22, v6 :: v_dual_mov_b32 v25, v9
	v_dual_mov_b32 v24, v8 :: v_dual_mov_b32 v29, v13
	ds_load_b64 v[20:21], v20 offset:32
	v_dual_mov_b32 v28, v12 :: v_dual_mov_b32 v23, v7
	s_waitcnt lgkmcnt(0)
	v_mul_f64 v[26:27], v[18:19], v[20:21]
	v_dual_mov_b32 v18, v2 :: v_dual_mov_b32 v21, v5
	v_dual_mov_b32 v19, v3 :: v_dual_mov_b32 v20, v4
.LBB69_11:
	s_or_b32 exec_lo, exec_lo, s1
	v_cmp_lt_u32_e64 s1, 3, v0
	ds_store_b64 v48, v[24:25]
	s_waitcnt lgkmcnt(0)
	s_barrier
	buffer_gl0_inv
	s_and_saveexec_b32 s2, s1
	s_cbranch_execz .LBB69_19
; %bb.12:
	s_and_not1_b32 vcc_lo, exec_lo, s6
	s_cbranch_vccnz .LBB69_14
; %bb.13:
	v_cmp_eq_u32_e32 vcc_lo, 1, v0
	v_dual_cndmask_b32 v30, v19, v21 :: v_dual_cndmask_b32 v31, v18, v20
	v_cmp_eq_u32_e32 vcc_lo, 2, v0
	s_delay_alu instid0(VALU_DEP_2) | instskip(SKIP_4) | instid1(VALU_DEP_2)
	v_dual_cndmask_b32 v32, v30, v23 :: v_dual_cndmask_b32 v33, v31, v22
	v_cmp_eq_u32_e32 vcc_lo, 3, v0
	ds_load_b64 v[30:31], v48
	v_dual_cndmask_b32 v25, v32, v25 :: v_dual_cndmask_b32 v24, v33, v24
	v_cmp_eq_u32_e32 vcc_lo, 4, v0
	v_dual_cndmask_b32 v25, v25, v27 :: v_dual_cndmask_b32 v24, v24, v26
	v_cmp_eq_u32_e32 vcc_lo, 5, v0
	s_delay_alu instid0(VALU_DEP_2) | instskip(SKIP_1) | instid1(VALU_DEP_1)
	v_dual_cndmask_b32 v25, v25, v29 :: v_dual_cndmask_b32 v24, v24, v28
	s_waitcnt lgkmcnt(0)
	v_mul_f64 v[24:25], v[24:25], v[30:31]
	s_cbranch_execz .LBB69_15
	s_branch .LBB69_16
.LBB69_14:
                                        ; implicit-def: $vgpr24_vgpr25
.LBB69_15:
	ds_load_b64 v[24:25], v48
.LBB69_16:
	s_and_saveexec_b32 s3, s0
	s_cbranch_execz .LBB69_18
; %bb.17:
	v_mov_b32_e32 v30, 0
	ds_load_b64 v[30:31], v30 offset:80
	s_waitcnt lgkmcnt(0)
	v_fma_f64 v[24:25], v[26:27], v[30:31], v[24:25]
.LBB69_18:
	s_or_b32 exec_lo, exec_lo, s3
	v_mov_b32_e32 v30, 0
	ds_load_b64 v[30:31], v30 offset:24
	s_waitcnt lgkmcnt(0)
	v_mul_f64 v[24:25], v[24:25], v[30:31]
.LBB69_19:
	s_or_b32 exec_lo, exec_lo, s2
	v_cmp_lt_u32_e64 s0, 2, v0
	ds_store_b64 v48, v[22:23]
	s_waitcnt lgkmcnt(0)
	s_barrier
	buffer_gl0_inv
	s_and_saveexec_b32 s4, s0
	s_cbranch_execz .LBB69_35
; %bb.20:
	s_and_not1_b32 vcc_lo, exec_lo, s6
	s_cbranch_vccnz .LBB69_22
; %bb.21:
	v_cmp_eq_u32_e32 vcc_lo, 1, v0
	v_dual_cndmask_b32 v46, v19, v21 :: v_dual_cndmask_b32 v47, v18, v20
	v_cmp_eq_u32_e32 vcc_lo, 2, v0
	s_delay_alu instid0(VALU_DEP_2) | instskip(SKIP_4) | instid1(VALU_DEP_2)
	v_dual_cndmask_b32 v49, v46, v23 :: v_dual_cndmask_b32 v50, v47, v22
	v_cmp_eq_u32_e32 vcc_lo, 3, v0
	ds_load_b64 v[46:47], v48
	v_dual_cndmask_b32 v49, v49, v25 :: v_dual_cndmask_b32 v50, v50, v24
	v_cmp_eq_u32_e32 vcc_lo, 4, v0
	v_cndmask_b32_e32 v49, v49, v27, vcc_lo
	s_delay_alu instid0(VALU_DEP_3) | instskip(SKIP_1) | instid1(VALU_DEP_2)
	v_cndmask_b32_e32 v51, v50, v26, vcc_lo
	v_cmp_eq_u32_e32 vcc_lo, 5, v0
	v_dual_cndmask_b32 v50, v49, v29 :: v_dual_cndmask_b32 v49, v51, v28
	s_waitcnt lgkmcnt(0)
	s_delay_alu instid0(VALU_DEP_1)
	v_mul_f64 v[46:47], v[49:50], v[46:47]
	s_cbranch_execz .LBB69_23
	s_branch .LBB69_24
.LBB69_22:
                                        ; implicit-def: $vgpr46_vgpr47
.LBB69_23:
	ds_load_b64 v[46:47], v48
.LBB69_24:
	s_and_saveexec_b32 s5, s1
	s_cbranch_execz .LBB69_34
; %bb.25:
	v_dual_mov_b32 v51, 3 :: v_dual_add_nc_u32 v50, -4, v0
	v_add_nc_u32_e32 v49, -3, v0
	s_mov_b32 s1, exec_lo
	s_delay_alu instid0(VALU_DEP_2)
	v_cmpx_lt_u32_e32 6, v50
	s_cbranch_execz .LBB69_29
; %bb.26:
	s_delay_alu instid0(VALU_DEP_2) | instskip(SKIP_3) | instid1(VALU_DEP_1)
	v_and_b32_e32 v50, -8, v49
	s_mov_b32 s7, 0
	s_mov_b64 s[2:3], 10
	s_movk_i32 s8, 0x48
	v_sub_nc_u32_e32 v50, 0, v50
.LBB69_27:                              ; =>This Inner Loop Header: Depth=1
	v_mov_b32_e32 v61, s8
	s_lshl_b32 s9, s2, 1
	s_delay_alu instid0(SALU_CYCLE_1)
	s_add_i32 m0, s9, -13
	v_movrels_b32_e32 v60, v18
	ds_load_2addr_b64 v[51:54], v61 offset1:1
	ds_load_2addr_b64 v[55:58], v61 offset0:2 offset1:3
	s_add_i32 m0, s9, -14
	v_movrels_b32_e32 v59, v18
	s_add_i32 m0, s9, -11
	s_waitcnt lgkmcnt(1)
	s_delay_alu instid0(VALU_DEP_1) | instskip(SKIP_4) | instid1(VALU_DEP_1)
	v_fma_f64 v[46:47], v[59:60], v[51:52], v[46:47]
	v_movrels_b32_e32 v52, v18
	s_add_i32 m0, s9, -12
	v_movrels_b32_e32 v51, v18
	s_add_i32 m0, s9, -9
	v_fma_f64 v[46:47], v[51:52], v[53:54], v[46:47]
	v_movrels_b32_e32 v52, v18
	s_add_i32 m0, s9, -10
	v_movrels_b32_e32 v51, v18
	s_add_i32 m0, s9, -7
	s_waitcnt lgkmcnt(0)
	s_delay_alu instid0(VALU_DEP_1)
	v_fma_f64 v[46:47], v[51:52], v[55:56], v[46:47]
	v_movrels_b32_e32 v52, v18
	s_add_i32 m0, s9, -8
	v_movrels_b32_e32 v51, v18
	s_add_i32 m0, s9, -5
	;; [unrolled: 2-line block ×4, first 2 shown]
	v_fma_f64 v[46:47], v[51:52], v[57:58], v[46:47]
	ds_load_2addr_b64 v[51:54], v61 offset0:4 offset1:5
	ds_load_2addr_b64 v[55:58], v61 offset0:6 offset1:7
	s_waitcnt lgkmcnt(1)
	v_fma_f64 v[46:47], v[59:60], v[51:52], v[46:47]
	v_movrels_b32_e32 v52, v18
	s_add_i32 m0, s9, -4
	v_movrels_b32_e32 v51, v18
	s_add_i32 m0, s9, -1
	s_delay_alu instid0(VALU_DEP_1)
	v_fma_f64 v[46:47], v[51:52], v[53:54], v[46:47]
	v_movrels_b32_e32 v52, v18
	s_add_i32 m0, s9, -2
	s_add_u32 s2, s2, 8
	v_movrels_b32_e32 v51, v18
	s_mov_b32 m0, s9
	s_addc_u32 s3, s3, 0
	s_add_i32 s9, s2, -7
	s_add_i32 s8, s8, 64
	s_waitcnt lgkmcnt(0)
	s_delay_alu instid0(VALU_DEP_3) | instskip(SKIP_2) | instid1(VALU_DEP_1)
	v_fma_f64 v[46:47], v[51:52], v[55:56], v[46:47]
	v_movrels_b32_e32 v52, v19
	v_movrels_b32_e32 v51, v18
	v_fma_f64 v[46:47], v[51:52], v[57:58], v[46:47]
	v_add_nc_u32_e32 v51, s2, v50
	s_delay_alu instid0(VALU_DEP_1) | instskip(SKIP_2) | instid1(SALU_CYCLE_1)
	v_cmp_eq_u32_e32 vcc_lo, 10, v51
	v_mov_b32_e32 v51, s9
	s_or_b32 s7, vcc_lo, s7
	s_and_not1_b32 exec_lo, exec_lo, s7
	s_cbranch_execnz .LBB69_27
; %bb.28:
	s_or_b32 exec_lo, exec_lo, s7
.LBB69_29:
	s_delay_alu instid0(SALU_CYCLE_1) | instskip(SKIP_3) | instid1(VALU_DEP_1)
	s_or_b32 exec_lo, exec_lo, s1
	v_and_b32_e32 v30, 7, v49
	s_mov_b32 s3, 0
	s_mov_b32 s2, exec_lo
	v_cmpx_ne_u32_e32 0, v30
	s_cbranch_execz .LBB69_33
; %bb.30:
	v_lshl_add_u32 v31, v51, 3, 48
	v_mov_b32_e32 v32, 0
	s_set_inst_prefetch_distance 0x1
	.p2align	6
.LBB69_31:                              ; =>This Inner Loop Header: Depth=1
	v_cmp_eq_u32_e32 vcc_lo, 1, v51
	v_cmp_eq_u32_e64 s1, 2, v51
	ds_load_b64 v[49:50], v31
	v_add_nc_u32_e32 v30, -1, v30
	v_add_nc_u32_e32 v31, 8, v31
	v_dual_cndmask_b32 v33, v19, v21 :: v_dual_cndmask_b32 v52, v18, v20
	v_cmp_eq_u32_e32 vcc_lo, 3, v51
	s_delay_alu instid0(VALU_DEP_2) | instskip(NEXT) | instid1(VALU_DEP_3)
	v_cndmask_b32_e64 v33, v33, v23, s1
	v_cndmask_b32_e64 v52, v52, v22, s1
	v_cmp_eq_u32_e64 s1, 4, v51
	s_delay_alu instid0(VALU_DEP_2) | instskip(SKIP_1) | instid1(VALU_DEP_2)
	v_dual_cndmask_b32 v33, v33, v25 :: v_dual_cndmask_b32 v52, v52, v24
	v_cmp_eq_u32_e32 vcc_lo, 5, v51
	v_cndmask_b32_e64 v33, v33, v27, s1
	s_delay_alu instid0(VALU_DEP_3) | instskip(SKIP_1) | instid1(VALU_DEP_1)
	v_cndmask_b32_e64 v52, v52, v26, s1
	v_add_co_u32 v51, s1, v51, 1
	v_add_co_ci_u32_e64 v32, s1, 0, v32, s1
	s_delay_alu instid0(VALU_DEP_3) | instskip(SKIP_2) | instid1(VALU_DEP_2)
	v_dual_cndmask_b32 v53, v33, v29 :: v_dual_cndmask_b32 v52, v52, v28
	v_cmp_eq_u32_e32 vcc_lo, 0, v30
	s_waitcnt lgkmcnt(0)
	v_fma_f64 v[46:47], v[52:53], v[49:50], v[46:47]
	s_or_b32 s3, vcc_lo, s3
	s_delay_alu instid0(SALU_CYCLE_1)
	s_and_not1_b32 exec_lo, exec_lo, s3
	s_cbranch_execnz .LBB69_31
; %bb.32:
	s_set_inst_prefetch_distance 0x2
	s_or_b32 exec_lo, exec_lo, s3
.LBB69_33:
	s_delay_alu instid0(SALU_CYCLE_1)
	s_or_b32 exec_lo, exec_lo, s2
.LBB69_34:
	s_delay_alu instid0(SALU_CYCLE_1)
	s_or_b32 exec_lo, exec_lo, s5
	v_mov_b32_e32 v22, 0
	ds_load_b64 v[22:23], v22 offset:16
	s_waitcnt lgkmcnt(0)
	v_mul_f64 v[22:23], v[46:47], v[22:23]
.LBB69_35:
	s_or_b32 exec_lo, exec_lo, s4
	v_cmp_lt_u32_e64 s1, 1, v0
	ds_store_b64 v48, v[20:21]
	s_waitcnt lgkmcnt(0)
	s_barrier
	buffer_gl0_inv
	s_and_saveexec_b32 s4, s1
	s_cbranch_execz .LBB69_51
; %bb.36:
	s_and_not1_b32 vcc_lo, exec_lo, s6
	s_cbranch_vccnz .LBB69_38
; %bb.37:
	v_cmp_eq_u32_e32 vcc_lo, 1, v0
	v_dual_cndmask_b32 v46, v19, v21 :: v_dual_cndmask_b32 v47, v18, v20
	v_cmp_eq_u32_e32 vcc_lo, 2, v0
	s_delay_alu instid0(VALU_DEP_2) | instskip(SKIP_4) | instid1(VALU_DEP_2)
	v_dual_cndmask_b32 v49, v46, v23 :: v_dual_cndmask_b32 v50, v47, v22
	v_cmp_eq_u32_e32 vcc_lo, 3, v0
	ds_load_b64 v[46:47], v48
	v_dual_cndmask_b32 v49, v49, v25 :: v_dual_cndmask_b32 v50, v50, v24
	v_cmp_eq_u32_e32 vcc_lo, 4, v0
	v_cndmask_b32_e32 v49, v49, v27, vcc_lo
	s_delay_alu instid0(VALU_DEP_3) | instskip(SKIP_1) | instid1(VALU_DEP_2)
	v_cndmask_b32_e32 v51, v50, v26, vcc_lo
	v_cmp_eq_u32_e32 vcc_lo, 5, v0
	v_dual_cndmask_b32 v50, v49, v29 :: v_dual_cndmask_b32 v49, v51, v28
	s_waitcnt lgkmcnt(0)
	s_delay_alu instid0(VALU_DEP_1)
	v_mul_f64 v[46:47], v[49:50], v[46:47]
	s_cbranch_execz .LBB69_39
	s_branch .LBB69_40
.LBB69_38:
                                        ; implicit-def: $vgpr46_vgpr47
.LBB69_39:
	ds_load_b64 v[46:47], v48
.LBB69_40:
	s_and_saveexec_b32 s5, s0
	s_cbranch_execz .LBB69_50
; %bb.41:
	v_dual_mov_b32 v51, 2 :: v_dual_add_nc_u32 v50, -3, v0
	v_add_nc_u32_e32 v49, -2, v0
	s_mov_b32 s0, exec_lo
	s_delay_alu instid0(VALU_DEP_2)
	v_cmpx_lt_u32_e32 6, v50
	s_cbranch_execz .LBB69_45
; %bb.42:
	s_delay_alu instid0(VALU_DEP_2) | instskip(SKIP_3) | instid1(VALU_DEP_1)
	v_and_b32_e32 v50, -8, v49
	s_mov_b32 s7, 0
	s_mov_b64 s[2:3], 9
	s_mov_b32 s8, 64
	v_sub_nc_u32_e32 v50, 0, v50
.LBB69_43:                              ; =>This Inner Loop Header: Depth=1
	v_mov_b32_e32 v61, s8
	s_lshl_b32 s9, s2, 1
	s_delay_alu instid0(SALU_CYCLE_1)
	s_add_i32 m0, s9, -13
	v_movrels_b32_e32 v60, v18
	ds_load_b128 v[51:54], v61
	ds_load_b128 v[55:58], v61 offset:16
	s_add_i32 m0, s9, -14
	v_movrels_b32_e32 v59, v18
	s_add_i32 m0, s9, -11
	s_waitcnt lgkmcnt(1)
	s_delay_alu instid0(VALU_DEP_1) | instskip(SKIP_4) | instid1(VALU_DEP_1)
	v_fma_f64 v[46:47], v[59:60], v[51:52], v[46:47]
	v_movrels_b32_e32 v52, v18
	s_add_i32 m0, s9, -12
	v_movrels_b32_e32 v51, v18
	s_add_i32 m0, s9, -9
	v_fma_f64 v[46:47], v[51:52], v[53:54], v[46:47]
	v_movrels_b32_e32 v52, v18
	s_add_i32 m0, s9, -10
	v_movrels_b32_e32 v51, v18
	s_add_i32 m0, s9, -7
	s_waitcnt lgkmcnt(0)
	s_delay_alu instid0(VALU_DEP_1)
	v_fma_f64 v[46:47], v[51:52], v[55:56], v[46:47]
	v_movrels_b32_e32 v52, v18
	s_add_i32 m0, s9, -8
	v_movrels_b32_e32 v51, v18
	s_add_i32 m0, s9, -5
	;; [unrolled: 2-line block ×4, first 2 shown]
	v_fma_f64 v[46:47], v[51:52], v[57:58], v[46:47]
	ds_load_b128 v[51:54], v61 offset:32
	ds_load_b128 v[55:58], v61 offset:48
	s_waitcnt lgkmcnt(1)
	v_fma_f64 v[46:47], v[59:60], v[51:52], v[46:47]
	v_movrels_b32_e32 v52, v18
	s_add_i32 m0, s9, -4
	v_movrels_b32_e32 v51, v18
	s_add_i32 m0, s9, -1
	s_delay_alu instid0(VALU_DEP_1)
	v_fma_f64 v[46:47], v[51:52], v[53:54], v[46:47]
	v_movrels_b32_e32 v52, v18
	s_add_i32 m0, s9, -2
	s_add_u32 s2, s2, 8
	v_movrels_b32_e32 v51, v18
	s_mov_b32 m0, s9
	s_addc_u32 s3, s3, 0
	s_add_i32 s9, s2, -7
	s_add_i32 s8, s8, 64
	s_waitcnt lgkmcnt(0)
	s_delay_alu instid0(VALU_DEP_3) | instskip(SKIP_2) | instid1(VALU_DEP_1)
	v_fma_f64 v[46:47], v[51:52], v[55:56], v[46:47]
	v_movrels_b32_e32 v52, v19
	v_movrels_b32_e32 v51, v18
	v_fma_f64 v[46:47], v[51:52], v[57:58], v[46:47]
	v_add_nc_u32_e32 v51, s2, v50
	s_delay_alu instid0(VALU_DEP_1) | instskip(SKIP_2) | instid1(SALU_CYCLE_1)
	v_cmp_eq_u32_e32 vcc_lo, 9, v51
	v_mov_b32_e32 v51, s9
	s_or_b32 s7, vcc_lo, s7
	s_and_not1_b32 exec_lo, exec_lo, s7
	s_cbranch_execnz .LBB69_43
; %bb.44:
	s_or_b32 exec_lo, exec_lo, s7
.LBB69_45:
	s_delay_alu instid0(SALU_CYCLE_1) | instskip(SKIP_3) | instid1(VALU_DEP_1)
	s_or_b32 exec_lo, exec_lo, s0
	v_and_b32_e32 v30, 7, v49
	s_mov_b32 s3, 0
	s_mov_b32 s2, exec_lo
	v_cmpx_ne_u32_e32 0, v30
	s_cbranch_execz .LBB69_49
; %bb.46:
	v_lshl_add_u32 v31, v51, 3, 48
	v_mov_b32_e32 v32, 0
	s_set_inst_prefetch_distance 0x1
	.p2align	6
.LBB69_47:                              ; =>This Inner Loop Header: Depth=1
	v_cmp_eq_u32_e32 vcc_lo, 1, v51
	v_cmp_eq_u32_e64 s0, 2, v51
	ds_load_b64 v[49:50], v31
	v_add_nc_u32_e32 v30, -1, v30
	v_add_nc_u32_e32 v31, 8, v31
	v_dual_cndmask_b32 v33, v19, v21 :: v_dual_cndmask_b32 v52, v18, v20
	v_cmp_eq_u32_e32 vcc_lo, 3, v51
	s_delay_alu instid0(VALU_DEP_2) | instskip(NEXT) | instid1(VALU_DEP_3)
	v_cndmask_b32_e64 v33, v33, v23, s0
	v_cndmask_b32_e64 v52, v52, v22, s0
	v_cmp_eq_u32_e64 s0, 4, v51
	s_delay_alu instid0(VALU_DEP_2) | instskip(SKIP_1) | instid1(VALU_DEP_2)
	v_dual_cndmask_b32 v33, v33, v25 :: v_dual_cndmask_b32 v52, v52, v24
	v_cmp_eq_u32_e32 vcc_lo, 5, v51
	v_cndmask_b32_e64 v33, v33, v27, s0
	s_delay_alu instid0(VALU_DEP_3) | instskip(SKIP_1) | instid1(VALU_DEP_1)
	v_cndmask_b32_e64 v52, v52, v26, s0
	v_add_co_u32 v51, s0, v51, 1
	v_add_co_ci_u32_e64 v32, s0, 0, v32, s0
	s_delay_alu instid0(VALU_DEP_3) | instskip(SKIP_2) | instid1(VALU_DEP_2)
	v_dual_cndmask_b32 v53, v33, v29 :: v_dual_cndmask_b32 v52, v52, v28
	v_cmp_eq_u32_e32 vcc_lo, 0, v30
	s_waitcnt lgkmcnt(0)
	v_fma_f64 v[46:47], v[52:53], v[49:50], v[46:47]
	s_or_b32 s3, vcc_lo, s3
	s_delay_alu instid0(SALU_CYCLE_1)
	s_and_not1_b32 exec_lo, exec_lo, s3
	s_cbranch_execnz .LBB69_47
; %bb.48:
	s_set_inst_prefetch_distance 0x2
	s_or_b32 exec_lo, exec_lo, s3
.LBB69_49:
	s_delay_alu instid0(SALU_CYCLE_1)
	s_or_b32 exec_lo, exec_lo, s2
.LBB69_50:
	s_delay_alu instid0(SALU_CYCLE_1)
	s_or_b32 exec_lo, exec_lo, s5
	v_mov_b32_e32 v20, 0
	ds_load_b64 v[20:21], v20 offset:8
	s_waitcnt lgkmcnt(0)
	v_mul_f64 v[20:21], v[46:47], v[20:21]
.LBB69_51:
	s_or_b32 exec_lo, exec_lo, s4
	s_mov_b32 s2, 0
	s_mov_b32 s3, exec_lo
	ds_store_b64 v48, v[18:19]
	s_waitcnt lgkmcnt(0)
	s_barrier
	buffer_gl0_inv
	v_cmpx_ne_u32_e32 0, v0
	s_cbranch_execz .LBB69_67
; %bb.52:
	s_and_not1_b32 vcc_lo, exec_lo, s6
	s_cbranch_vccnz .LBB69_54
; %bb.53:
	v_cmp_eq_u32_e32 vcc_lo, 1, v0
	v_dual_cndmask_b32 v46, v19, v21 :: v_dual_cndmask_b32 v47, v18, v20
	v_cmp_eq_u32_e32 vcc_lo, 2, v0
	s_delay_alu instid0(VALU_DEP_2) | instskip(SKIP_4) | instid1(VALU_DEP_2)
	v_dual_cndmask_b32 v49, v46, v23 :: v_dual_cndmask_b32 v50, v47, v22
	v_cmp_eq_u32_e32 vcc_lo, 3, v0
	ds_load_b64 v[46:47], v48
	v_dual_cndmask_b32 v49, v49, v25 :: v_dual_cndmask_b32 v50, v50, v24
	v_cmp_eq_u32_e32 vcc_lo, 4, v0
	v_cndmask_b32_e32 v49, v49, v27, vcc_lo
	s_delay_alu instid0(VALU_DEP_3) | instskip(SKIP_1) | instid1(VALU_DEP_2)
	v_cndmask_b32_e32 v51, v50, v26, vcc_lo
	v_cmp_eq_u32_e32 vcc_lo, 5, v0
	v_dual_cndmask_b32 v50, v49, v29 :: v_dual_cndmask_b32 v49, v51, v28
	s_waitcnt lgkmcnt(0)
	s_delay_alu instid0(VALU_DEP_1)
	v_mul_f64 v[46:47], v[49:50], v[46:47]
	s_cbranch_execz .LBB69_55
	s_branch .LBB69_56
.LBB69_54:
                                        ; implicit-def: $vgpr46_vgpr47
.LBB69_55:
	ds_load_b64 v[46:47], v48
.LBB69_56:
	s_and_saveexec_b32 s4, s1
	s_cbranch_execz .LBB69_66
; %bb.57:
	v_dual_mov_b32 v51, 1 :: v_dual_add_nc_u32 v50, -2, v0
	v_add_nc_u32_e32 v49, -1, v0
	s_mov_b32 s5, exec_lo
	s_delay_alu instid0(VALU_DEP_2)
	v_cmpx_lt_u32_e32 6, v50
	s_cbranch_execz .LBB69_61
; %bb.58:
	s_delay_alu instid0(VALU_DEP_2) | instskip(SKIP_3) | instid1(VALU_DEP_1)
	v_and_b32_e32 v50, -8, v49
	s_mov_b32 s7, 0
	s_mov_b64 s[0:1], 8
	s_mov_b32 s8, 56
	v_sub_nc_u32_e32 v50, 0, v50
.LBB69_59:                              ; =>This Inner Loop Header: Depth=1
	v_mov_b32_e32 v61, s8
	s_lshl_b32 s9, s0, 1
	s_delay_alu instid0(SALU_CYCLE_1)
	s_add_i32 m0, s9, -13
	v_movrels_b32_e32 v60, v18
	ds_load_2addr_b64 v[51:54], v61 offset1:1
	ds_load_2addr_b64 v[55:58], v61 offset0:2 offset1:3
	s_add_i32 m0, s9, -14
	v_movrels_b32_e32 v59, v18
	s_add_i32 m0, s9, -11
	s_waitcnt lgkmcnt(1)
	s_delay_alu instid0(VALU_DEP_1) | instskip(SKIP_4) | instid1(VALU_DEP_1)
	v_fma_f64 v[46:47], v[59:60], v[51:52], v[46:47]
	v_movrels_b32_e32 v52, v18
	s_add_i32 m0, s9, -12
	v_movrels_b32_e32 v51, v18
	s_add_i32 m0, s9, -9
	v_fma_f64 v[46:47], v[51:52], v[53:54], v[46:47]
	v_movrels_b32_e32 v52, v18
	s_add_i32 m0, s9, -10
	v_movrels_b32_e32 v51, v18
	s_add_i32 m0, s9, -7
	s_waitcnt lgkmcnt(0)
	s_delay_alu instid0(VALU_DEP_1)
	v_fma_f64 v[46:47], v[51:52], v[55:56], v[46:47]
	v_movrels_b32_e32 v52, v18
	s_add_i32 m0, s9, -8
	v_movrels_b32_e32 v51, v18
	s_add_i32 m0, s9, -5
	v_movrels_b32_e32 v60, v18
	s_add_i32 m0, s9, -6
	v_movrels_b32_e32 v59, v18
	s_add_i32 m0, s9, -3
	v_fma_f64 v[46:47], v[51:52], v[57:58], v[46:47]
	ds_load_2addr_b64 v[51:54], v61 offset0:4 offset1:5
	ds_load_2addr_b64 v[55:58], v61 offset0:6 offset1:7
	s_waitcnt lgkmcnt(1)
	v_fma_f64 v[46:47], v[59:60], v[51:52], v[46:47]
	v_movrels_b32_e32 v52, v18
	s_add_i32 m0, s9, -4
	v_movrels_b32_e32 v51, v18
	s_add_i32 m0, s9, -1
	s_delay_alu instid0(VALU_DEP_1)
	v_fma_f64 v[46:47], v[51:52], v[53:54], v[46:47]
	v_movrels_b32_e32 v52, v18
	s_add_i32 m0, s9, -2
	s_add_u32 s0, s0, 8
	v_movrels_b32_e32 v51, v18
	s_mov_b32 m0, s9
	s_addc_u32 s1, s1, 0
	s_add_i32 s9, s0, -7
	s_add_i32 s8, s8, 64
	s_waitcnt lgkmcnt(0)
	s_delay_alu instid0(VALU_DEP_3) | instskip(SKIP_2) | instid1(VALU_DEP_1)
	v_fma_f64 v[46:47], v[51:52], v[55:56], v[46:47]
	v_movrels_b32_e32 v52, v19
	v_movrels_b32_e32 v51, v18
	v_fma_f64 v[46:47], v[51:52], v[57:58], v[46:47]
	v_add_nc_u32_e32 v51, s0, v50
	s_delay_alu instid0(VALU_DEP_1) | instskip(SKIP_2) | instid1(SALU_CYCLE_1)
	v_cmp_eq_u32_e32 vcc_lo, 8, v51
	v_mov_b32_e32 v51, s9
	s_or_b32 s7, vcc_lo, s7
	s_and_not1_b32 exec_lo, exec_lo, s7
	s_cbranch_execnz .LBB69_59
; %bb.60:
	s_or_b32 exec_lo, exec_lo, s7
.LBB69_61:
	s_delay_alu instid0(SALU_CYCLE_1) | instskip(SKIP_3) | instid1(VALU_DEP_1)
	s_or_b32 exec_lo, exec_lo, s5
	v_and_b32_e32 v30, 7, v49
	s_mov_b32 s5, 0
	s_mov_b32 s1, exec_lo
	v_cmpx_ne_u32_e32 0, v30
	s_cbranch_execz .LBB69_65
; %bb.62:
	v_lshl_add_u32 v31, v51, 3, 48
	v_mov_b32_e32 v32, 0
	s_set_inst_prefetch_distance 0x1
	.p2align	6
.LBB69_63:                              ; =>This Inner Loop Header: Depth=1
	v_cmp_eq_u32_e32 vcc_lo, 1, v51
	v_cmp_eq_u32_e64 s0, 2, v51
	ds_load_b64 v[49:50], v31
	v_add_nc_u32_e32 v30, -1, v30
	v_add_nc_u32_e32 v31, 8, v31
	v_dual_cndmask_b32 v33, v19, v21 :: v_dual_cndmask_b32 v52, v18, v20
	v_cmp_eq_u32_e32 vcc_lo, 3, v51
	s_delay_alu instid0(VALU_DEP_2) | instskip(NEXT) | instid1(VALU_DEP_3)
	v_cndmask_b32_e64 v33, v33, v23, s0
	v_cndmask_b32_e64 v52, v52, v22, s0
	v_cmp_eq_u32_e64 s0, 4, v51
	s_delay_alu instid0(VALU_DEP_2) | instskip(SKIP_1) | instid1(VALU_DEP_2)
	v_dual_cndmask_b32 v33, v33, v25 :: v_dual_cndmask_b32 v52, v52, v24
	v_cmp_eq_u32_e32 vcc_lo, 5, v51
	v_cndmask_b32_e64 v33, v33, v27, s0
	s_delay_alu instid0(VALU_DEP_3) | instskip(SKIP_1) | instid1(VALU_DEP_1)
	v_cndmask_b32_e64 v52, v52, v26, s0
	v_add_co_u32 v51, s0, v51, 1
	v_add_co_ci_u32_e64 v32, s0, 0, v32, s0
	s_delay_alu instid0(VALU_DEP_3) | instskip(SKIP_2) | instid1(VALU_DEP_2)
	v_dual_cndmask_b32 v53, v33, v29 :: v_dual_cndmask_b32 v52, v52, v28
	v_cmp_eq_u32_e32 vcc_lo, 0, v30
	s_waitcnt lgkmcnt(0)
	v_fma_f64 v[46:47], v[52:53], v[49:50], v[46:47]
	s_or_b32 s5, vcc_lo, s5
	s_delay_alu instid0(SALU_CYCLE_1)
	s_and_not1_b32 exec_lo, exec_lo, s5
	s_cbranch_execnz .LBB69_63
; %bb.64:
	s_set_inst_prefetch_distance 0x2
	s_or_b32 exec_lo, exec_lo, s5
.LBB69_65:
	s_delay_alu instid0(SALU_CYCLE_1)
	s_or_b32 exec_lo, exec_lo, s1
.LBB69_66:
	s_delay_alu instid0(SALU_CYCLE_1)
	s_or_b32 exec_lo, exec_lo, s4
	v_mov_b32_e32 v18, 0
	ds_load_b64 v[18:19], v18
	s_waitcnt lgkmcnt(0)
	v_mul_f64 v[18:19], v[46:47], v[18:19]
.LBB69_67:
	s_or_b32 exec_lo, exec_lo, s3
	s_delay_alu instid0(SALU_CYCLE_1)
	s_and_b32 vcc_lo, exec_lo, s2
	s_cbranch_vccz .LBB69_113
.LBB69_68:
	v_cmp_eq_u32_e64 s0, 0, v0
	s_waitcnt vmcnt(5)
	ds_store_b64 v48, v[4:5]
	s_waitcnt vmcnt(0) lgkmcnt(0)
	s_barrier
	buffer_gl0_inv
	s_and_saveexec_b32 s1, s0
	s_cbranch_execz .LBB69_74
; %bb.69:
	s_and_b32 vcc_lo, exec_lo, s6
	s_cbranch_vccz .LBB69_71
; %bb.70:
	v_cmp_eq_u32_e32 vcc_lo, 1, v0
	v_dual_cndmask_b32 v5, v3, v5 :: v_dual_cndmask_b32 v4, v2, v4
	v_cmp_eq_u32_e32 vcc_lo, 2, v0
	s_delay_alu instid0(VALU_DEP_2) | instskip(SKIP_4) | instid1(VALU_DEP_2)
	v_dual_cndmask_b32 v14, v5, v7 :: v_dual_cndmask_b32 v15, v4, v6
	v_cmp_eq_u32_e32 vcc_lo, 3, v0
	ds_load_b64 v[4:5], v48
	v_dual_cndmask_b32 v14, v14, v9 :: v_dual_cndmask_b32 v15, v15, v8
	v_cmp_eq_u32_e32 vcc_lo, 4, v0
	v_cndmask_b32_e32 v14, v14, v11, vcc_lo
	s_delay_alu instid0(VALU_DEP_3) | instskip(SKIP_1) | instid1(VALU_DEP_2)
	v_cndmask_b32_e32 v16, v15, v10, vcc_lo
	v_cmp_eq_u32_e32 vcc_lo, 5, v0
	v_dual_cndmask_b32 v15, v14, v13 :: v_dual_cndmask_b32 v14, v16, v12
	s_waitcnt lgkmcnt(0)
	s_delay_alu instid0(VALU_DEP_1)
	v_mul_f64 v[4:5], v[14:15], v[4:5]
	s_cbranch_execz .LBB69_72
	s_branch .LBB69_73
.LBB69_71:
                                        ; implicit-def: $vgpr4_vgpr5
.LBB69_72:
	ds_load_b64 v[4:5], v48
.LBB69_73:
	v_mov_b32_e32 v14, 0
	ds_load_b64 v[14:15], v14 offset:8
	s_waitcnt lgkmcnt(0)
	v_mul_f64 v[4:5], v[4:5], v[14:15]
.LBB69_74:
	s_or_b32 exec_lo, exec_lo, s1
	v_add_nc_u32_e32 v19, 1, v0
	v_cndmask_b32_e64 v18, 0, 1, s6
	s_mov_b32 s1, exec_lo
	ds_store_b64 v48, v[6:7]
	s_waitcnt lgkmcnt(0)
	s_barrier
	buffer_gl0_inv
	v_cmpx_gt_u32_e32 2, v0
	s_cbranch_execz .LBB69_82
; %bb.75:
	s_and_not1_b32 vcc_lo, exec_lo, s6
	s_cbranch_vccnz .LBB69_77
; %bb.76:
	v_cmp_eq_u32_e32 vcc_lo, 1, v0
	v_dual_cndmask_b32 v14, v3, v5 :: v_dual_cndmask_b32 v15, v2, v4
	v_cmp_eq_u32_e32 vcc_lo, 2, v0
	s_delay_alu instid0(VALU_DEP_2) | instskip(SKIP_4) | instid1(VALU_DEP_2)
	v_dual_cndmask_b32 v16, v14, v7 :: v_dual_cndmask_b32 v17, v15, v6
	v_cmp_eq_u32_e32 vcc_lo, 3, v0
	ds_load_b64 v[14:15], v48
	v_dual_cndmask_b32 v16, v16, v9 :: v_dual_cndmask_b32 v17, v17, v8
	v_cmp_eq_u32_e32 vcc_lo, 4, v0
	v_cndmask_b32_e32 v16, v16, v11, vcc_lo
	s_delay_alu instid0(VALU_DEP_3) | instskip(SKIP_1) | instid1(VALU_DEP_3)
	v_cndmask_b32_e32 v20, v17, v10, vcc_lo
	v_cmp_eq_u32_e32 vcc_lo, 5, v0
	v_cndmask_b32_e32 v17, v16, v13, vcc_lo
	s_delay_alu instid0(VALU_DEP_3) | instskip(SKIP_1) | instid1(VALU_DEP_1)
	v_cndmask_b32_e32 v16, v20, v12, vcc_lo
	s_waitcnt lgkmcnt(0)
	v_mul_f64 v[14:15], v[16:17], v[14:15]
	s_cbranch_execz .LBB69_78
	s_branch .LBB69_79
.LBB69_77:
                                        ; implicit-def: $vgpr14_vgpr15
.LBB69_78:
	ds_load_b64 v[14:15], v48
.LBB69_79:
	s_and_saveexec_b32 s2, s0
	s_cbranch_execz .LBB69_81
; %bb.80:
	v_cmp_eq_u32_e32 vcc_lo, 1, v19
	v_dual_cndmask_b32 v16, v3, v5 :: v_dual_cndmask_b32 v17, v2, v4
	v_cmp_eq_u32_e32 vcc_lo, 2, v19
	s_delay_alu instid0(VALU_DEP_2) | instskip(SKIP_4) | instid1(VALU_DEP_2)
	v_dual_cndmask_b32 v16, v16, v7 :: v_dual_cndmask_b32 v17, v17, v6
	v_cmp_eq_u32_e32 vcc_lo, 3, v19
	ds_load_b64 v[6:7], v48 offset:8
	v_dual_cndmask_b32 v16, v16, v9 :: v_dual_cndmask_b32 v17, v17, v8
	v_cmp_eq_u32_e32 vcc_lo, 4, v19
	v_cndmask_b32_e32 v16, v16, v11, vcc_lo
	s_delay_alu instid0(VALU_DEP_3) | instskip(SKIP_1) | instid1(VALU_DEP_3)
	v_cndmask_b32_e32 v20, v17, v10, vcc_lo
	v_cmp_eq_u32_e32 vcc_lo, 5, v19
	v_cndmask_b32_e32 v17, v16, v13, vcc_lo
	s_delay_alu instid0(VALU_DEP_3) | instskip(SKIP_1) | instid1(VALU_DEP_1)
	v_cndmask_b32_e32 v16, v20, v12, vcc_lo
	s_waitcnt lgkmcnt(0)
	v_fma_f64 v[14:15], v[16:17], v[6:7], v[14:15]
.LBB69_81:
	s_or_b32 exec_lo, exec_lo, s2
	v_mov_b32_e32 v6, 0
	ds_load_b64 v[6:7], v6 offset:16
	s_waitcnt lgkmcnt(0)
	v_mul_f64 v[6:7], v[14:15], v[6:7]
.LBB69_82:
	s_or_b32 exec_lo, exec_lo, s1
	s_delay_alu instid0(SALU_CYCLE_1)
	s_mov_b32 s1, exec_lo
	ds_store_b64 v48, v[8:9]
	s_waitcnt lgkmcnt(0)
	s_barrier
	buffer_gl0_inv
	v_cmpx_gt_u32_e32 3, v0
	s_cbranch_execz .LBB69_92
; %bb.83:
	v_cmp_ne_u32_e32 vcc_lo, 1, v18
	s_cbranch_vccnz .LBB69_85
; %bb.84:
	v_cmp_eq_u32_e32 vcc_lo, 1, v0
	v_dual_cndmask_b32 v14, v3, v5 :: v_dual_cndmask_b32 v15, v2, v4
	v_cmp_eq_u32_e32 vcc_lo, 2, v0
	s_delay_alu instid0(VALU_DEP_2) | instskip(SKIP_4) | instid1(VALU_DEP_2)
	v_dual_cndmask_b32 v16, v14, v7 :: v_dual_cndmask_b32 v17, v15, v6
	v_cmp_eq_u32_e32 vcc_lo, 3, v0
	ds_load_b64 v[14:15], v48
	v_dual_cndmask_b32 v16, v16, v9 :: v_dual_cndmask_b32 v17, v17, v8
	v_cmp_eq_u32_e32 vcc_lo, 4, v0
	v_cndmask_b32_e32 v16, v16, v11, vcc_lo
	s_delay_alu instid0(VALU_DEP_3) | instskip(SKIP_1) | instid1(VALU_DEP_3)
	v_cndmask_b32_e32 v20, v17, v10, vcc_lo
	v_cmp_eq_u32_e32 vcc_lo, 5, v0
	v_cndmask_b32_e32 v17, v16, v13, vcc_lo
	s_delay_alu instid0(VALU_DEP_3) | instskip(SKIP_1) | instid1(VALU_DEP_1)
	v_cndmask_b32_e32 v16, v20, v12, vcc_lo
	s_waitcnt lgkmcnt(0)
	v_mul_f64 v[14:15], v[16:17], v[14:15]
	s_cbranch_execz .LBB69_86
	s_branch .LBB69_87
.LBB69_85:
                                        ; implicit-def: $vgpr14_vgpr15
.LBB69_86:
	ds_load_b64 v[14:15], v48
.LBB69_87:
	s_mov_b32 s2, exec_lo
	v_cmpx_ne_u32_e32 2, v0
	s_cbranch_execz .LBB69_91
; %bb.88:
	v_cmp_eq_u32_e32 vcc_lo, 1, v19
	v_dual_cndmask_b32 v16, v3, v5 :: v_dual_cndmask_b32 v17, v2, v4
	v_cmp_eq_u32_e32 vcc_lo, 2, v19
	s_delay_alu instid0(VALU_DEP_2) | instskip(SKIP_4) | instid1(VALU_DEP_2)
	v_dual_cndmask_b32 v20, v16, v7 :: v_dual_cndmask_b32 v21, v17, v6
	v_cmp_eq_u32_e32 vcc_lo, 3, v19
	ds_load_b64 v[16:17], v48 offset:8
	v_dual_cndmask_b32 v9, v20, v9 :: v_dual_cndmask_b32 v8, v21, v8
	v_cmp_eq_u32_e32 vcc_lo, 4, v19
	v_dual_cndmask_b32 v9, v9, v11 :: v_dual_cndmask_b32 v8, v8, v10
	v_cmp_eq_u32_e32 vcc_lo, 5, v19
	s_delay_alu instid0(VALU_DEP_2) | instskip(SKIP_1) | instid1(VALU_DEP_1)
	v_dual_cndmask_b32 v9, v9, v13 :: v_dual_cndmask_b32 v8, v8, v12
	s_waitcnt lgkmcnt(0)
	v_fma_f64 v[14:15], v[8:9], v[16:17], v[14:15]
	s_and_saveexec_b32 s3, s0
	s_cbranch_execz .LBB69_90
; %bb.89:
	v_mov_b32_e32 v8, 0
	ds_load_b64 v[8:9], v8 offset:64
	s_waitcnt lgkmcnt(0)
	v_fma_f64 v[14:15], v[6:7], v[8:9], v[14:15]
.LBB69_90:
	s_or_b32 exec_lo, exec_lo, s3
.LBB69_91:
	s_delay_alu instid0(SALU_CYCLE_1)
	s_or_b32 exec_lo, exec_lo, s2
	v_mov_b32_e32 v8, 0
	ds_load_b64 v[8:9], v8 offset:24
	s_waitcnt lgkmcnt(0)
	v_mul_f64 v[8:9], v[14:15], v[8:9]
.LBB69_92:
	s_or_b32 exec_lo, exec_lo, s1
	v_cmp_gt_u32_e64 s0, 4, v0
	ds_store_b64 v48, v[10:11]
	s_waitcnt lgkmcnt(0)
	s_barrier
	buffer_gl0_inv
	s_and_saveexec_b32 s2, s0
	s_cbranch_execz .LBB69_102
; %bb.93:
	v_cmp_ne_u32_e32 vcc_lo, 1, v18
	s_cbranch_vccnz .LBB69_95
; %bb.94:
	v_cmp_eq_u32_e32 vcc_lo, 1, v0
	v_dual_cndmask_b32 v14, v3, v5 :: v_dual_cndmask_b32 v15, v2, v4
	v_cmp_eq_u32_e32 vcc_lo, 2, v0
	s_delay_alu instid0(VALU_DEP_2) | instskip(SKIP_4) | instid1(VALU_DEP_2)
	v_dual_cndmask_b32 v16, v14, v7 :: v_dual_cndmask_b32 v17, v15, v6
	v_cmp_eq_u32_e32 vcc_lo, 3, v0
	ds_load_b64 v[14:15], v48
	v_dual_cndmask_b32 v16, v16, v9 :: v_dual_cndmask_b32 v17, v17, v8
	v_cmp_eq_u32_e32 vcc_lo, 4, v0
	v_dual_cndmask_b32 v16, v16, v11 :: v_dual_cndmask_b32 v19, v17, v10
	v_cmp_eq_u32_e32 vcc_lo, 5, v0
	s_delay_alu instid0(VALU_DEP_2) | instskip(SKIP_1) | instid1(VALU_DEP_1)
	v_dual_cndmask_b32 v17, v16, v13 :: v_dual_cndmask_b32 v16, v19, v12
	s_waitcnt lgkmcnt(0)
	v_mul_f64 v[14:15], v[16:17], v[14:15]
	s_cbranch_execz .LBB69_96
	s_branch .LBB69_97
.LBB69_95:
                                        ; implicit-def: $vgpr14_vgpr15
.LBB69_96:
	ds_load_b64 v[14:15], v48
.LBB69_97:
	s_mov_b32 s3, exec_lo
	v_cmpx_ne_u32_e32 3, v0
	s_cbranch_execz .LBB69_101
; %bb.98:
	v_lshl_add_u32 v19, v0, 3, 56
	v_dual_mov_b32 v17, v1 :: v_dual_mov_b32 v16, v0
	s_mov_b32 s4, 0
	s_set_inst_prefetch_distance 0x1
	.p2align	6
.LBB69_99:                              ; =>This Inner Loop Header: Depth=1
	s_delay_alu instid0(VALU_DEP_1) | instskip(NEXT) | instid1(VALU_DEP_2)
	v_add_co_u32 v16, vcc_lo, v16, 1
	v_add_co_ci_u32_e32 v17, vcc_lo, 0, v17, vcc_lo
	ds_load_b64 v[20:21], v19
	v_cmp_eq_u32_e32 vcc_lo, 1, v16
	v_cmp_eq_u32_e64 s1, 2, v16
	v_dual_cndmask_b32 v22, v3, v5 :: v_dual_add_nc_u32 v19, 8, v19
	v_cndmask_b32_e32 v23, v2, v4, vcc_lo
	v_cmp_eq_u32_e32 vcc_lo, 3, v16
	s_delay_alu instid0(VALU_DEP_3) | instskip(NEXT) | instid1(VALU_DEP_3)
	v_cndmask_b32_e64 v22, v22, v7, s1
	v_cndmask_b32_e64 v23, v23, v6, s1
	v_cmp_eq_u32_e64 s1, 4, v16
	s_delay_alu instid0(VALU_DEP_2) | instskip(SKIP_1) | instid1(VALU_DEP_2)
	v_dual_cndmask_b32 v22, v22, v9 :: v_dual_cndmask_b32 v23, v23, v8
	v_cmp_eq_u32_e32 vcc_lo, 5, v16
	v_cndmask_b32_e64 v22, v22, v11, s1
	s_delay_alu instid0(VALU_DEP_3) | instskip(NEXT) | instid1(VALU_DEP_1)
	v_cndmask_b32_e64 v24, v23, v10, s1
	v_dual_cndmask_b32 v23, v22, v13 :: v_dual_cndmask_b32 v22, v24, v12
	v_cmp_lt_u32_e32 vcc_lo, 2, v16
	s_waitcnt lgkmcnt(0)
	s_delay_alu instid0(VALU_DEP_2) | instskip(SKIP_1) | instid1(SALU_CYCLE_1)
	v_fma_f64 v[14:15], v[22:23], v[20:21], v[14:15]
	s_or_b32 s4, vcc_lo, s4
	s_and_not1_b32 exec_lo, exec_lo, s4
	s_cbranch_execnz .LBB69_99
; %bb.100:
	s_set_inst_prefetch_distance 0x2
	s_or_b32 exec_lo, exec_lo, s4
.LBB69_101:
	s_delay_alu instid0(SALU_CYCLE_1)
	s_or_b32 exec_lo, exec_lo, s3
	v_mov_b32_e32 v10, 0
	ds_load_b64 v[10:11], v10 offset:32
	s_waitcnt lgkmcnt(0)
	v_mul_f64 v[10:11], v[14:15], v[10:11]
.LBB69_102:
	s_or_b32 exec_lo, exec_lo, s2
	s_delay_alu instid0(SALU_CYCLE_1)
	s_mov_b32 s1, exec_lo
	ds_store_b64 v48, v[12:13]
	s_waitcnt lgkmcnt(0)
	s_barrier
	buffer_gl0_inv
	v_cmpx_ne_u32_e32 5, v0
	s_cbranch_execz .LBB69_112
; %bb.103:
	v_cmp_ne_u32_e32 vcc_lo, 1, v18
	s_cbranch_vccnz .LBB69_105
; %bb.104:
	v_cmp_eq_u32_e32 vcc_lo, 1, v0
	v_dual_cndmask_b32 v14, v3, v5 :: v_dual_cndmask_b32 v15, v2, v4
	v_cmp_eq_u32_e32 vcc_lo, 2, v0
	s_delay_alu instid0(VALU_DEP_2) | instskip(SKIP_4) | instid1(VALU_DEP_2)
	v_dual_cndmask_b32 v16, v14, v7 :: v_dual_cndmask_b32 v17, v15, v6
	v_cmp_eq_u32_e32 vcc_lo, 3, v0
	ds_load_b64 v[14:15], v48
	v_dual_cndmask_b32 v16, v16, v9 :: v_dual_cndmask_b32 v17, v17, v8
	v_cmp_eq_u32_e32 vcc_lo, 4, v0
	v_cndmask_b32_e32 v16, v16, v11, vcc_lo
	s_delay_alu instid0(VALU_DEP_3) | instskip(SKIP_1) | instid1(VALU_DEP_2)
	v_cndmask_b32_e32 v18, v17, v10, vcc_lo
	v_cmp_eq_u32_e32 vcc_lo, 5, v0
	v_dual_cndmask_b32 v17, v16, v13 :: v_dual_cndmask_b32 v16, v18, v12
	s_waitcnt lgkmcnt(0)
	s_delay_alu instid0(VALU_DEP_1)
	v_mul_f64 v[14:15], v[16:17], v[14:15]
	s_cbranch_execz .LBB69_106
	s_branch .LBB69_107
.LBB69_105:
                                        ; implicit-def: $vgpr14_vgpr15
.LBB69_106:
	ds_load_b64 v[14:15], v48
.LBB69_107:
	s_and_saveexec_b32 s2, s0
	s_cbranch_execz .LBB69_111
; %bb.108:
	v_lshl_add_u32 v16, v0, 3, 56
	s_mov_b32 s3, 0
	s_set_inst_prefetch_distance 0x1
	.p2align	6
.LBB69_109:                             ; =>This Inner Loop Header: Depth=1
	v_add_co_u32 v0, vcc_lo, v0, 1
	v_add_co_ci_u32_e32 v1, vcc_lo, 0, v1, vcc_lo
	ds_load_b64 v[17:18], v16
	v_cmp_eq_u32_e32 vcc_lo, 1, v0
	v_cmp_eq_u32_e64 s0, 2, v0
	v_dual_cndmask_b32 v19, v3, v5 :: v_dual_add_nc_u32 v16, 8, v16
	v_cndmask_b32_e32 v20, v2, v4, vcc_lo
	v_cmp_eq_u32_e32 vcc_lo, 3, v0
	s_delay_alu instid0(VALU_DEP_3) | instskip(NEXT) | instid1(VALU_DEP_3)
	v_cndmask_b32_e64 v19, v19, v7, s0
	v_cndmask_b32_e64 v20, v20, v6, s0
	v_cmp_eq_u32_e64 s0, 4, v0
	s_delay_alu instid0(VALU_DEP_2) | instskip(SKIP_1) | instid1(VALU_DEP_2)
	v_dual_cndmask_b32 v19, v19, v9 :: v_dual_cndmask_b32 v20, v20, v8
	v_cmp_eq_u32_e32 vcc_lo, 5, v0
	v_cndmask_b32_e64 v19, v19, v11, s0
	s_delay_alu instid0(VALU_DEP_3) | instskip(NEXT) | instid1(VALU_DEP_1)
	v_cndmask_b32_e64 v21, v20, v10, s0
	v_dual_cndmask_b32 v20, v19, v13 :: v_dual_cndmask_b32 v19, v21, v12
	v_cmp_lt_u32_e32 vcc_lo, 3, v0
	s_waitcnt lgkmcnt(0)
	s_delay_alu instid0(VALU_DEP_2) | instskip(SKIP_1) | instid1(SALU_CYCLE_1)
	v_fma_f64 v[14:15], v[19:20], v[17:18], v[14:15]
	s_or_b32 s3, vcc_lo, s3
	s_and_not1_b32 exec_lo, exec_lo, s3
	s_cbranch_execnz .LBB69_109
; %bb.110:
	s_set_inst_prefetch_distance 0x2
	s_or_b32 exec_lo, exec_lo, s3
.LBB69_111:
	s_delay_alu instid0(SALU_CYCLE_1)
	s_or_b32 exec_lo, exec_lo, s2
	v_mov_b32_e32 v0, 0
	ds_load_b64 v[0:1], v0 offset:40
	s_waitcnt lgkmcnt(0)
	v_mul_f64 v[12:13], v[14:15], v[0:1]
.LBB69_112:
	s_or_b32 exec_lo, exec_lo, s1
	v_dual_mov_b32 v33, v17 :: v_dual_mov_b32 v32, v16
	v_dual_mov_b32 v31, v15 :: v_dual_mov_b32 v30, v14
	s_delay_alu instid0(VALU_DEP_3)
	v_dual_mov_b32 v29, v13 :: v_dual_mov_b32 v28, v12
	v_dual_mov_b32 v27, v11 :: v_dual_mov_b32 v26, v10
	;; [unrolled: 1-line block ×6, first 2 shown]
.LBB69_113:
	s_clause 0x5
	global_store_b64 v[42:43], v[18:19], off
	global_store_b64 v[44:45], v[20:21], off
	;; [unrolled: 1-line block ×6, first 2 shown]
.LBB69_114:
	s_nop 0
	s_sendmsg sendmsg(MSG_DEALLOC_VGPRS)
	s_endpgm
	.section	.rodata,"a",@progbits
	.p2align	6, 0x0
	.amdhsa_kernel _ZN9rocsolver6v33100L18trti2_kernel_smallILi6EdPKPdEEv13rocblas_fill_17rocblas_diagonal_T1_iil
		.amdhsa_group_segment_fixed_size 96
		.amdhsa_private_segment_fixed_size 0
		.amdhsa_kernarg_size 32
		.amdhsa_user_sgpr_count 15
		.amdhsa_user_sgpr_dispatch_ptr 0
		.amdhsa_user_sgpr_queue_ptr 0
		.amdhsa_user_sgpr_kernarg_segment_ptr 1
		.amdhsa_user_sgpr_dispatch_id 0
		.amdhsa_user_sgpr_private_segment_size 0
		.amdhsa_wavefront_size32 1
		.amdhsa_uses_dynamic_stack 0
		.amdhsa_enable_private_segment 0
		.amdhsa_system_sgpr_workgroup_id_x 1
		.amdhsa_system_sgpr_workgroup_id_y 0
		.amdhsa_system_sgpr_workgroup_id_z 0
		.amdhsa_system_sgpr_workgroup_info 0
		.amdhsa_system_vgpr_workitem_id 0
		.amdhsa_next_free_vgpr 62
		.amdhsa_next_free_sgpr 16
		.amdhsa_reserve_vcc 1
		.amdhsa_float_round_mode_32 0
		.amdhsa_float_round_mode_16_64 0
		.amdhsa_float_denorm_mode_32 3
		.amdhsa_float_denorm_mode_16_64 3
		.amdhsa_dx10_clamp 1
		.amdhsa_ieee_mode 1
		.amdhsa_fp16_overflow 0
		.amdhsa_workgroup_processor_mode 1
		.amdhsa_memory_ordered 1
		.amdhsa_forward_progress 0
		.amdhsa_shared_vgpr_count 0
		.amdhsa_exception_fp_ieee_invalid_op 0
		.amdhsa_exception_fp_denorm_src 0
		.amdhsa_exception_fp_ieee_div_zero 0
		.amdhsa_exception_fp_ieee_overflow 0
		.amdhsa_exception_fp_ieee_underflow 0
		.amdhsa_exception_fp_ieee_inexact 0
		.amdhsa_exception_int_div_zero 0
	.end_amdhsa_kernel
	.section	.text._ZN9rocsolver6v33100L18trti2_kernel_smallILi6EdPKPdEEv13rocblas_fill_17rocblas_diagonal_T1_iil,"axG",@progbits,_ZN9rocsolver6v33100L18trti2_kernel_smallILi6EdPKPdEEv13rocblas_fill_17rocblas_diagonal_T1_iil,comdat
.Lfunc_end69:
	.size	_ZN9rocsolver6v33100L18trti2_kernel_smallILi6EdPKPdEEv13rocblas_fill_17rocblas_diagonal_T1_iil, .Lfunc_end69-_ZN9rocsolver6v33100L18trti2_kernel_smallILi6EdPKPdEEv13rocblas_fill_17rocblas_diagonal_T1_iil
                                        ; -- End function
	.section	.AMDGPU.csdata,"",@progbits
; Kernel info:
; codeLenInByte = 5336
; NumSgprs: 18
; NumVgprs: 62
; ScratchSize: 0
; MemoryBound: 0
; FloatMode: 240
; IeeeMode: 1
; LDSByteSize: 96 bytes/workgroup (compile time only)
; SGPRBlocks: 2
; VGPRBlocks: 7
; NumSGPRsForWavesPerEU: 18
; NumVGPRsForWavesPerEU: 62
; Occupancy: 16
; WaveLimiterHint : 1
; COMPUTE_PGM_RSRC2:SCRATCH_EN: 0
; COMPUTE_PGM_RSRC2:USER_SGPR: 15
; COMPUTE_PGM_RSRC2:TRAP_HANDLER: 0
; COMPUTE_PGM_RSRC2:TGID_X_EN: 1
; COMPUTE_PGM_RSRC2:TGID_Y_EN: 0
; COMPUTE_PGM_RSRC2:TGID_Z_EN: 0
; COMPUTE_PGM_RSRC2:TIDIG_COMP_CNT: 0
	.section	.text._ZN9rocsolver6v33100L18trti2_kernel_smallILi7EdPKPdEEv13rocblas_fill_17rocblas_diagonal_T1_iil,"axG",@progbits,_ZN9rocsolver6v33100L18trti2_kernel_smallILi7EdPKPdEEv13rocblas_fill_17rocblas_diagonal_T1_iil,comdat
	.globl	_ZN9rocsolver6v33100L18trti2_kernel_smallILi7EdPKPdEEv13rocblas_fill_17rocblas_diagonal_T1_iil ; -- Begin function _ZN9rocsolver6v33100L18trti2_kernel_smallILi7EdPKPdEEv13rocblas_fill_17rocblas_diagonal_T1_iil
	.p2align	8
	.type	_ZN9rocsolver6v33100L18trti2_kernel_smallILi7EdPKPdEEv13rocblas_fill_17rocblas_diagonal_T1_iil,@function
_ZN9rocsolver6v33100L18trti2_kernel_smallILi7EdPKPdEEv13rocblas_fill_17rocblas_diagonal_T1_iil: ; @_ZN9rocsolver6v33100L18trti2_kernel_smallILi7EdPKPdEEv13rocblas_fill_17rocblas_diagonal_T1_iil
; %bb.0:
	s_mov_b32 s2, exec_lo
	v_cmpx_gt_u32_e32 7, v0
	s_cbranch_execz .LBB70_140
; %bb.1:
	s_clause 0x1
	s_load_b64 s[2:3], s[0:1], 0x10
	s_load_b128 s[8:11], s[0:1], 0x0
	s_mov_b32 s4, s15
	s_ashr_i32 s5, s15, 31
	v_lshlrev_b32_e32 v20, 3, v0
	s_lshl_b64 s[0:1], s[4:5], 3
	v_mov_b32_e32 v18, 0
	v_mov_b32_e32 v19, 0xbff00000
	s_waitcnt lgkmcnt(0)
	s_ashr_i32 s5, s2, 31
	s_add_u32 s0, s10, s0
	s_addc_u32 s1, s11, s1
	v_add3_u32 v1, s3, s3, v0
	s_load_b64 s[0:1], s[0:1], 0x0
	s_mov_b32 s4, s2
	s_mov_b32 s2, s3
	s_lshl_b64 s[4:5], s[4:5], 3
	v_add_nc_u32_e32 v3, s3, v1
	v_ashrrev_i32_e32 v2, 31, v1
	s_delay_alu instid0(VALU_DEP_2) | instskip(SKIP_1) | instid1(VALU_DEP_3)
	v_add_nc_u32_e32 v5, s3, v3
	v_ashrrev_i32_e32 v4, 31, v3
	v_lshlrev_b64 v[1:2], 3, v[1:2]
	s_delay_alu instid0(VALU_DEP_3) | instskip(SKIP_1) | instid1(VALU_DEP_4)
	v_add_nc_u32_e32 v7, s3, v5
	v_ashrrev_i32_e32 v6, 31, v5
	v_lshlrev_b64 v[3:4], 3, v[3:4]
	s_delay_alu instid0(VALU_DEP_3)
	v_ashrrev_i32_e32 v8, 31, v7
	s_waitcnt lgkmcnt(0)
	s_add_u32 s0, s0, s4
	v_lshlrev_b64 v[5:6], 3, v[5:6]
	s_addc_u32 s1, s1, s5
	v_add_co_u32 v42, vcc_lo, s0, v1
	v_add_nc_u32_e32 v9, s3, v7
	v_add_co_ci_u32_e32 v43, vcc_lo, s1, v2, vcc_lo
	v_lshlrev_b64 v[7:8], 3, v[7:8]
	v_add_co_u32 v40, vcc_lo, s0, v3
	v_add_co_ci_u32_e32 v41, vcc_lo, s1, v4, vcc_lo
	v_ashrrev_i32_e32 v10, 31, v9
	v_add_co_u32 v36, vcc_lo, s0, v5
	v_add_co_u32 v44, s4, s0, v20
	s_ashr_i32 s3, s3, 31
	v_add_co_ci_u32_e32 v37, vcc_lo, s1, v6, vcc_lo
	v_add_co_ci_u32_e64 v45, null, s1, 0, s4
	v_add_co_u32 v38, vcc_lo, s0, v7
	s_lshl_b64 s[2:3], s[2:3], 3
	v_lshlrev_b64 v[1:2], 3, v[9:10]
	v_add_co_ci_u32_e32 v39, vcc_lo, s1, v8, vcc_lo
	v_add_co_u32 v46, vcc_lo, v44, s2
	v_add_co_ci_u32_e32 v47, vcc_lo, s3, v45, vcc_lo
	s_delay_alu instid0(VALU_DEP_4)
	v_add_co_u32 v34, vcc_lo, s0, v1
	v_add_co_ci_u32_e32 v35, vcc_lo, s1, v2, vcc_lo
	v_mov_b32_e32 v1, 0
	s_clause 0x6
	global_load_b64 v[4:5], v[46:47], off
	global_load_b64 v[6:7], v[42:43], off
	;; [unrolled: 1-line block ×5, first 2 shown]
	global_load_b64 v[2:3], v20, s[0:1]
	global_load_b64 v[14:15], v[34:35], off
	v_cmp_eq_u32_e64 s0, 0, v0
	s_cmpk_lg_i32 s9, 0x84
	s_cselect_b32 s7, -1, 0
	s_cmpk_eq_i32 s9, 0x84
	s_cbranch_scc1 .LBB70_3
; %bb.2:
	v_cmp_eq_u32_e64 s1, 1, v0
	v_cmp_eq_u32_e64 s2, 2, v0
	;; [unrolled: 1-line block ×5, first 2 shown]
	s_waitcnt vmcnt(1)
	v_cndmask_b32_e64 v16, v3, v5, s1
	v_cndmask_b32_e64 v17, v2, v4, s1
	v_cmp_eq_u32_e64 s6, 6, v0
	s_delay_alu instid0(VALU_DEP_3) | instskip(NEXT) | instid1(VALU_DEP_3)
	v_cndmask_b32_e64 v16, v16, v7, s2
	v_cndmask_b32_e64 v17, v17, v6, s2
	s_delay_alu instid0(VALU_DEP_2) | instskip(NEXT) | instid1(VALU_DEP_2)
	v_cndmask_b32_e64 v16, v16, v9, s3
	v_cndmask_b32_e64 v17, v17, v8, s3
	s_delay_alu instid0(VALU_DEP_2) | instskip(NEXT) | instid1(VALU_DEP_2)
	;; [unrolled: 3-line block ×3, first 2 shown]
	v_cndmask_b32_e64 v16, v16, v13, s5
	v_cndmask_b32_e64 v18, v17, v12, s5
	s_waitcnt vmcnt(0)
	s_delay_alu instid0(VALU_DEP_2) | instskip(NEXT) | instid1(VALU_DEP_2)
	v_cndmask_b32_e64 v17, v16, v15, s6
	v_cndmask_b32_e64 v16, v18, v14, s6
	s_delay_alu instid0(VALU_DEP_1) | instskip(SKIP_1) | instid1(VALU_DEP_2)
	v_div_scale_f64 v[18:19], null, v[16:17], v[16:17], 1.0
	v_div_scale_f64 v[25:26], vcc_lo, 1.0, v[16:17], 1.0
	v_rcp_f64_e32 v[21:22], v[18:19]
	s_waitcnt_depctr 0xfff
	v_fma_f64 v[23:24], -v[18:19], v[21:22], 1.0
	s_delay_alu instid0(VALU_DEP_1) | instskip(NEXT) | instid1(VALU_DEP_1)
	v_fma_f64 v[21:22], v[21:22], v[23:24], v[21:22]
	v_fma_f64 v[23:24], -v[18:19], v[21:22], 1.0
	s_delay_alu instid0(VALU_DEP_1) | instskip(NEXT) | instid1(VALU_DEP_1)
	v_fma_f64 v[21:22], v[21:22], v[23:24], v[21:22]
	v_mul_f64 v[23:24], v[25:26], v[21:22]
	s_delay_alu instid0(VALU_DEP_1) | instskip(NEXT) | instid1(VALU_DEP_1)
	v_fma_f64 v[18:19], -v[18:19], v[23:24], v[25:26]
	v_div_fmas_f64 v[18:19], v[18:19], v[21:22], v[23:24]
	s_delay_alu instid0(VALU_DEP_1) | instskip(NEXT) | instid1(VALU_DEP_1)
	v_div_fixup_f64 v[18:19], v[18:19], v[16:17], 1.0
	v_cndmask_b32_e64 v15, v15, v19, s6
	s_delay_alu instid0(VALU_DEP_2)
	v_cndmask_b32_e64 v14, v14, v18, s6
	v_cndmask_b32_e64 v13, v13, v19, s5
	;; [unrolled: 1-line block ×13, first 2 shown]
	v_xor_b32_e32 v19, 0x80000000, v19
.LBB70_3:
	v_add_nc_u32_e32 v50, 64, v20
	s_cmpk_eq_i32 s8, 0x79
	ds_store_b64 v20, v[18:19]
	s_cbranch_scc1 .LBB70_7
; %bb.4:
	s_waitcnt vmcnt(0)
	v_dual_mov_b32 v33, v17 :: v_dual_mov_b32 v32, v16
	v_dual_mov_b32 v31, v15 :: v_dual_mov_b32 v30, v14
	;; [unrolled: 1-line block ×8, first 2 shown]
	v_cmp_eq_u32_e64 s0, 6, v0
	ds_store_b64 v50, v[12:13]
	s_waitcnt lgkmcnt(0)
	s_barrier
	buffer_gl0_inv
	s_and_saveexec_b32 s1, s0
	s_cbranch_execz .LBB70_11
; %bb.5:
	s_and_b32 vcc_lo, exec_lo, s7
	s_cbranch_vccz .LBB70_8
; %bb.6:
	v_cmp_eq_u32_e32 vcc_lo, 1, v0
	v_dual_cndmask_b32 v18, v3, v5 :: v_dual_cndmask_b32 v19, v2, v4
	v_cmp_eq_u32_e32 vcc_lo, 2, v0
	s_delay_alu instid0(VALU_DEP_2) | instskip(SKIP_1) | instid1(VALU_DEP_2)
	v_dual_cndmask_b32 v18, v18, v7 :: v_dual_cndmask_b32 v19, v19, v6
	v_cmp_eq_u32_e32 vcc_lo, 3, v0
	v_dual_cndmask_b32 v20, v18, v9 :: v_dual_cndmask_b32 v21, v19, v8
	v_cmp_eq_u32_e32 vcc_lo, 4, v0
	ds_load_b64 v[18:19], v50
	v_dual_cndmask_b32 v20, v20, v11 :: v_dual_cndmask_b32 v21, v21, v10
	v_cmp_eq_u32_e32 vcc_lo, 5, v0
	s_delay_alu instid0(VALU_DEP_2) | instskip(NEXT) | instid1(VALU_DEP_3)
	v_cndmask_b32_e32 v20, v20, v13, vcc_lo
	v_cndmask_b32_e32 v22, v21, v12, vcc_lo
	v_cmp_eq_u32_e32 vcc_lo, 6, v0
	s_delay_alu instid0(VALU_DEP_2) | instskip(SKIP_1) | instid1(VALU_DEP_1)
	v_dual_cndmask_b32 v21, v20, v15 :: v_dual_cndmask_b32 v20, v22, v14
	s_waitcnt lgkmcnt(0)
	v_mul_f64 v[18:19], v[20:21], v[18:19]
	s_cbranch_execz .LBB70_9
	s_branch .LBB70_10
.LBB70_7:
                                        ; implicit-def: $vgpr18_vgpr19_vgpr20_vgpr21_vgpr22_vgpr23_vgpr24_vgpr25_vgpr26_vgpr27_vgpr28_vgpr29_vgpr30_vgpr31_vgpr32_vgpr33
	s_cbranch_execnz .LBB70_84
	s_branch .LBB70_139
.LBB70_8:
                                        ; implicit-def: $vgpr18_vgpr19
.LBB70_9:
	ds_load_b64 v[18:19], v50
.LBB70_10:
	v_mov_b32_e32 v20, 0
	v_dual_mov_b32 v22, v6 :: v_dual_mov_b32 v25, v9
	v_dual_mov_b32 v24, v8 :: v_dual_mov_b32 v27, v11
	ds_load_b64 v[20:21], v20 offset:40
	v_dual_mov_b32 v26, v10 :: v_dual_mov_b32 v31, v15
	v_dual_mov_b32 v30, v14 :: v_dual_mov_b32 v23, v7
	s_waitcnt lgkmcnt(0)
	v_mul_f64 v[28:29], v[18:19], v[20:21]
	v_dual_mov_b32 v18, v2 :: v_dual_mov_b32 v21, v5
	v_dual_mov_b32 v19, v3 :: v_dual_mov_b32 v20, v4
.LBB70_11:
	s_or_b32 exec_lo, exec_lo, s1
	v_cmp_lt_u32_e64 s1, 4, v0
	ds_store_b64 v50, v[26:27]
	s_waitcnt lgkmcnt(0)
	s_barrier
	buffer_gl0_inv
	s_and_saveexec_b32 s2, s1
	s_cbranch_execz .LBB70_19
; %bb.12:
	s_and_not1_b32 vcc_lo, exec_lo, s7
	s_cbranch_vccnz .LBB70_14
; %bb.13:
	v_cmp_eq_u32_e32 vcc_lo, 1, v0
	v_dual_cndmask_b32 v32, v19, v21 :: v_dual_cndmask_b32 v33, v18, v20
	v_cmp_eq_u32_e32 vcc_lo, 2, v0
	s_delay_alu instid0(VALU_DEP_2) | instskip(SKIP_1) | instid1(VALU_DEP_2)
	v_dual_cndmask_b32 v32, v32, v23 :: v_dual_cndmask_b32 v33, v33, v22
	v_cmp_eq_u32_e32 vcc_lo, 3, v0
	v_dual_cndmask_b32 v48, v32, v25 :: v_dual_cndmask_b32 v49, v33, v24
	v_cmp_eq_u32_e32 vcc_lo, 4, v0
	ds_load_b64 v[32:33], v50
	v_dual_cndmask_b32 v27, v48, v27 :: v_dual_cndmask_b32 v26, v49, v26
	v_cmp_eq_u32_e32 vcc_lo, 5, v0
	s_delay_alu instid0(VALU_DEP_2) | instskip(SKIP_1) | instid1(VALU_DEP_2)
	v_dual_cndmask_b32 v27, v27, v29 :: v_dual_cndmask_b32 v26, v26, v28
	v_cmp_eq_u32_e32 vcc_lo, 6, v0
	v_dual_cndmask_b32 v27, v27, v31 :: v_dual_cndmask_b32 v26, v26, v30
	s_waitcnt lgkmcnt(0)
	s_delay_alu instid0(VALU_DEP_1)
	v_mul_f64 v[26:27], v[26:27], v[32:33]
	s_cbranch_execz .LBB70_15
	s_branch .LBB70_16
.LBB70_14:
                                        ; implicit-def: $vgpr26_vgpr27
.LBB70_15:
	ds_load_b64 v[26:27], v50
.LBB70_16:
	s_and_saveexec_b32 s3, s0
	s_cbranch_execz .LBB70_18
; %bb.17:
	v_mov_b32_e32 v32, 0
	ds_load_b64 v[32:33], v32 offset:104
	s_waitcnt lgkmcnt(0)
	v_fma_f64 v[26:27], v[28:29], v[32:33], v[26:27]
.LBB70_18:
	s_or_b32 exec_lo, exec_lo, s3
	v_mov_b32_e32 v32, 0
	ds_load_b64 v[32:33], v32 offset:32
	s_waitcnt lgkmcnt(0)
	v_mul_f64 v[26:27], v[26:27], v[32:33]
.LBB70_19:
	s_or_b32 exec_lo, exec_lo, s2
	v_cmp_lt_u32_e64 s0, 3, v0
	ds_store_b64 v50, v[24:25]
	s_waitcnt lgkmcnt(0)
	s_barrier
	buffer_gl0_inv
	s_and_saveexec_b32 s4, s0
	s_cbranch_execz .LBB70_35
; %bb.20:
	s_and_not1_b32 vcc_lo, exec_lo, s7
	s_cbranch_vccnz .LBB70_22
; %bb.21:
	v_cmp_eq_u32_e32 vcc_lo, 1, v0
	v_dual_cndmask_b32 v48, v19, v21 :: v_dual_cndmask_b32 v49, v18, v20
	v_cmp_eq_u32_e32 vcc_lo, 2, v0
	s_delay_alu instid0(VALU_DEP_2) | instskip(SKIP_1) | instid1(VALU_DEP_2)
	v_dual_cndmask_b32 v48, v48, v23 :: v_dual_cndmask_b32 v49, v49, v22
	v_cmp_eq_u32_e32 vcc_lo, 3, v0
	v_dual_cndmask_b32 v51, v48, v25 :: v_dual_cndmask_b32 v52, v49, v24
	v_cmp_eq_u32_e32 vcc_lo, 4, v0
	ds_load_b64 v[48:49], v50
	v_dual_cndmask_b32 v51, v51, v27 :: v_dual_cndmask_b32 v52, v52, v26
	v_cmp_eq_u32_e32 vcc_lo, 5, v0
	s_delay_alu instid0(VALU_DEP_2) | instskip(NEXT) | instid1(VALU_DEP_3)
	v_cndmask_b32_e32 v51, v51, v29, vcc_lo
	v_cndmask_b32_e32 v53, v52, v28, vcc_lo
	v_cmp_eq_u32_e32 vcc_lo, 6, v0
	s_delay_alu instid0(VALU_DEP_2) | instskip(SKIP_1) | instid1(VALU_DEP_1)
	v_dual_cndmask_b32 v52, v51, v31 :: v_dual_cndmask_b32 v51, v53, v30
	s_waitcnt lgkmcnt(0)
	v_mul_f64 v[48:49], v[51:52], v[48:49]
	s_cbranch_execz .LBB70_23
	s_branch .LBB70_24
.LBB70_22:
                                        ; implicit-def: $vgpr48_vgpr49
.LBB70_23:
	ds_load_b64 v[48:49], v50
.LBB70_24:
	s_and_saveexec_b32 s5, s1
	s_cbranch_execz .LBB70_34
; %bb.25:
	v_dual_mov_b32 v53, 4 :: v_dual_add_nc_u32 v52, -5, v0
	v_add_nc_u32_e32 v51, -4, v0
	s_mov_b32 s1, exec_lo
	s_delay_alu instid0(VALU_DEP_2)
	v_cmpx_lt_u32_e32 6, v52
	s_cbranch_execz .LBB70_29
; %bb.26:
	s_delay_alu instid0(VALU_DEP_2) | instskip(SKIP_3) | instid1(VALU_DEP_1)
	v_and_b32_e32 v52, -8, v51
	s_mov_b32 s6, 0
	s_mov_b64 s[2:3], 5
	s_movk_i32 s8, 0x60
	v_sub_nc_u32_e32 v52, 0, v52
.LBB70_27:                              ; =>This Inner Loop Header: Depth=1
	v_mov_b32_e32 v63, s8
	s_lshl_b32 s9, s2, 1
	s_delay_alu instid0(SALU_CYCLE_1)
	s_add_i32 m0, s9, -1
	s_add_i32 s10, s9, 3
	ds_load_b128 v[53:56], v63
	ds_load_b128 v[57:60], v63 offset:16
	v_movrels_b32_e32 v62, v18
	s_add_i32 m0, s9, -2
	s_add_i32 s11, s9, 2
	v_movrels_b32_e32 v61, v18
	s_mov_b32 m0, s9
	s_waitcnt lgkmcnt(1)
	s_delay_alu instid0(VALU_DEP_1) | instskip(SKIP_4) | instid1(VALU_DEP_1)
	v_fma_f64 v[48:49], v[61:62], v[53:54], v[48:49]
	v_movrels_b32_e32 v54, v19
	v_movrels_b32_e32 v53, v18
	s_mov_b32 m0, s10
	s_add_i32 s10, s9, 5
	v_fma_f64 v[48:49], v[53:54], v[55:56], v[48:49]
	v_movrels_b32_e32 v54, v18
	s_mov_b32 m0, s11
	s_add_i32 s11, s9, 4
	v_movrels_b32_e32 v53, v18
	s_mov_b32 m0, s10
	s_add_i32 s10, s9, 7
	s_waitcnt lgkmcnt(0)
	s_delay_alu instid0(VALU_DEP_1)
	v_fma_f64 v[48:49], v[53:54], v[57:58], v[48:49]
	v_movrels_b32_e32 v54, v18
	s_mov_b32 m0, s11
	s_add_i32 s11, s9, 6
	v_movrels_b32_e32 v53, v18
	s_mov_b32 m0, s10
	s_add_i32 s10, s9, 9
	;; [unrolled: 3-line block ×4, first 2 shown]
	v_fma_f64 v[48:49], v[53:54], v[59:60], v[48:49]
	ds_load_b128 v[53:56], v63 offset:32
	ds_load_b128 v[57:60], v63 offset:48
	s_waitcnt lgkmcnt(1)
	v_fma_f64 v[48:49], v[61:62], v[53:54], v[48:49]
	v_movrels_b32_e32 v54, v18
	s_mov_b32 m0, s11
	s_add_i32 s11, s9, 10
	v_movrels_b32_e32 v53, v18
	s_mov_b32 m0, s10
	s_add_i32 s10, s9, 13
	s_add_i32 s9, s9, 12
	s_add_u32 s2, s2, 8
	s_addc_u32 s3, s3, 0
	s_add_i32 s8, s8, 64
	s_delay_alu instid0(VALU_DEP_3)
	v_fma_f64 v[48:49], v[53:54], v[55:56], v[48:49]
	v_movrels_b32_e32 v54, v18
	s_mov_b32 m0, s11
	v_movrels_b32_e32 v53, v18
	s_mov_b32 m0, s10
	s_waitcnt lgkmcnt(0)
	s_delay_alu instid0(VALU_DEP_1) | instskip(SKIP_4) | instid1(VALU_DEP_1)
	v_fma_f64 v[48:49], v[53:54], v[57:58], v[48:49]
	v_movrels_b32_e32 v54, v18
	s_mov_b32 m0, s9
	s_add_i32 s9, s2, -1
	v_movrels_b32_e32 v53, v18
	v_fma_f64 v[48:49], v[53:54], v[59:60], v[48:49]
	v_add_nc_u32_e32 v53, s2, v52
	s_delay_alu instid0(VALU_DEP_1) | instskip(SKIP_2) | instid1(SALU_CYCLE_1)
	v_cmp_eq_u32_e32 vcc_lo, 5, v53
	v_mov_b32_e32 v53, s9
	s_or_b32 s6, vcc_lo, s6
	s_and_not1_b32 exec_lo, exec_lo, s6
	s_cbranch_execnz .LBB70_27
; %bb.28:
	s_or_b32 exec_lo, exec_lo, s6
.LBB70_29:
	s_delay_alu instid0(SALU_CYCLE_1) | instskip(SKIP_3) | instid1(VALU_DEP_1)
	s_or_b32 exec_lo, exec_lo, s1
	v_and_b32_e32 v32, 7, v51
	s_mov_b32 s3, 0
	s_mov_b32 s2, exec_lo
	v_cmpx_ne_u32_e32 0, v32
	s_cbranch_execz .LBB70_33
; %bb.30:
	v_lshl_add_u32 v33, v53, 3, 64
	v_mov_b32_e32 v51, 0
	s_set_inst_prefetch_distance 0x1
	.p2align	6
.LBB70_31:                              ; =>This Inner Loop Header: Depth=1
	v_cmp_eq_u32_e32 vcc_lo, 1, v53
	v_cmp_eq_u32_e64 s1, 2, v53
	v_add_nc_u32_e32 v32, -1, v32
	v_cndmask_b32_e32 v52, v19, v21, vcc_lo
	v_cndmask_b32_e32 v54, v18, v20, vcc_lo
	v_cmp_eq_u32_e32 vcc_lo, 3, v53
	s_delay_alu instid0(VALU_DEP_3) | instskip(NEXT) | instid1(VALU_DEP_3)
	v_cndmask_b32_e64 v52, v52, v23, s1
	v_cndmask_b32_e64 v56, v54, v22, s1
	ds_load_b64 v[54:55], v33
	v_add_nc_u32_e32 v33, 8, v33
	v_cmp_eq_u32_e64 s1, 4, v53
	v_cndmask_b32_e32 v52, v52, v25, vcc_lo
	v_cndmask_b32_e32 v56, v56, v24, vcc_lo
	v_cmp_eq_u32_e32 vcc_lo, 5, v53
	s_delay_alu instid0(VALU_DEP_3) | instskip(NEXT) | instid1(VALU_DEP_3)
	v_cndmask_b32_e64 v52, v52, v27, s1
	v_cndmask_b32_e64 v56, v56, v26, s1
	v_cmp_eq_u32_e64 s1, 6, v53
	s_delay_alu instid0(VALU_DEP_3) | instskip(NEXT) | instid1(VALU_DEP_3)
	v_cndmask_b32_e32 v52, v52, v29, vcc_lo
	v_cndmask_b32_e32 v56, v56, v28, vcc_lo
	v_cmp_eq_u32_e32 vcc_lo, 0, v32
	s_delay_alu instid0(VALU_DEP_3) | instskip(NEXT) | instid1(VALU_DEP_3)
	v_cndmask_b32_e64 v57, v52, v31, s1
	v_cndmask_b32_e64 v56, v56, v30, s1
	v_add_co_u32 v53, s1, v53, 1
	s_delay_alu instid0(VALU_DEP_1) | instskip(SKIP_1) | instid1(VALU_DEP_3)
	v_add_co_ci_u32_e64 v51, s1, 0, v51, s1
	s_waitcnt lgkmcnt(0)
	v_fma_f64 v[48:49], v[56:57], v[54:55], v[48:49]
	s_or_b32 s3, vcc_lo, s3
	s_delay_alu instid0(SALU_CYCLE_1)
	s_and_not1_b32 exec_lo, exec_lo, s3
	s_cbranch_execnz .LBB70_31
; %bb.32:
	s_set_inst_prefetch_distance 0x2
	s_or_b32 exec_lo, exec_lo, s3
.LBB70_33:
	s_delay_alu instid0(SALU_CYCLE_1)
	s_or_b32 exec_lo, exec_lo, s2
.LBB70_34:
	s_delay_alu instid0(SALU_CYCLE_1)
	s_or_b32 exec_lo, exec_lo, s5
	v_mov_b32_e32 v24, 0
	ds_load_b64 v[24:25], v24 offset:24
	s_waitcnt lgkmcnt(0)
	v_mul_f64 v[24:25], v[48:49], v[24:25]
.LBB70_35:
	s_or_b32 exec_lo, exec_lo, s4
	v_cmp_lt_u32_e64 s1, 2, v0
	ds_store_b64 v50, v[22:23]
	s_waitcnt lgkmcnt(0)
	s_barrier
	buffer_gl0_inv
	s_and_saveexec_b32 s4, s1
	s_cbranch_execz .LBB70_51
; %bb.36:
	s_and_not1_b32 vcc_lo, exec_lo, s7
	s_cbranch_vccnz .LBB70_38
; %bb.37:
	v_cmp_eq_u32_e32 vcc_lo, 1, v0
	v_dual_cndmask_b32 v48, v19, v21 :: v_dual_cndmask_b32 v49, v18, v20
	v_cmp_eq_u32_e32 vcc_lo, 2, v0
	s_delay_alu instid0(VALU_DEP_2) | instskip(SKIP_1) | instid1(VALU_DEP_2)
	v_dual_cndmask_b32 v48, v48, v23 :: v_dual_cndmask_b32 v49, v49, v22
	v_cmp_eq_u32_e32 vcc_lo, 3, v0
	v_dual_cndmask_b32 v51, v48, v25 :: v_dual_cndmask_b32 v52, v49, v24
	v_cmp_eq_u32_e32 vcc_lo, 4, v0
	ds_load_b64 v[48:49], v50
	v_dual_cndmask_b32 v51, v51, v27 :: v_dual_cndmask_b32 v52, v52, v26
	v_cmp_eq_u32_e32 vcc_lo, 5, v0
	s_delay_alu instid0(VALU_DEP_2) | instskip(NEXT) | instid1(VALU_DEP_3)
	v_cndmask_b32_e32 v51, v51, v29, vcc_lo
	v_cndmask_b32_e32 v53, v52, v28, vcc_lo
	v_cmp_eq_u32_e32 vcc_lo, 6, v0
	s_delay_alu instid0(VALU_DEP_2) | instskip(SKIP_1) | instid1(VALU_DEP_1)
	v_dual_cndmask_b32 v52, v51, v31 :: v_dual_cndmask_b32 v51, v53, v30
	s_waitcnt lgkmcnt(0)
	v_mul_f64 v[48:49], v[51:52], v[48:49]
	s_cbranch_execz .LBB70_39
	s_branch .LBB70_40
.LBB70_38:
                                        ; implicit-def: $vgpr48_vgpr49
.LBB70_39:
	ds_load_b64 v[48:49], v50
.LBB70_40:
	s_and_saveexec_b32 s5, s0
	s_cbranch_execz .LBB70_50
; %bb.41:
	v_dual_mov_b32 v53, 3 :: v_dual_add_nc_u32 v52, -4, v0
	v_add_nc_u32_e32 v51, -3, v0
	s_mov_b32 s0, exec_lo
	s_delay_alu instid0(VALU_DEP_2)
	v_cmpx_lt_u32_e32 6, v52
	s_cbranch_execz .LBB70_45
; %bb.42:
	s_delay_alu instid0(VALU_DEP_2) | instskip(SKIP_3) | instid1(VALU_DEP_1)
	v_and_b32_e32 v52, -8, v51
	s_mov_b32 s6, 0
	s_mov_b64 s[2:3], 10
	s_movk_i32 s8, 0x58
	v_sub_nc_u32_e32 v52, 0, v52
.LBB70_43:                              ; =>This Inner Loop Header: Depth=1
	v_mov_b32_e32 v63, s8
	s_lshl_b32 s9, s2, 1
	s_delay_alu instid0(SALU_CYCLE_1)
	s_add_i32 m0, s9, -13
	v_movrels_b32_e32 v62, v18
	ds_load_2addr_b64 v[53:56], v63 offset1:1
	ds_load_2addr_b64 v[57:60], v63 offset0:2 offset1:3
	s_add_i32 m0, s9, -14
	v_movrels_b32_e32 v61, v18
	s_add_i32 m0, s9, -11
	s_waitcnt lgkmcnt(1)
	s_delay_alu instid0(VALU_DEP_1) | instskip(SKIP_4) | instid1(VALU_DEP_1)
	v_fma_f64 v[48:49], v[61:62], v[53:54], v[48:49]
	v_movrels_b32_e32 v54, v18
	s_add_i32 m0, s9, -12
	v_movrels_b32_e32 v53, v18
	s_add_i32 m0, s9, -9
	v_fma_f64 v[48:49], v[53:54], v[55:56], v[48:49]
	v_movrels_b32_e32 v54, v18
	s_add_i32 m0, s9, -10
	v_movrels_b32_e32 v53, v18
	s_add_i32 m0, s9, -7
	s_waitcnt lgkmcnt(0)
	s_delay_alu instid0(VALU_DEP_1)
	v_fma_f64 v[48:49], v[53:54], v[57:58], v[48:49]
	v_movrels_b32_e32 v54, v18
	s_add_i32 m0, s9, -8
	v_movrels_b32_e32 v53, v18
	s_add_i32 m0, s9, -5
	;; [unrolled: 2-line block ×4, first 2 shown]
	v_fma_f64 v[48:49], v[53:54], v[59:60], v[48:49]
	ds_load_2addr_b64 v[53:56], v63 offset0:4 offset1:5
	ds_load_2addr_b64 v[57:60], v63 offset0:6 offset1:7
	s_waitcnt lgkmcnt(1)
	v_fma_f64 v[48:49], v[61:62], v[53:54], v[48:49]
	v_movrels_b32_e32 v54, v18
	s_add_i32 m0, s9, -4
	v_movrels_b32_e32 v53, v18
	s_add_i32 m0, s9, -1
	s_delay_alu instid0(VALU_DEP_1)
	v_fma_f64 v[48:49], v[53:54], v[55:56], v[48:49]
	v_movrels_b32_e32 v54, v18
	s_add_i32 m0, s9, -2
	s_add_u32 s2, s2, 8
	v_movrels_b32_e32 v53, v18
	s_mov_b32 m0, s9
	s_addc_u32 s3, s3, 0
	s_add_i32 s9, s2, -7
	s_add_i32 s8, s8, 64
	s_waitcnt lgkmcnt(0)
	s_delay_alu instid0(VALU_DEP_3) | instskip(SKIP_2) | instid1(VALU_DEP_1)
	v_fma_f64 v[48:49], v[53:54], v[57:58], v[48:49]
	v_movrels_b32_e32 v54, v19
	v_movrels_b32_e32 v53, v18
	v_fma_f64 v[48:49], v[53:54], v[59:60], v[48:49]
	v_add_nc_u32_e32 v53, s2, v52
	s_delay_alu instid0(VALU_DEP_1) | instskip(SKIP_2) | instid1(SALU_CYCLE_1)
	v_cmp_eq_u32_e32 vcc_lo, 10, v53
	v_mov_b32_e32 v53, s9
	s_or_b32 s6, vcc_lo, s6
	s_and_not1_b32 exec_lo, exec_lo, s6
	s_cbranch_execnz .LBB70_43
; %bb.44:
	s_or_b32 exec_lo, exec_lo, s6
.LBB70_45:
	s_delay_alu instid0(SALU_CYCLE_1) | instskip(SKIP_3) | instid1(VALU_DEP_1)
	s_or_b32 exec_lo, exec_lo, s0
	v_and_b32_e32 v32, 7, v51
	s_mov_b32 s3, 0
	s_mov_b32 s2, exec_lo
	v_cmpx_ne_u32_e32 0, v32
	s_cbranch_execz .LBB70_49
; %bb.46:
	v_lshl_add_u32 v33, v53, 3, 64
	v_mov_b32_e32 v51, 0
	s_set_inst_prefetch_distance 0x1
	.p2align	6
.LBB70_47:                              ; =>This Inner Loop Header: Depth=1
	v_cmp_eq_u32_e32 vcc_lo, 1, v53
	v_cmp_eq_u32_e64 s0, 2, v53
	v_add_nc_u32_e32 v32, -1, v32
	v_cndmask_b32_e32 v52, v19, v21, vcc_lo
	v_cndmask_b32_e32 v54, v18, v20, vcc_lo
	v_cmp_eq_u32_e32 vcc_lo, 3, v53
	s_delay_alu instid0(VALU_DEP_3) | instskip(NEXT) | instid1(VALU_DEP_3)
	v_cndmask_b32_e64 v52, v52, v23, s0
	v_cndmask_b32_e64 v56, v54, v22, s0
	ds_load_b64 v[54:55], v33
	v_add_nc_u32_e32 v33, 8, v33
	v_cmp_eq_u32_e64 s0, 4, v53
	v_cndmask_b32_e32 v52, v52, v25, vcc_lo
	v_cndmask_b32_e32 v56, v56, v24, vcc_lo
	v_cmp_eq_u32_e32 vcc_lo, 5, v53
	s_delay_alu instid0(VALU_DEP_3) | instskip(NEXT) | instid1(VALU_DEP_3)
	v_cndmask_b32_e64 v52, v52, v27, s0
	v_cndmask_b32_e64 v56, v56, v26, s0
	v_cmp_eq_u32_e64 s0, 6, v53
	s_delay_alu instid0(VALU_DEP_3) | instskip(NEXT) | instid1(VALU_DEP_3)
	v_cndmask_b32_e32 v52, v52, v29, vcc_lo
	v_cndmask_b32_e32 v56, v56, v28, vcc_lo
	v_cmp_eq_u32_e32 vcc_lo, 0, v32
	s_delay_alu instid0(VALU_DEP_3) | instskip(NEXT) | instid1(VALU_DEP_3)
	v_cndmask_b32_e64 v57, v52, v31, s0
	v_cndmask_b32_e64 v56, v56, v30, s0
	v_add_co_u32 v53, s0, v53, 1
	s_delay_alu instid0(VALU_DEP_1) | instskip(SKIP_1) | instid1(VALU_DEP_3)
	v_add_co_ci_u32_e64 v51, s0, 0, v51, s0
	s_waitcnt lgkmcnt(0)
	v_fma_f64 v[48:49], v[56:57], v[54:55], v[48:49]
	s_or_b32 s3, vcc_lo, s3
	s_delay_alu instid0(SALU_CYCLE_1)
	s_and_not1_b32 exec_lo, exec_lo, s3
	s_cbranch_execnz .LBB70_47
; %bb.48:
	s_set_inst_prefetch_distance 0x2
	s_or_b32 exec_lo, exec_lo, s3
.LBB70_49:
	s_delay_alu instid0(SALU_CYCLE_1)
	s_or_b32 exec_lo, exec_lo, s2
.LBB70_50:
	s_delay_alu instid0(SALU_CYCLE_1)
	s_or_b32 exec_lo, exec_lo, s5
	v_mov_b32_e32 v22, 0
	ds_load_b64 v[22:23], v22 offset:16
	s_waitcnt lgkmcnt(0)
	v_mul_f64 v[22:23], v[48:49], v[22:23]
.LBB70_51:
	s_or_b32 exec_lo, exec_lo, s4
	v_cmp_lt_u32_e64 s0, 1, v0
	ds_store_b64 v50, v[20:21]
	s_waitcnt lgkmcnt(0)
	s_barrier
	buffer_gl0_inv
	s_and_saveexec_b32 s4, s0
	s_cbranch_execz .LBB70_67
; %bb.52:
	s_and_not1_b32 vcc_lo, exec_lo, s7
	s_cbranch_vccnz .LBB70_54
; %bb.53:
	v_cmp_eq_u32_e32 vcc_lo, 1, v0
	v_dual_cndmask_b32 v48, v19, v21 :: v_dual_cndmask_b32 v49, v18, v20
	v_cmp_eq_u32_e32 vcc_lo, 2, v0
	s_delay_alu instid0(VALU_DEP_2) | instskip(SKIP_1) | instid1(VALU_DEP_2)
	v_dual_cndmask_b32 v48, v48, v23 :: v_dual_cndmask_b32 v49, v49, v22
	v_cmp_eq_u32_e32 vcc_lo, 3, v0
	v_dual_cndmask_b32 v51, v48, v25 :: v_dual_cndmask_b32 v52, v49, v24
	v_cmp_eq_u32_e32 vcc_lo, 4, v0
	ds_load_b64 v[48:49], v50
	v_dual_cndmask_b32 v51, v51, v27 :: v_dual_cndmask_b32 v52, v52, v26
	v_cmp_eq_u32_e32 vcc_lo, 5, v0
	s_delay_alu instid0(VALU_DEP_2) | instskip(NEXT) | instid1(VALU_DEP_3)
	v_cndmask_b32_e32 v51, v51, v29, vcc_lo
	v_cndmask_b32_e32 v53, v52, v28, vcc_lo
	v_cmp_eq_u32_e32 vcc_lo, 6, v0
	s_delay_alu instid0(VALU_DEP_2) | instskip(SKIP_1) | instid1(VALU_DEP_1)
	v_dual_cndmask_b32 v52, v51, v31 :: v_dual_cndmask_b32 v51, v53, v30
	s_waitcnt lgkmcnt(0)
	v_mul_f64 v[48:49], v[51:52], v[48:49]
	s_cbranch_execz .LBB70_55
	s_branch .LBB70_56
.LBB70_54:
                                        ; implicit-def: $vgpr48_vgpr49
.LBB70_55:
	ds_load_b64 v[48:49], v50
.LBB70_56:
	s_and_saveexec_b32 s5, s1
	s_cbranch_execz .LBB70_66
; %bb.57:
	v_dual_mov_b32 v53, 2 :: v_dual_add_nc_u32 v52, -3, v0
	v_add_nc_u32_e32 v51, -2, v0
	s_mov_b32 s1, exec_lo
	s_delay_alu instid0(VALU_DEP_2)
	v_cmpx_lt_u32_e32 6, v52
	s_cbranch_execz .LBB70_61
; %bb.58:
	s_delay_alu instid0(VALU_DEP_2) | instskip(SKIP_3) | instid1(VALU_DEP_1)
	v_and_b32_e32 v52, -8, v51
	s_mov_b32 s6, 0
	s_mov_b64 s[2:3], 9
	s_movk_i32 s8, 0x50
	v_sub_nc_u32_e32 v52, 0, v52
.LBB70_59:                              ; =>This Inner Loop Header: Depth=1
	v_mov_b32_e32 v63, s8
	s_lshl_b32 s9, s2, 1
	s_delay_alu instid0(SALU_CYCLE_1)
	s_add_i32 m0, s9, -13
	v_movrels_b32_e32 v62, v18
	ds_load_b128 v[53:56], v63
	ds_load_b128 v[57:60], v63 offset:16
	s_add_i32 m0, s9, -14
	v_movrels_b32_e32 v61, v18
	s_add_i32 m0, s9, -11
	s_waitcnt lgkmcnt(1)
	s_delay_alu instid0(VALU_DEP_1) | instskip(SKIP_4) | instid1(VALU_DEP_1)
	v_fma_f64 v[48:49], v[61:62], v[53:54], v[48:49]
	v_movrels_b32_e32 v54, v18
	s_add_i32 m0, s9, -12
	v_movrels_b32_e32 v53, v18
	s_add_i32 m0, s9, -9
	v_fma_f64 v[48:49], v[53:54], v[55:56], v[48:49]
	v_movrels_b32_e32 v54, v18
	s_add_i32 m0, s9, -10
	v_movrels_b32_e32 v53, v18
	s_add_i32 m0, s9, -7
	s_waitcnt lgkmcnt(0)
	s_delay_alu instid0(VALU_DEP_1)
	v_fma_f64 v[48:49], v[53:54], v[57:58], v[48:49]
	v_movrels_b32_e32 v54, v18
	s_add_i32 m0, s9, -8
	v_movrels_b32_e32 v53, v18
	s_add_i32 m0, s9, -5
	;; [unrolled: 2-line block ×4, first 2 shown]
	v_fma_f64 v[48:49], v[53:54], v[59:60], v[48:49]
	ds_load_b128 v[53:56], v63 offset:32
	ds_load_b128 v[57:60], v63 offset:48
	s_waitcnt lgkmcnt(1)
	v_fma_f64 v[48:49], v[61:62], v[53:54], v[48:49]
	v_movrels_b32_e32 v54, v18
	s_add_i32 m0, s9, -4
	v_movrels_b32_e32 v53, v18
	s_add_i32 m0, s9, -1
	s_delay_alu instid0(VALU_DEP_1)
	v_fma_f64 v[48:49], v[53:54], v[55:56], v[48:49]
	v_movrels_b32_e32 v54, v18
	s_add_i32 m0, s9, -2
	s_add_u32 s2, s2, 8
	v_movrels_b32_e32 v53, v18
	s_mov_b32 m0, s9
	s_addc_u32 s3, s3, 0
	s_add_i32 s9, s2, -7
	s_add_i32 s8, s8, 64
	s_waitcnt lgkmcnt(0)
	s_delay_alu instid0(VALU_DEP_3) | instskip(SKIP_2) | instid1(VALU_DEP_1)
	v_fma_f64 v[48:49], v[53:54], v[57:58], v[48:49]
	v_movrels_b32_e32 v54, v19
	v_movrels_b32_e32 v53, v18
	v_fma_f64 v[48:49], v[53:54], v[59:60], v[48:49]
	v_add_nc_u32_e32 v53, s2, v52
	s_delay_alu instid0(VALU_DEP_1) | instskip(SKIP_2) | instid1(SALU_CYCLE_1)
	v_cmp_eq_u32_e32 vcc_lo, 9, v53
	v_mov_b32_e32 v53, s9
	s_or_b32 s6, vcc_lo, s6
	s_and_not1_b32 exec_lo, exec_lo, s6
	s_cbranch_execnz .LBB70_59
; %bb.60:
	s_or_b32 exec_lo, exec_lo, s6
.LBB70_61:
	s_delay_alu instid0(SALU_CYCLE_1) | instskip(SKIP_3) | instid1(VALU_DEP_1)
	s_or_b32 exec_lo, exec_lo, s1
	v_and_b32_e32 v32, 7, v51
	s_mov_b32 s3, 0
	s_mov_b32 s2, exec_lo
	v_cmpx_ne_u32_e32 0, v32
	s_cbranch_execz .LBB70_65
; %bb.62:
	v_lshl_add_u32 v33, v53, 3, 64
	v_mov_b32_e32 v51, 0
	s_set_inst_prefetch_distance 0x1
	.p2align	6
.LBB70_63:                              ; =>This Inner Loop Header: Depth=1
	v_cmp_eq_u32_e32 vcc_lo, 1, v53
	v_cmp_eq_u32_e64 s1, 2, v53
	v_add_nc_u32_e32 v32, -1, v32
	v_cndmask_b32_e32 v52, v19, v21, vcc_lo
	v_cndmask_b32_e32 v54, v18, v20, vcc_lo
	v_cmp_eq_u32_e32 vcc_lo, 3, v53
	s_delay_alu instid0(VALU_DEP_3) | instskip(NEXT) | instid1(VALU_DEP_3)
	v_cndmask_b32_e64 v52, v52, v23, s1
	v_cndmask_b32_e64 v56, v54, v22, s1
	ds_load_b64 v[54:55], v33
	v_add_nc_u32_e32 v33, 8, v33
	v_cmp_eq_u32_e64 s1, 4, v53
	v_cndmask_b32_e32 v52, v52, v25, vcc_lo
	v_cndmask_b32_e32 v56, v56, v24, vcc_lo
	v_cmp_eq_u32_e32 vcc_lo, 5, v53
	s_delay_alu instid0(VALU_DEP_3) | instskip(NEXT) | instid1(VALU_DEP_3)
	v_cndmask_b32_e64 v52, v52, v27, s1
	v_cndmask_b32_e64 v56, v56, v26, s1
	v_cmp_eq_u32_e64 s1, 6, v53
	s_delay_alu instid0(VALU_DEP_3) | instskip(NEXT) | instid1(VALU_DEP_3)
	v_cndmask_b32_e32 v52, v52, v29, vcc_lo
	v_cndmask_b32_e32 v56, v56, v28, vcc_lo
	v_cmp_eq_u32_e32 vcc_lo, 0, v32
	s_delay_alu instid0(VALU_DEP_3) | instskip(NEXT) | instid1(VALU_DEP_3)
	v_cndmask_b32_e64 v57, v52, v31, s1
	v_cndmask_b32_e64 v56, v56, v30, s1
	v_add_co_u32 v53, s1, v53, 1
	s_delay_alu instid0(VALU_DEP_1) | instskip(SKIP_1) | instid1(VALU_DEP_3)
	v_add_co_ci_u32_e64 v51, s1, 0, v51, s1
	s_waitcnt lgkmcnt(0)
	v_fma_f64 v[48:49], v[56:57], v[54:55], v[48:49]
	s_or_b32 s3, vcc_lo, s3
	s_delay_alu instid0(SALU_CYCLE_1)
	s_and_not1_b32 exec_lo, exec_lo, s3
	s_cbranch_execnz .LBB70_63
; %bb.64:
	s_set_inst_prefetch_distance 0x2
	s_or_b32 exec_lo, exec_lo, s3
.LBB70_65:
	s_delay_alu instid0(SALU_CYCLE_1)
	s_or_b32 exec_lo, exec_lo, s2
.LBB70_66:
	s_delay_alu instid0(SALU_CYCLE_1)
	s_or_b32 exec_lo, exec_lo, s5
	v_mov_b32_e32 v20, 0
	ds_load_b64 v[20:21], v20 offset:8
	s_waitcnt lgkmcnt(0)
	v_mul_f64 v[20:21], v[48:49], v[20:21]
.LBB70_67:
	s_or_b32 exec_lo, exec_lo, s4
	s_mov_b32 s2, 0
	s_mov_b32 s3, exec_lo
	ds_store_b64 v50, v[18:19]
	s_waitcnt lgkmcnt(0)
	s_barrier
	buffer_gl0_inv
	v_cmpx_ne_u32_e32 0, v0
	s_cbranch_execz .LBB70_83
; %bb.68:
	s_and_not1_b32 vcc_lo, exec_lo, s7
	s_cbranch_vccnz .LBB70_70
; %bb.69:
	v_cmp_eq_u32_e32 vcc_lo, 1, v0
	v_dual_cndmask_b32 v48, v19, v21 :: v_dual_cndmask_b32 v49, v18, v20
	v_cmp_eq_u32_e32 vcc_lo, 2, v0
	s_delay_alu instid0(VALU_DEP_2) | instskip(SKIP_1) | instid1(VALU_DEP_2)
	v_dual_cndmask_b32 v48, v48, v23 :: v_dual_cndmask_b32 v49, v49, v22
	v_cmp_eq_u32_e32 vcc_lo, 3, v0
	v_dual_cndmask_b32 v51, v48, v25 :: v_dual_cndmask_b32 v52, v49, v24
	v_cmp_eq_u32_e32 vcc_lo, 4, v0
	ds_load_b64 v[48:49], v50
	v_dual_cndmask_b32 v51, v51, v27 :: v_dual_cndmask_b32 v52, v52, v26
	v_cmp_eq_u32_e32 vcc_lo, 5, v0
	s_delay_alu instid0(VALU_DEP_2) | instskip(NEXT) | instid1(VALU_DEP_3)
	v_cndmask_b32_e32 v51, v51, v29, vcc_lo
	v_cndmask_b32_e32 v53, v52, v28, vcc_lo
	v_cmp_eq_u32_e32 vcc_lo, 6, v0
	s_delay_alu instid0(VALU_DEP_2) | instskip(SKIP_1) | instid1(VALU_DEP_1)
	v_dual_cndmask_b32 v52, v51, v31 :: v_dual_cndmask_b32 v51, v53, v30
	s_waitcnt lgkmcnt(0)
	v_mul_f64 v[48:49], v[51:52], v[48:49]
	s_cbranch_execz .LBB70_71
	s_branch .LBB70_72
.LBB70_70:
                                        ; implicit-def: $vgpr48_vgpr49
.LBB70_71:
	ds_load_b64 v[48:49], v50
.LBB70_72:
	s_and_saveexec_b32 s4, s0
	s_cbranch_execz .LBB70_82
; %bb.73:
	v_dual_mov_b32 v53, 1 :: v_dual_add_nc_u32 v52, -2, v0
	v_add_nc_u32_e32 v51, -1, v0
	s_mov_b32 s5, exec_lo
	s_delay_alu instid0(VALU_DEP_2)
	v_cmpx_lt_u32_e32 6, v52
	s_cbranch_execz .LBB70_77
; %bb.74:
	s_delay_alu instid0(VALU_DEP_2) | instskip(SKIP_3) | instid1(VALU_DEP_1)
	v_and_b32_e32 v52, -8, v51
	s_mov_b32 s6, 0
	s_mov_b64 s[0:1], 8
	s_movk_i32 s8, 0x48
	v_sub_nc_u32_e32 v52, 0, v52
.LBB70_75:                              ; =>This Inner Loop Header: Depth=1
	v_mov_b32_e32 v63, s8
	s_lshl_b32 s9, s0, 1
	s_delay_alu instid0(SALU_CYCLE_1)
	s_add_i32 m0, s9, -13
	v_movrels_b32_e32 v62, v18
	ds_load_2addr_b64 v[53:56], v63 offset1:1
	ds_load_2addr_b64 v[57:60], v63 offset0:2 offset1:3
	s_add_i32 m0, s9, -14
	v_movrels_b32_e32 v61, v18
	s_add_i32 m0, s9, -11
	s_waitcnt lgkmcnt(1)
	s_delay_alu instid0(VALU_DEP_1) | instskip(SKIP_4) | instid1(VALU_DEP_1)
	v_fma_f64 v[48:49], v[61:62], v[53:54], v[48:49]
	v_movrels_b32_e32 v54, v18
	s_add_i32 m0, s9, -12
	v_movrels_b32_e32 v53, v18
	s_add_i32 m0, s9, -9
	v_fma_f64 v[48:49], v[53:54], v[55:56], v[48:49]
	v_movrels_b32_e32 v54, v18
	s_add_i32 m0, s9, -10
	v_movrels_b32_e32 v53, v18
	s_add_i32 m0, s9, -7
	s_waitcnt lgkmcnt(0)
	s_delay_alu instid0(VALU_DEP_1)
	v_fma_f64 v[48:49], v[53:54], v[57:58], v[48:49]
	v_movrels_b32_e32 v54, v18
	s_add_i32 m0, s9, -8
	v_movrels_b32_e32 v53, v18
	s_add_i32 m0, s9, -5
	;; [unrolled: 2-line block ×4, first 2 shown]
	v_fma_f64 v[48:49], v[53:54], v[59:60], v[48:49]
	ds_load_2addr_b64 v[53:56], v63 offset0:4 offset1:5
	ds_load_2addr_b64 v[57:60], v63 offset0:6 offset1:7
	s_waitcnt lgkmcnt(1)
	v_fma_f64 v[48:49], v[61:62], v[53:54], v[48:49]
	v_movrels_b32_e32 v54, v18
	s_add_i32 m0, s9, -4
	v_movrels_b32_e32 v53, v18
	s_add_i32 m0, s9, -1
	s_delay_alu instid0(VALU_DEP_1)
	v_fma_f64 v[48:49], v[53:54], v[55:56], v[48:49]
	v_movrels_b32_e32 v54, v18
	s_add_i32 m0, s9, -2
	s_add_u32 s0, s0, 8
	v_movrels_b32_e32 v53, v18
	s_mov_b32 m0, s9
	s_addc_u32 s1, s1, 0
	s_add_i32 s9, s0, -7
	s_add_i32 s8, s8, 64
	s_waitcnt lgkmcnt(0)
	s_delay_alu instid0(VALU_DEP_3) | instskip(SKIP_2) | instid1(VALU_DEP_1)
	v_fma_f64 v[48:49], v[53:54], v[57:58], v[48:49]
	v_movrels_b32_e32 v54, v19
	v_movrels_b32_e32 v53, v18
	v_fma_f64 v[48:49], v[53:54], v[59:60], v[48:49]
	v_add_nc_u32_e32 v53, s0, v52
	s_delay_alu instid0(VALU_DEP_1) | instskip(SKIP_2) | instid1(SALU_CYCLE_1)
	v_cmp_eq_u32_e32 vcc_lo, 8, v53
	v_mov_b32_e32 v53, s9
	s_or_b32 s6, vcc_lo, s6
	s_and_not1_b32 exec_lo, exec_lo, s6
	s_cbranch_execnz .LBB70_75
; %bb.76:
	s_or_b32 exec_lo, exec_lo, s6
.LBB70_77:
	s_delay_alu instid0(SALU_CYCLE_1) | instskip(SKIP_3) | instid1(VALU_DEP_1)
	s_or_b32 exec_lo, exec_lo, s5
	v_and_b32_e32 v32, 7, v51
	s_mov_b32 s5, 0
	s_mov_b32 s1, exec_lo
	v_cmpx_ne_u32_e32 0, v32
	s_cbranch_execz .LBB70_81
; %bb.78:
	v_lshl_add_u32 v33, v53, 3, 64
	v_mov_b32_e32 v51, 0
	s_set_inst_prefetch_distance 0x1
	.p2align	6
.LBB70_79:                              ; =>This Inner Loop Header: Depth=1
	v_cmp_eq_u32_e32 vcc_lo, 1, v53
	v_cmp_eq_u32_e64 s0, 2, v53
	v_add_nc_u32_e32 v32, -1, v32
	v_cndmask_b32_e32 v52, v19, v21, vcc_lo
	v_cndmask_b32_e32 v54, v18, v20, vcc_lo
	v_cmp_eq_u32_e32 vcc_lo, 3, v53
	s_delay_alu instid0(VALU_DEP_3) | instskip(NEXT) | instid1(VALU_DEP_3)
	v_cndmask_b32_e64 v52, v52, v23, s0
	v_cndmask_b32_e64 v56, v54, v22, s0
	ds_load_b64 v[54:55], v33
	v_add_nc_u32_e32 v33, 8, v33
	v_cmp_eq_u32_e64 s0, 4, v53
	v_cndmask_b32_e32 v52, v52, v25, vcc_lo
	v_cndmask_b32_e32 v56, v56, v24, vcc_lo
	v_cmp_eq_u32_e32 vcc_lo, 5, v53
	s_delay_alu instid0(VALU_DEP_3) | instskip(NEXT) | instid1(VALU_DEP_3)
	v_cndmask_b32_e64 v52, v52, v27, s0
	v_cndmask_b32_e64 v56, v56, v26, s0
	v_cmp_eq_u32_e64 s0, 6, v53
	s_delay_alu instid0(VALU_DEP_3) | instskip(NEXT) | instid1(VALU_DEP_3)
	v_cndmask_b32_e32 v52, v52, v29, vcc_lo
	v_cndmask_b32_e32 v56, v56, v28, vcc_lo
	v_cmp_eq_u32_e32 vcc_lo, 0, v32
	s_delay_alu instid0(VALU_DEP_3) | instskip(NEXT) | instid1(VALU_DEP_3)
	v_cndmask_b32_e64 v57, v52, v31, s0
	v_cndmask_b32_e64 v56, v56, v30, s0
	v_add_co_u32 v53, s0, v53, 1
	s_delay_alu instid0(VALU_DEP_1) | instskip(SKIP_1) | instid1(VALU_DEP_3)
	v_add_co_ci_u32_e64 v51, s0, 0, v51, s0
	s_waitcnt lgkmcnt(0)
	v_fma_f64 v[48:49], v[56:57], v[54:55], v[48:49]
	s_or_b32 s5, vcc_lo, s5
	s_delay_alu instid0(SALU_CYCLE_1)
	s_and_not1_b32 exec_lo, exec_lo, s5
	s_cbranch_execnz .LBB70_79
; %bb.80:
	s_set_inst_prefetch_distance 0x2
	s_or_b32 exec_lo, exec_lo, s5
.LBB70_81:
	s_delay_alu instid0(SALU_CYCLE_1)
	s_or_b32 exec_lo, exec_lo, s1
.LBB70_82:
	s_delay_alu instid0(SALU_CYCLE_1)
	s_or_b32 exec_lo, exec_lo, s4
	v_mov_b32_e32 v18, 0
	ds_load_b64 v[18:19], v18
	s_waitcnt lgkmcnt(0)
	v_mul_f64 v[18:19], v[48:49], v[18:19]
.LBB70_83:
	s_or_b32 exec_lo, exec_lo, s3
	s_delay_alu instid0(SALU_CYCLE_1)
	s_and_b32 vcc_lo, exec_lo, s2
	s_cbranch_vccz .LBB70_139
.LBB70_84:
	v_cmp_eq_u32_e64 s0, 0, v0
	s_waitcnt vmcnt(6)
	ds_store_b64 v50, v[4:5]
	s_waitcnt vmcnt(0) lgkmcnt(0)
	s_barrier
	buffer_gl0_inv
	s_and_saveexec_b32 s1, s0
	s_cbranch_execz .LBB70_90
; %bb.85:
	s_and_b32 vcc_lo, exec_lo, s7
	s_cbranch_vccz .LBB70_87
; %bb.86:
	v_cmp_eq_u32_e32 vcc_lo, 1, v0
	v_dual_cndmask_b32 v5, v3, v5 :: v_dual_cndmask_b32 v4, v2, v4
	v_cmp_eq_u32_e32 vcc_lo, 2, v0
	s_delay_alu instid0(VALU_DEP_2) | instskip(SKIP_1) | instid1(VALU_DEP_2)
	v_dual_cndmask_b32 v5, v5, v7 :: v_dual_cndmask_b32 v4, v4, v6
	v_cmp_eq_u32_e32 vcc_lo, 3, v0
	v_dual_cndmask_b32 v16, v5, v9 :: v_dual_cndmask_b32 v17, v4, v8
	v_cmp_eq_u32_e32 vcc_lo, 4, v0
	ds_load_b64 v[4:5], v50
	v_dual_cndmask_b32 v16, v16, v11 :: v_dual_cndmask_b32 v17, v17, v10
	v_cmp_eq_u32_e32 vcc_lo, 5, v0
	s_delay_alu instid0(VALU_DEP_2) | instskip(NEXT) | instid1(VALU_DEP_3)
	v_cndmask_b32_e32 v16, v16, v13, vcc_lo
	v_cndmask_b32_e32 v18, v17, v12, vcc_lo
	v_cmp_eq_u32_e32 vcc_lo, 6, v0
	s_delay_alu instid0(VALU_DEP_2) | instskip(SKIP_1) | instid1(VALU_DEP_1)
	v_dual_cndmask_b32 v17, v16, v15 :: v_dual_cndmask_b32 v16, v18, v14
	s_waitcnt lgkmcnt(0)
	v_mul_f64 v[4:5], v[16:17], v[4:5]
	s_cbranch_execz .LBB70_88
	s_branch .LBB70_89
.LBB70_87:
                                        ; implicit-def: $vgpr4_vgpr5
.LBB70_88:
	ds_load_b64 v[4:5], v50
.LBB70_89:
	v_mov_b32_e32 v16, 0
	ds_load_b64 v[16:17], v16 offset:8
	s_waitcnt lgkmcnt(0)
	v_mul_f64 v[4:5], v[4:5], v[16:17]
.LBB70_90:
	s_or_b32 exec_lo, exec_lo, s1
	v_add_nc_u32_e32 v18, 1, v0
	v_cndmask_b32_e64 v20, 0, 1, s7
	s_mov_b32 s1, exec_lo
	ds_store_b64 v50, v[6:7]
	s_waitcnt lgkmcnt(0)
	s_barrier
	buffer_gl0_inv
	v_cmpx_gt_u32_e32 2, v0
	s_cbranch_execz .LBB70_98
; %bb.91:
	s_and_not1_b32 vcc_lo, exec_lo, s7
	s_cbranch_vccnz .LBB70_93
; %bb.92:
	v_cmp_eq_u32_e32 vcc_lo, 1, v0
	v_dual_cndmask_b32 v16, v3, v5 :: v_dual_cndmask_b32 v17, v2, v4
	v_cmp_eq_u32_e32 vcc_lo, 2, v0
	s_delay_alu instid0(VALU_DEP_2) | instskip(SKIP_1) | instid1(VALU_DEP_2)
	v_dual_cndmask_b32 v16, v16, v7 :: v_dual_cndmask_b32 v17, v17, v6
	v_cmp_eq_u32_e32 vcc_lo, 3, v0
	v_cndmask_b32_e32 v19, v16, v9, vcc_lo
	s_delay_alu instid0(VALU_DEP_3)
	v_cndmask_b32_e32 v21, v17, v8, vcc_lo
	v_cmp_eq_u32_e32 vcc_lo, 4, v0
	ds_load_b64 v[16:17], v50
	v_cndmask_b32_e32 v19, v19, v11, vcc_lo
	v_cndmask_b32_e32 v21, v21, v10, vcc_lo
	v_cmp_eq_u32_e32 vcc_lo, 5, v0
	s_delay_alu instid0(VALU_DEP_3) | instskip(NEXT) | instid1(VALU_DEP_3)
	v_cndmask_b32_e32 v19, v19, v13, vcc_lo
	v_cndmask_b32_e32 v21, v21, v12, vcc_lo
	v_cmp_eq_u32_e32 vcc_lo, 6, v0
	s_delay_alu instid0(VALU_DEP_2) | instskip(SKIP_1) | instid1(VALU_DEP_1)
	v_dual_cndmask_b32 v22, v19, v15 :: v_dual_cndmask_b32 v21, v21, v14
	s_waitcnt lgkmcnt(0)
	v_mul_f64 v[16:17], v[21:22], v[16:17]
	s_cbranch_execz .LBB70_94
	s_branch .LBB70_95
.LBB70_93:
                                        ; implicit-def: $vgpr16_vgpr17
.LBB70_94:
	ds_load_b64 v[16:17], v50
.LBB70_95:
	s_and_saveexec_b32 s2, s0
	s_cbranch_execz .LBB70_97
; %bb.96:
	v_cmp_eq_u32_e32 vcc_lo, 1, v18
	v_cndmask_b32_e32 v21, v2, v4, vcc_lo
	v_cndmask_b32_e32 v19, v3, v5, vcc_lo
	v_cmp_eq_u32_e32 vcc_lo, 2, v18
	s_delay_alu instid0(VALU_DEP_2) | instskip(SKIP_1) | instid1(VALU_DEP_2)
	v_dual_cndmask_b32 v6, v21, v6 :: v_dual_cndmask_b32 v7, v19, v7
	v_cmp_eq_u32_e32 vcc_lo, 3, v18
	v_cndmask_b32_e32 v19, v7, v9, vcc_lo
	s_delay_alu instid0(VALU_DEP_3)
	v_cndmask_b32_e32 v21, v6, v8, vcc_lo
	v_cmp_eq_u32_e32 vcc_lo, 4, v18
	ds_load_b64 v[6:7], v50 offset:8
	v_cndmask_b32_e32 v19, v19, v11, vcc_lo
	v_cndmask_b32_e32 v21, v21, v10, vcc_lo
	v_cmp_eq_u32_e32 vcc_lo, 5, v18
	s_delay_alu instid0(VALU_DEP_3) | instskip(NEXT) | instid1(VALU_DEP_3)
	v_cndmask_b32_e32 v19, v19, v13, vcc_lo
	v_cndmask_b32_e32 v21, v21, v12, vcc_lo
	v_cmp_eq_u32_e32 vcc_lo, 6, v18
	s_delay_alu instid0(VALU_DEP_2) | instskip(SKIP_1) | instid1(VALU_DEP_1)
	v_dual_cndmask_b32 v22, v19, v15 :: v_dual_cndmask_b32 v21, v21, v14
	s_waitcnt lgkmcnt(0)
	v_fma_f64 v[16:17], v[21:22], v[6:7], v[16:17]
.LBB70_97:
	s_or_b32 exec_lo, exec_lo, s2
	v_mov_b32_e32 v6, 0
	ds_load_b64 v[6:7], v6 offset:16
	s_waitcnt lgkmcnt(0)
	v_mul_f64 v[6:7], v[16:17], v[6:7]
.LBB70_98:
	s_or_b32 exec_lo, exec_lo, s1
	s_delay_alu instid0(SALU_CYCLE_1)
	s_mov_b32 s1, exec_lo
	ds_store_b64 v50, v[8:9]
	s_waitcnt lgkmcnt(0)
	s_barrier
	buffer_gl0_inv
	v_cmpx_gt_u32_e32 3, v0
	s_cbranch_execz .LBB70_108
; %bb.99:
	v_cmp_ne_u32_e32 vcc_lo, 1, v20
	s_cbranch_vccnz .LBB70_101
; %bb.100:
	v_cmp_eq_u32_e32 vcc_lo, 1, v0
	v_dual_cndmask_b32 v16, v3, v5 :: v_dual_cndmask_b32 v17, v2, v4
	v_cmp_eq_u32_e32 vcc_lo, 2, v0
	s_delay_alu instid0(VALU_DEP_2) | instskip(SKIP_1) | instid1(VALU_DEP_2)
	v_dual_cndmask_b32 v16, v16, v7 :: v_dual_cndmask_b32 v17, v17, v6
	v_cmp_eq_u32_e32 vcc_lo, 3, v0
	v_cndmask_b32_e32 v19, v16, v9, vcc_lo
	s_delay_alu instid0(VALU_DEP_3)
	v_cndmask_b32_e32 v21, v17, v8, vcc_lo
	v_cmp_eq_u32_e32 vcc_lo, 4, v0
	ds_load_b64 v[16:17], v50
	v_cndmask_b32_e32 v19, v19, v11, vcc_lo
	v_cndmask_b32_e32 v21, v21, v10, vcc_lo
	v_cmp_eq_u32_e32 vcc_lo, 5, v0
	s_delay_alu instid0(VALU_DEP_3) | instskip(NEXT) | instid1(VALU_DEP_3)
	v_cndmask_b32_e32 v19, v19, v13, vcc_lo
	v_cndmask_b32_e32 v21, v21, v12, vcc_lo
	v_cmp_eq_u32_e32 vcc_lo, 6, v0
	s_delay_alu instid0(VALU_DEP_2) | instskip(SKIP_1) | instid1(VALU_DEP_1)
	v_dual_cndmask_b32 v22, v19, v15 :: v_dual_cndmask_b32 v21, v21, v14
	s_waitcnt lgkmcnt(0)
	v_mul_f64 v[16:17], v[21:22], v[16:17]
	s_cbranch_execz .LBB70_102
	s_branch .LBB70_103
.LBB70_101:
                                        ; implicit-def: $vgpr16_vgpr17
.LBB70_102:
	ds_load_b64 v[16:17], v50
.LBB70_103:
	s_mov_b32 s2, exec_lo
	v_cmpx_ne_u32_e32 2, v0
	s_cbranch_execz .LBB70_107
; %bb.104:
	v_cmp_eq_u32_e32 vcc_lo, 1, v18
	v_cndmask_b32_e32 v19, v3, v5, vcc_lo
	v_cndmask_b32_e32 v21, v2, v4, vcc_lo
	v_cmp_eq_u32_e32 vcc_lo, 2, v18
	s_delay_alu instid0(VALU_DEP_3) | instskip(NEXT) | instid1(VALU_DEP_3)
	v_cndmask_b32_e32 v19, v19, v7, vcc_lo
	v_cndmask_b32_e32 v21, v21, v6, vcc_lo
	v_cmp_eq_u32_e32 vcc_lo, 3, v18
	s_delay_alu instid0(VALU_DEP_3) | instskip(NEXT) | instid1(VALU_DEP_3)
	v_cndmask_b32_e32 v19, v19, v9, vcc_lo
	v_cndmask_b32_e32 v21, v21, v8, vcc_lo
	v_cmp_eq_u32_e32 vcc_lo, 4, v18
	ds_load_b64 v[8:9], v50 offset:8
	v_cndmask_b32_e32 v19, v19, v11, vcc_lo
	v_cndmask_b32_e32 v21, v21, v10, vcc_lo
	v_cmp_eq_u32_e32 vcc_lo, 5, v18
	s_delay_alu instid0(VALU_DEP_3) | instskip(NEXT) | instid1(VALU_DEP_3)
	v_cndmask_b32_e32 v19, v19, v13, vcc_lo
	v_cndmask_b32_e32 v21, v21, v12, vcc_lo
	v_cmp_eq_u32_e32 vcc_lo, 6, v18
	s_delay_alu instid0(VALU_DEP_2) | instskip(SKIP_1) | instid1(VALU_DEP_1)
	v_dual_cndmask_b32 v18, v21, v14 :: v_dual_cndmask_b32 v19, v19, v15
	s_waitcnt lgkmcnt(0)
	v_fma_f64 v[16:17], v[18:19], v[8:9], v[16:17]
	s_and_saveexec_b32 s3, s0
	s_cbranch_execz .LBB70_106
; %bb.105:
	v_mov_b32_e32 v8, 0
	ds_load_b64 v[8:9], v8 offset:80
	s_waitcnt lgkmcnt(0)
	v_fma_f64 v[16:17], v[6:7], v[8:9], v[16:17]
.LBB70_106:
	s_or_b32 exec_lo, exec_lo, s3
.LBB70_107:
	s_delay_alu instid0(SALU_CYCLE_1)
	s_or_b32 exec_lo, exec_lo, s2
	v_mov_b32_e32 v8, 0
	ds_load_b64 v[8:9], v8 offset:24
	s_waitcnt lgkmcnt(0)
	v_mul_f64 v[8:9], v[16:17], v[8:9]
.LBB70_108:
	s_or_b32 exec_lo, exec_lo, s1
	s_delay_alu instid0(SALU_CYCLE_1)
	s_mov_b32 s1, exec_lo
	ds_store_b64 v50, v[10:11]
	s_waitcnt lgkmcnt(0)
	s_barrier
	buffer_gl0_inv
	v_cmpx_gt_u32_e32 4, v0
	s_cbranch_execz .LBB70_118
; %bb.109:
	v_cmp_ne_u32_e32 vcc_lo, 1, v20
	s_cbranch_vccnz .LBB70_111
; %bb.110:
	v_cmp_eq_u32_e32 vcc_lo, 1, v0
	v_dual_cndmask_b32 v16, v3, v5 :: v_dual_cndmask_b32 v17, v2, v4
	v_cmp_eq_u32_e32 vcc_lo, 2, v0
	s_delay_alu instid0(VALU_DEP_2) | instskip(SKIP_1) | instid1(VALU_DEP_2)
	v_dual_cndmask_b32 v16, v16, v7 :: v_dual_cndmask_b32 v17, v17, v6
	v_cmp_eq_u32_e32 vcc_lo, 3, v0
	v_dual_cndmask_b32 v18, v16, v9 :: v_dual_cndmask_b32 v19, v17, v8
	v_cmp_eq_u32_e32 vcc_lo, 4, v0
	ds_load_b64 v[16:17], v50
	v_dual_cndmask_b32 v18, v18, v11 :: v_dual_cndmask_b32 v19, v19, v10
	v_cmp_eq_u32_e32 vcc_lo, 5, v0
	s_delay_alu instid0(VALU_DEP_2) | instskip(SKIP_1) | instid1(VALU_DEP_2)
	v_dual_cndmask_b32 v18, v18, v13 :: v_dual_cndmask_b32 v21, v19, v12
	v_cmp_eq_u32_e32 vcc_lo, 6, v0
	v_dual_cndmask_b32 v19, v18, v15 :: v_dual_cndmask_b32 v18, v21, v14
	s_waitcnt lgkmcnt(0)
	s_delay_alu instid0(VALU_DEP_1)
	v_mul_f64 v[16:17], v[18:19], v[16:17]
	s_cbranch_execz .LBB70_112
	s_branch .LBB70_113
.LBB70_111:
                                        ; implicit-def: $vgpr16_vgpr17
.LBB70_112:
	ds_load_b64 v[16:17], v50
.LBB70_113:
	s_mov_b32 s2, exec_lo
	v_cmpx_ne_u32_e32 3, v0
	s_cbranch_execz .LBB70_117
; %bb.114:
	v_lshl_add_u32 v21, v0, 3, 0x48
	v_dual_mov_b32 v19, v1 :: v_dual_mov_b32 v18, v0
	s_mov_b32 s3, 0
	s_set_inst_prefetch_distance 0x1
	.p2align	6
.LBB70_115:                             ; =>This Inner Loop Header: Depth=1
	s_delay_alu instid0(VALU_DEP_1) | instskip(NEXT) | instid1(VALU_DEP_2)
	v_add_co_u32 v18, vcc_lo, v18, 1
	v_add_co_ci_u32_e32 v19, vcc_lo, 0, v19, vcc_lo
	s_delay_alu instid0(VALU_DEP_2) | instskip(SKIP_3) | instid1(VALU_DEP_2)
	v_cmp_eq_u32_e32 vcc_lo, 1, v18
	v_cmp_eq_u32_e64 s0, 2, v18
	v_dual_cndmask_b32 v22, v3, v5 :: v_dual_cndmask_b32 v23, v2, v4
	v_cmp_eq_u32_e32 vcc_lo, 3, v18
	v_cndmask_b32_e64 v24, v22, v7, s0
	s_delay_alu instid0(VALU_DEP_3)
	v_cndmask_b32_e64 v25, v23, v6, s0
	ds_load_b64 v[22:23], v21
	v_cmp_eq_u32_e64 s0, 4, v18
	v_add_nc_u32_e32 v21, 8, v21
	v_dual_cndmask_b32 v24, v24, v9 :: v_dual_cndmask_b32 v25, v25, v8
	v_cmp_eq_u32_e32 vcc_lo, 5, v18
	s_delay_alu instid0(VALU_DEP_2) | instskip(NEXT) | instid1(VALU_DEP_3)
	v_cndmask_b32_e64 v24, v24, v11, s0
	v_cndmask_b32_e64 v25, v25, v10, s0
	v_cmp_eq_u32_e64 s0, 6, v18
	s_delay_alu instid0(VALU_DEP_3) | instskip(NEXT) | instid1(VALU_DEP_3)
	v_cndmask_b32_e32 v24, v24, v13, vcc_lo
	v_cndmask_b32_e32 v26, v25, v12, vcc_lo
	v_cmp_lt_u32_e32 vcc_lo, 2, v18
	s_delay_alu instid0(VALU_DEP_3) | instskip(NEXT) | instid1(VALU_DEP_3)
	v_cndmask_b32_e64 v25, v24, v15, s0
	v_cndmask_b32_e64 v24, v26, v14, s0
	s_or_b32 s3, vcc_lo, s3
	s_waitcnt lgkmcnt(0)
	s_delay_alu instid0(VALU_DEP_1)
	v_fma_f64 v[16:17], v[24:25], v[22:23], v[16:17]
	s_and_not1_b32 exec_lo, exec_lo, s3
	s_cbranch_execnz .LBB70_115
; %bb.116:
	s_set_inst_prefetch_distance 0x2
	s_or_b32 exec_lo, exec_lo, s3
.LBB70_117:
	s_delay_alu instid0(SALU_CYCLE_1)
	s_or_b32 exec_lo, exec_lo, s2
	v_mov_b32_e32 v10, 0
	ds_load_b64 v[10:11], v10 offset:32
	s_waitcnt lgkmcnt(0)
	v_mul_f64 v[10:11], v[16:17], v[10:11]
.LBB70_118:
	s_or_b32 exec_lo, exec_lo, s1
	v_cmp_gt_u32_e64 s0, 5, v0
	ds_store_b64 v50, v[12:13]
	s_waitcnt lgkmcnt(0)
	s_barrier
	buffer_gl0_inv
	s_and_saveexec_b32 s2, s0
	s_cbranch_execz .LBB70_128
; %bb.119:
	v_cmp_ne_u32_e32 vcc_lo, 1, v20
	s_cbranch_vccnz .LBB70_121
; %bb.120:
	v_cmp_eq_u32_e32 vcc_lo, 1, v0
	v_dual_cndmask_b32 v16, v3, v5 :: v_dual_cndmask_b32 v17, v2, v4
	v_cmp_eq_u32_e32 vcc_lo, 2, v0
	s_delay_alu instid0(VALU_DEP_2) | instskip(SKIP_1) | instid1(VALU_DEP_2)
	v_dual_cndmask_b32 v16, v16, v7 :: v_dual_cndmask_b32 v17, v17, v6
	v_cmp_eq_u32_e32 vcc_lo, 3, v0
	v_dual_cndmask_b32 v18, v16, v9 :: v_dual_cndmask_b32 v19, v17, v8
	v_cmp_eq_u32_e32 vcc_lo, 4, v0
	ds_load_b64 v[16:17], v50
	v_dual_cndmask_b32 v18, v18, v11 :: v_dual_cndmask_b32 v19, v19, v10
	v_cmp_eq_u32_e32 vcc_lo, 5, v0
	s_delay_alu instid0(VALU_DEP_2) | instskip(SKIP_1) | instid1(VALU_DEP_2)
	v_dual_cndmask_b32 v18, v18, v13 :: v_dual_cndmask_b32 v21, v19, v12
	v_cmp_eq_u32_e32 vcc_lo, 6, v0
	v_dual_cndmask_b32 v19, v18, v15 :: v_dual_cndmask_b32 v18, v21, v14
	s_waitcnt lgkmcnt(0)
	s_delay_alu instid0(VALU_DEP_1)
	v_mul_f64 v[16:17], v[18:19], v[16:17]
	s_cbranch_execz .LBB70_122
	s_branch .LBB70_123
.LBB70_121:
                                        ; implicit-def: $vgpr16_vgpr17
.LBB70_122:
	ds_load_b64 v[16:17], v50
.LBB70_123:
	s_mov_b32 s3, exec_lo
	v_cmpx_ne_u32_e32 4, v0
	s_cbranch_execz .LBB70_127
; %bb.124:
	v_lshl_add_u32 v21, v0, 3, 0x48
	v_dual_mov_b32 v19, v1 :: v_dual_mov_b32 v18, v0
	s_mov_b32 s4, 0
	s_set_inst_prefetch_distance 0x1
	.p2align	6
.LBB70_125:                             ; =>This Inner Loop Header: Depth=1
	s_delay_alu instid0(VALU_DEP_1) | instskip(NEXT) | instid1(VALU_DEP_2)
	v_add_co_u32 v18, vcc_lo, v18, 1
	v_add_co_ci_u32_e32 v19, vcc_lo, 0, v19, vcc_lo
	s_delay_alu instid0(VALU_DEP_2) | instskip(SKIP_3) | instid1(VALU_DEP_2)
	v_cmp_eq_u32_e32 vcc_lo, 1, v18
	v_cmp_eq_u32_e64 s1, 2, v18
	v_dual_cndmask_b32 v22, v3, v5 :: v_dual_cndmask_b32 v23, v2, v4
	v_cmp_eq_u32_e32 vcc_lo, 3, v18
	v_cndmask_b32_e64 v24, v22, v7, s1
	s_delay_alu instid0(VALU_DEP_3)
	v_cndmask_b32_e64 v25, v23, v6, s1
	ds_load_b64 v[22:23], v21
	v_cmp_eq_u32_e64 s1, 4, v18
	v_add_nc_u32_e32 v21, 8, v21
	v_dual_cndmask_b32 v24, v24, v9 :: v_dual_cndmask_b32 v25, v25, v8
	v_cmp_eq_u32_e32 vcc_lo, 5, v18
	s_delay_alu instid0(VALU_DEP_2) | instskip(NEXT) | instid1(VALU_DEP_3)
	v_cndmask_b32_e64 v24, v24, v11, s1
	v_cndmask_b32_e64 v25, v25, v10, s1
	v_cmp_eq_u32_e64 s1, 6, v18
	s_delay_alu instid0(VALU_DEP_3) | instskip(NEXT) | instid1(VALU_DEP_3)
	v_cndmask_b32_e32 v24, v24, v13, vcc_lo
	v_cndmask_b32_e32 v26, v25, v12, vcc_lo
	v_cmp_lt_u32_e32 vcc_lo, 3, v18
	s_delay_alu instid0(VALU_DEP_3) | instskip(NEXT) | instid1(VALU_DEP_3)
	v_cndmask_b32_e64 v25, v24, v15, s1
	v_cndmask_b32_e64 v24, v26, v14, s1
	s_or_b32 s4, vcc_lo, s4
	s_waitcnt lgkmcnt(0)
	s_delay_alu instid0(VALU_DEP_1)
	v_fma_f64 v[16:17], v[24:25], v[22:23], v[16:17]
	s_and_not1_b32 exec_lo, exec_lo, s4
	s_cbranch_execnz .LBB70_125
; %bb.126:
	s_set_inst_prefetch_distance 0x2
	s_or_b32 exec_lo, exec_lo, s4
.LBB70_127:
	s_delay_alu instid0(SALU_CYCLE_1)
	s_or_b32 exec_lo, exec_lo, s3
	v_mov_b32_e32 v12, 0
	ds_load_b64 v[12:13], v12 offset:40
	s_waitcnt lgkmcnt(0)
	v_mul_f64 v[12:13], v[16:17], v[12:13]
.LBB70_128:
	s_or_b32 exec_lo, exec_lo, s2
	s_delay_alu instid0(SALU_CYCLE_1)
	s_mov_b32 s1, exec_lo
	ds_store_b64 v50, v[14:15]
	s_waitcnt lgkmcnt(0)
	s_barrier
	buffer_gl0_inv
	v_cmpx_ne_u32_e32 6, v0
	s_cbranch_execz .LBB70_138
; %bb.129:
	v_cmp_ne_u32_e32 vcc_lo, 1, v20
	s_cbranch_vccnz .LBB70_131
; %bb.130:
	v_cmp_eq_u32_e32 vcc_lo, 1, v0
	v_dual_cndmask_b32 v16, v3, v5 :: v_dual_cndmask_b32 v17, v2, v4
	v_cmp_eq_u32_e32 vcc_lo, 2, v0
	s_delay_alu instid0(VALU_DEP_2) | instskip(SKIP_1) | instid1(VALU_DEP_2)
	v_dual_cndmask_b32 v16, v16, v7 :: v_dual_cndmask_b32 v17, v17, v6
	v_cmp_eq_u32_e32 vcc_lo, 3, v0
	v_dual_cndmask_b32 v18, v16, v9 :: v_dual_cndmask_b32 v19, v17, v8
	v_cmp_eq_u32_e32 vcc_lo, 4, v0
	ds_load_b64 v[16:17], v50
	v_dual_cndmask_b32 v18, v18, v11 :: v_dual_cndmask_b32 v19, v19, v10
	v_cmp_eq_u32_e32 vcc_lo, 5, v0
	s_delay_alu instid0(VALU_DEP_2) | instskip(NEXT) | instid1(VALU_DEP_3)
	v_cndmask_b32_e32 v18, v18, v13, vcc_lo
	v_cndmask_b32_e32 v20, v19, v12, vcc_lo
	v_cmp_eq_u32_e32 vcc_lo, 6, v0
	s_delay_alu instid0(VALU_DEP_2) | instskip(SKIP_1) | instid1(VALU_DEP_1)
	v_dual_cndmask_b32 v19, v18, v15 :: v_dual_cndmask_b32 v18, v20, v14
	s_waitcnt lgkmcnt(0)
	v_mul_f64 v[16:17], v[18:19], v[16:17]
	s_cbranch_execz .LBB70_132
	s_branch .LBB70_133
.LBB70_131:
                                        ; implicit-def: $vgpr16_vgpr17
.LBB70_132:
	ds_load_b64 v[16:17], v50
.LBB70_133:
	s_and_saveexec_b32 s2, s0
	s_cbranch_execz .LBB70_137
; %bb.134:
	v_lshl_add_u32 v18, v0, 3, 0x48
	s_mov_b32 s3, 0
	s_set_inst_prefetch_distance 0x1
	.p2align	6
.LBB70_135:                             ; =>This Inner Loop Header: Depth=1
	v_add_co_u32 v0, vcc_lo, v0, 1
	v_add_co_ci_u32_e32 v1, vcc_lo, 0, v1, vcc_lo
	s_delay_alu instid0(VALU_DEP_2) | instskip(SKIP_3) | instid1(VALU_DEP_2)
	v_cmp_eq_u32_e32 vcc_lo, 1, v0
	v_cmp_eq_u32_e64 s0, 2, v0
	v_dual_cndmask_b32 v19, v3, v5 :: v_dual_cndmask_b32 v20, v2, v4
	v_cmp_eq_u32_e32 vcc_lo, 3, v0
	v_cndmask_b32_e64 v21, v19, v7, s0
	s_delay_alu instid0(VALU_DEP_3)
	v_cndmask_b32_e64 v22, v20, v6, s0
	ds_load_b64 v[19:20], v18
	v_cmp_eq_u32_e64 s0, 4, v0
	v_dual_cndmask_b32 v21, v21, v9 :: v_dual_add_nc_u32 v18, 8, v18
	v_cndmask_b32_e32 v22, v22, v8, vcc_lo
	v_cmp_eq_u32_e32 vcc_lo, 5, v0
	s_delay_alu instid0(VALU_DEP_3) | instskip(NEXT) | instid1(VALU_DEP_3)
	v_cndmask_b32_e64 v21, v21, v11, s0
	v_cndmask_b32_e64 v22, v22, v10, s0
	v_cmp_eq_u32_e64 s0, 6, v0
	s_delay_alu instid0(VALU_DEP_3) | instskip(NEXT) | instid1(VALU_DEP_3)
	v_cndmask_b32_e32 v21, v21, v13, vcc_lo
	v_cndmask_b32_e32 v23, v22, v12, vcc_lo
	v_cmp_lt_u32_e32 vcc_lo, 4, v0
	s_delay_alu instid0(VALU_DEP_3) | instskip(NEXT) | instid1(VALU_DEP_3)
	v_cndmask_b32_e64 v22, v21, v15, s0
	v_cndmask_b32_e64 v21, v23, v14, s0
	s_or_b32 s3, vcc_lo, s3
	s_waitcnt lgkmcnt(0)
	s_delay_alu instid0(VALU_DEP_1)
	v_fma_f64 v[16:17], v[21:22], v[19:20], v[16:17]
	s_and_not1_b32 exec_lo, exec_lo, s3
	s_cbranch_execnz .LBB70_135
; %bb.136:
	s_set_inst_prefetch_distance 0x2
	s_or_b32 exec_lo, exec_lo, s3
.LBB70_137:
	s_delay_alu instid0(SALU_CYCLE_1)
	s_or_b32 exec_lo, exec_lo, s2
	v_mov_b32_e32 v0, 0
	ds_load_b64 v[0:1], v0 offset:48
	s_waitcnt lgkmcnt(0)
	v_mul_f64 v[14:15], v[16:17], v[0:1]
.LBB70_138:
	s_or_b32 exec_lo, exec_lo, s1
	v_dual_mov_b32 v33, v17 :: v_dual_mov_b32 v32, v16
	s_delay_alu instid0(VALU_DEP_2)
	v_dual_mov_b32 v31, v15 :: v_dual_mov_b32 v30, v14
	v_dual_mov_b32 v29, v13 :: v_dual_mov_b32 v28, v12
	;; [unrolled: 1-line block ×7, first 2 shown]
.LBB70_139:
	s_clause 0x6
	global_store_b64 v[44:45], v[18:19], off
	global_store_b64 v[46:47], v[20:21], off
	;; [unrolled: 1-line block ×7, first 2 shown]
.LBB70_140:
	s_nop 0
	s_sendmsg sendmsg(MSG_DEALLOC_VGPRS)
	s_endpgm
	.section	.rodata,"a",@progbits
	.p2align	6, 0x0
	.amdhsa_kernel _ZN9rocsolver6v33100L18trti2_kernel_smallILi7EdPKPdEEv13rocblas_fill_17rocblas_diagonal_T1_iil
		.amdhsa_group_segment_fixed_size 120
		.amdhsa_private_segment_fixed_size 0
		.amdhsa_kernarg_size 32
		.amdhsa_user_sgpr_count 15
		.amdhsa_user_sgpr_dispatch_ptr 0
		.amdhsa_user_sgpr_queue_ptr 0
		.amdhsa_user_sgpr_kernarg_segment_ptr 1
		.amdhsa_user_sgpr_dispatch_id 0
		.amdhsa_user_sgpr_private_segment_size 0
		.amdhsa_wavefront_size32 1
		.amdhsa_uses_dynamic_stack 0
		.amdhsa_enable_private_segment 0
		.amdhsa_system_sgpr_workgroup_id_x 1
		.amdhsa_system_sgpr_workgroup_id_y 0
		.amdhsa_system_sgpr_workgroup_id_z 0
		.amdhsa_system_sgpr_workgroup_info 0
		.amdhsa_system_vgpr_workitem_id 0
		.amdhsa_next_free_vgpr 64
		.amdhsa_next_free_sgpr 16
		.amdhsa_reserve_vcc 1
		.amdhsa_float_round_mode_32 0
		.amdhsa_float_round_mode_16_64 0
		.amdhsa_float_denorm_mode_32 3
		.amdhsa_float_denorm_mode_16_64 3
		.amdhsa_dx10_clamp 1
		.amdhsa_ieee_mode 1
		.amdhsa_fp16_overflow 0
		.amdhsa_workgroup_processor_mode 1
		.amdhsa_memory_ordered 1
		.amdhsa_forward_progress 0
		.amdhsa_shared_vgpr_count 0
		.amdhsa_exception_fp_ieee_invalid_op 0
		.amdhsa_exception_fp_denorm_src 0
		.amdhsa_exception_fp_ieee_div_zero 0
		.amdhsa_exception_fp_ieee_overflow 0
		.amdhsa_exception_fp_ieee_underflow 0
		.amdhsa_exception_fp_ieee_inexact 0
		.amdhsa_exception_int_div_zero 0
	.end_amdhsa_kernel
	.section	.text._ZN9rocsolver6v33100L18trti2_kernel_smallILi7EdPKPdEEv13rocblas_fill_17rocblas_diagonal_T1_iil,"axG",@progbits,_ZN9rocsolver6v33100L18trti2_kernel_smallILi7EdPKPdEEv13rocblas_fill_17rocblas_diagonal_T1_iil,comdat
.Lfunc_end70:
	.size	_ZN9rocsolver6v33100L18trti2_kernel_smallILi7EdPKPdEEv13rocblas_fill_17rocblas_diagonal_T1_iil, .Lfunc_end70-_ZN9rocsolver6v33100L18trti2_kernel_smallILi7EdPKPdEEv13rocblas_fill_17rocblas_diagonal_T1_iil
                                        ; -- End function
	.section	.AMDGPU.csdata,"",@progbits
; Kernel info:
; codeLenInByte = 7076
; NumSgprs: 18
; NumVgprs: 64
; ScratchSize: 0
; MemoryBound: 0
; FloatMode: 240
; IeeeMode: 1
; LDSByteSize: 120 bytes/workgroup (compile time only)
; SGPRBlocks: 2
; VGPRBlocks: 7
; NumSGPRsForWavesPerEU: 18
; NumVGPRsForWavesPerEU: 64
; Occupancy: 16
; WaveLimiterHint : 1
; COMPUTE_PGM_RSRC2:SCRATCH_EN: 0
; COMPUTE_PGM_RSRC2:USER_SGPR: 15
; COMPUTE_PGM_RSRC2:TRAP_HANDLER: 0
; COMPUTE_PGM_RSRC2:TGID_X_EN: 1
; COMPUTE_PGM_RSRC2:TGID_Y_EN: 0
; COMPUTE_PGM_RSRC2:TGID_Z_EN: 0
; COMPUTE_PGM_RSRC2:TIDIG_COMP_CNT: 0
	.section	.text._ZN9rocsolver6v33100L18trti2_kernel_smallILi8EdPKPdEEv13rocblas_fill_17rocblas_diagonal_T1_iil,"axG",@progbits,_ZN9rocsolver6v33100L18trti2_kernel_smallILi8EdPKPdEEv13rocblas_fill_17rocblas_diagonal_T1_iil,comdat
	.globl	_ZN9rocsolver6v33100L18trti2_kernel_smallILi8EdPKPdEEv13rocblas_fill_17rocblas_diagonal_T1_iil ; -- Begin function _ZN9rocsolver6v33100L18trti2_kernel_smallILi8EdPKPdEEv13rocblas_fill_17rocblas_diagonal_T1_iil
	.p2align	8
	.type	_ZN9rocsolver6v33100L18trti2_kernel_smallILi8EdPKPdEEv13rocblas_fill_17rocblas_diagonal_T1_iil,@function
_ZN9rocsolver6v33100L18trti2_kernel_smallILi8EdPKPdEEv13rocblas_fill_17rocblas_diagonal_T1_iil: ; @_ZN9rocsolver6v33100L18trti2_kernel_smallILi8EdPKPdEEv13rocblas_fill_17rocblas_diagonal_T1_iil
; %bb.0:
	s_mov_b32 s2, exec_lo
	v_cmpx_gt_u32_e32 8, v0
	s_cbranch_execz .LBB71_166
; %bb.1:
	s_clause 0x1
	s_load_b64 s[2:3], s[0:1], 0x10
	s_load_b128 s[8:11], s[0:1], 0x0
	s_mov_b32 s4, s15
	s_ashr_i32 s5, s15, 31
	v_lshlrev_b32_e32 v20, 3, v0
	s_lshl_b64 s[0:1], s[4:5], 3
	v_mov_b32_e32 v18, 0
	v_mov_b32_e32 v19, 0xbff00000
	s_waitcnt lgkmcnt(0)
	s_ashr_i32 s5, s2, 31
	s_add_u32 s0, s10, s0
	s_addc_u32 s1, s11, s1
	v_add3_u32 v1, s3, s3, v0
	s_load_b64 s[0:1], s[0:1], 0x0
	s_mov_b32 s4, s2
	s_mov_b32 s6, s3
	s_lshl_b64 s[4:5], s[4:5], 3
	v_add_nc_u32_e32 v3, s3, v1
	v_ashrrev_i32_e32 v2, 31, v1
	s_delay_alu instid0(VALU_DEP_2) | instskip(SKIP_1) | instid1(VALU_DEP_3)
	v_add_nc_u32_e32 v5, s3, v3
	v_ashrrev_i32_e32 v4, 31, v3
	v_lshlrev_b64 v[1:2], 3, v[1:2]
	s_delay_alu instid0(VALU_DEP_3) | instskip(SKIP_1) | instid1(VALU_DEP_4)
	v_add_nc_u32_e32 v7, s3, v5
	v_ashrrev_i32_e32 v6, 31, v5
	v_lshlrev_b64 v[3:4], 3, v[3:4]
	s_delay_alu instid0(VALU_DEP_3)
	v_add_nc_u32_e32 v9, s3, v7
	s_waitcnt lgkmcnt(0)
	s_add_u32 s0, s0, s4
	v_lshlrev_b64 v[5:6], 3, v[5:6]
	s_addc_u32 s1, s1, s5
	v_add_co_u32 v44, vcc_lo, s0, v1
	v_ashrrev_i32_e32 v8, 31, v7
	v_add_nc_u32_e32 v11, s3, v9
	v_add_co_ci_u32_e32 v45, vcc_lo, s1, v2, vcc_lo
	v_add_co_u32 v42, vcc_lo, s0, v3
	v_ashrrev_i32_e32 v10, 31, v9
	v_add_co_u32 v46, s2, s0, v20
	s_ashr_i32 s7, s3, 31
	v_add_co_ci_u32_e32 v43, vcc_lo, s1, v4, vcc_lo
	v_lshlrev_b64 v[7:8], 3, v[7:8]
	v_add_co_ci_u32_e64 v47, null, s1, 0, s2
	v_add_co_u32 v36, vcc_lo, s0, v5
	s_lshl_b64 s[2:3], s[6:7], 3
	v_ashrrev_i32_e32 v12, 31, v11
	v_add_co_ci_u32_e32 v37, vcc_lo, s1, v6, vcc_lo
	v_lshlrev_b64 v[1:2], 3, v[9:10]
	v_add_co_u32 v48, vcc_lo, v46, s2
	v_add_co_ci_u32_e32 v49, vcc_lo, s3, v47, vcc_lo
	v_add_co_u32 v38, vcc_lo, s0, v7
	v_lshlrev_b64 v[3:4], 3, v[11:12]
	v_add_co_ci_u32_e32 v39, vcc_lo, s1, v8, vcc_lo
	v_add_co_u32 v40, vcc_lo, s0, v1
	v_add_co_ci_u32_e32 v41, vcc_lo, s1, v2, vcc_lo
	s_delay_alu instid0(VALU_DEP_4)
	v_add_co_u32 v34, vcc_lo, s0, v3
	v_add_co_ci_u32_e32 v35, vcc_lo, s1, v4, vcc_lo
	v_mov_b32_e32 v1, 0
	s_clause 0x7
	global_load_b64 v[4:5], v[48:49], off
	global_load_b64 v[6:7], v[44:45], off
	;; [unrolled: 1-line block ×6, first 2 shown]
	global_load_b64 v[2:3], v20, s[0:1]
	global_load_b64 v[16:17], v[34:35], off
	v_cmp_eq_u32_e64 s0, 0, v0
	s_cmpk_lg_i32 s9, 0x84
	s_cselect_b32 s10, -1, 0
	s_cmpk_eq_i32 s9, 0x84
	s_cbranch_scc1 .LBB71_3
; %bb.2:
	v_cmp_eq_u32_e64 s1, 1, v0
	v_cmp_eq_u32_e64 s2, 2, v0
	;; [unrolled: 1-line block ×5, first 2 shown]
	s_waitcnt vmcnt(1)
	v_cndmask_b32_e64 v18, v3, v5, s1
	v_cndmask_b32_e64 v19, v2, v4, s1
	v_cmp_eq_u32_e64 s6, 6, v0
	v_cmp_eq_u32_e64 s7, 7, v0
	s_delay_alu instid0(VALU_DEP_4) | instskip(NEXT) | instid1(VALU_DEP_4)
	v_cndmask_b32_e64 v18, v18, v7, s2
	v_cndmask_b32_e64 v19, v19, v6, s2
	s_delay_alu instid0(VALU_DEP_2) | instskip(NEXT) | instid1(VALU_DEP_2)
	v_cndmask_b32_e64 v18, v18, v9, s3
	v_cndmask_b32_e64 v19, v19, v8, s3
	s_delay_alu instid0(VALU_DEP_2) | instskip(NEXT) | instid1(VALU_DEP_2)
	;; [unrolled: 3-line block ×4, first 2 shown]
	v_cndmask_b32_e64 v18, v18, v15, s6
	v_cndmask_b32_e64 v21, v19, v14, s6
	s_waitcnt vmcnt(0)
	s_delay_alu instid0(VALU_DEP_2) | instskip(NEXT) | instid1(VALU_DEP_2)
	v_cndmask_b32_e64 v19, v18, v17, s7
	v_cndmask_b32_e64 v18, v21, v16, s7
	s_delay_alu instid0(VALU_DEP_1) | instskip(SKIP_1) | instid1(VALU_DEP_2)
	v_div_scale_f64 v[21:22], null, v[18:19], v[18:19], 1.0
	v_div_scale_f64 v[27:28], vcc_lo, 1.0, v[18:19], 1.0
	v_rcp_f64_e32 v[23:24], v[21:22]
	s_waitcnt_depctr 0xfff
	v_fma_f64 v[25:26], -v[21:22], v[23:24], 1.0
	s_delay_alu instid0(VALU_DEP_1) | instskip(NEXT) | instid1(VALU_DEP_1)
	v_fma_f64 v[23:24], v[23:24], v[25:26], v[23:24]
	v_fma_f64 v[25:26], -v[21:22], v[23:24], 1.0
	s_delay_alu instid0(VALU_DEP_1) | instskip(NEXT) | instid1(VALU_DEP_1)
	v_fma_f64 v[23:24], v[23:24], v[25:26], v[23:24]
	v_mul_f64 v[25:26], v[27:28], v[23:24]
	s_delay_alu instid0(VALU_DEP_1) | instskip(NEXT) | instid1(VALU_DEP_1)
	v_fma_f64 v[21:22], -v[21:22], v[25:26], v[27:28]
	v_div_fmas_f64 v[21:22], v[21:22], v[23:24], v[25:26]
	s_delay_alu instid0(VALU_DEP_1) | instskip(NEXT) | instid1(VALU_DEP_1)
	v_div_fixup_f64 v[18:19], v[21:22], v[18:19], 1.0
	v_cndmask_b32_e64 v17, v17, v19, s7
	s_delay_alu instid0(VALU_DEP_2)
	v_cndmask_b32_e64 v16, v16, v18, s7
	v_cndmask_b32_e64 v15, v15, v19, s6
	;; [unrolled: 1-line block ×15, first 2 shown]
	v_xor_b32_e32 v19, 0x80000000, v19
.LBB71_3:
	v_add_nc_u32_e32 v52, 64, v20
	s_cmpk_eq_i32 s8, 0x79
	ds_store_b64 v20, v[18:19]
	s_cbranch_scc1 .LBB71_7
; %bb.4:
	s_waitcnt vmcnt(0)
	v_dual_mov_b32 v33, v17 :: v_dual_mov_b32 v32, v16
	v_dual_mov_b32 v31, v15 :: v_dual_mov_b32 v30, v14
	v_dual_mov_b32 v29, v13 :: v_dual_mov_b32 v28, v12
	v_dual_mov_b32 v27, v11 :: v_dual_mov_b32 v26, v10
	v_dual_mov_b32 v25, v9 :: v_dual_mov_b32 v24, v8
	v_dual_mov_b32 v23, v7 :: v_dual_mov_b32 v22, v6
	v_dual_mov_b32 v21, v5 :: v_dual_mov_b32 v20, v4
	v_dual_mov_b32 v19, v3 :: v_dual_mov_b32 v18, v2
	v_cmp_eq_u32_e64 s1, 7, v0
	ds_store_b64 v52, v[14:15]
	s_waitcnt lgkmcnt(0)
	s_barrier
	buffer_gl0_inv
	s_and_saveexec_b32 s0, s1
	s_cbranch_execz .LBB71_11
; %bb.5:
	s_and_b32 vcc_lo, exec_lo, s10
	s_cbranch_vccz .LBB71_8
; %bb.6:
	v_cmp_eq_u32_e32 vcc_lo, 1, v0
	v_dual_cndmask_b32 v18, v3, v5 :: v_dual_cndmask_b32 v19, v2, v4
	v_cmp_eq_u32_e32 vcc_lo, 2, v0
	s_delay_alu instid0(VALU_DEP_2) | instskip(SKIP_1) | instid1(VALU_DEP_2)
	v_dual_cndmask_b32 v18, v18, v7 :: v_dual_cndmask_b32 v19, v19, v6
	v_cmp_eq_u32_e32 vcc_lo, 3, v0
	v_dual_cndmask_b32 v18, v18, v9 :: v_dual_cndmask_b32 v19, v19, v8
	v_cmp_eq_u32_e32 vcc_lo, 4, v0
	s_delay_alu instid0(VALU_DEP_2) | instskip(SKIP_4) | instid1(VALU_DEP_2)
	v_dual_cndmask_b32 v20, v18, v11 :: v_dual_cndmask_b32 v21, v19, v10
	v_cmp_eq_u32_e32 vcc_lo, 5, v0
	ds_load_b64 v[18:19], v52
	v_dual_cndmask_b32 v20, v20, v13 :: v_dual_cndmask_b32 v21, v21, v12
	v_cmp_eq_u32_e32 vcc_lo, 6, v0
	v_cndmask_b32_e32 v20, v20, v15, vcc_lo
	s_delay_alu instid0(VALU_DEP_3) | instskip(SKIP_1) | instid1(VALU_DEP_2)
	v_cndmask_b32_e32 v22, v21, v14, vcc_lo
	v_cmp_eq_u32_e32 vcc_lo, 7, v0
	v_dual_cndmask_b32 v21, v20, v17 :: v_dual_cndmask_b32 v20, v22, v16
	s_waitcnt lgkmcnt(0)
	s_delay_alu instid0(VALU_DEP_1)
	v_mul_f64 v[18:19], v[20:21], v[18:19]
	s_cbranch_execz .LBB71_9
	s_branch .LBB71_10
.LBB71_7:
                                        ; implicit-def: $vgpr18_vgpr19_vgpr20_vgpr21_vgpr22_vgpr23_vgpr24_vgpr25_vgpr26_vgpr27_vgpr28_vgpr29_vgpr30_vgpr31_vgpr32_vgpr33
	s_cbranch_execnz .LBB71_100
	s_branch .LBB71_165
.LBB71_8:
                                        ; implicit-def: $vgpr18_vgpr19
.LBB71_9:
	ds_load_b64 v[18:19], v52
.LBB71_10:
	v_mov_b32_e32 v20, 0
	ds_load_b64 v[20:21], v20 offset:48
	s_waitcnt lgkmcnt(0)
	v_mul_f64 v[50:51], v[18:19], v[20:21]
	v_dual_mov_b32 v33, v17 :: v_dual_mov_b32 v32, v16
	v_dual_mov_b32 v31, v15 :: v_dual_mov_b32 v30, v14
	;; [unrolled: 1-line block ×9, first 2 shown]
.LBB71_11:
	s_or_b32 exec_lo, exec_lo, s0
	v_cmp_lt_u32_e64 s0, 5, v0
	ds_store_b64 v52, v[28:29]
	s_waitcnt lgkmcnt(0)
	s_barrier
	buffer_gl0_inv
	s_and_saveexec_b32 s2, s0
	s_cbranch_execz .LBB71_19
; %bb.12:
	s_and_not1_b32 vcc_lo, exec_lo, s10
	s_cbranch_vccnz .LBB71_14
; %bb.13:
	v_cmp_eq_u32_e32 vcc_lo, 1, v0
	v_dual_cndmask_b32 v50, v19, v21 :: v_dual_cndmask_b32 v51, v18, v20
	v_cmp_eq_u32_e32 vcc_lo, 2, v0
	s_delay_alu instid0(VALU_DEP_2) | instskip(SKIP_1) | instid1(VALU_DEP_2)
	v_dual_cndmask_b32 v50, v50, v23 :: v_dual_cndmask_b32 v51, v51, v22
	v_cmp_eq_u32_e32 vcc_lo, 3, v0
	v_dual_cndmask_b32 v50, v50, v25 :: v_dual_cndmask_b32 v51, v51, v24
	v_cmp_eq_u32_e32 vcc_lo, 4, v0
	s_delay_alu instid0(VALU_DEP_2) | instskip(SKIP_4) | instid1(VALU_DEP_2)
	v_dual_cndmask_b32 v53, v50, v27 :: v_dual_cndmask_b32 v54, v51, v26
	v_cmp_eq_u32_e32 vcc_lo, 5, v0
	ds_load_b64 v[50:51], v52
	v_dual_cndmask_b32 v29, v53, v29 :: v_dual_cndmask_b32 v28, v54, v28
	v_cmp_eq_u32_e32 vcc_lo, 6, v0
	v_dual_cndmask_b32 v29, v29, v31 :: v_dual_cndmask_b32 v28, v28, v30
	v_cmp_eq_u32_e32 vcc_lo, 7, v0
	s_delay_alu instid0(VALU_DEP_2) | instskip(SKIP_1) | instid1(VALU_DEP_1)
	v_dual_cndmask_b32 v29, v29, v33 :: v_dual_cndmask_b32 v28, v28, v32
	s_waitcnt lgkmcnt(0)
	v_mul_f64 v[28:29], v[28:29], v[50:51]
	s_cbranch_execz .LBB71_15
	s_branch .LBB71_16
.LBB71_14:
                                        ; implicit-def: $vgpr28_vgpr29
.LBB71_15:
	ds_load_b64 v[28:29], v52
.LBB71_16:
	s_and_saveexec_b32 s3, s1
	s_cbranch_execz .LBB71_18
; %bb.17:
	v_mov_b32_e32 v50, 0
	ds_load_b64 v[50:51], v50 offset:112
	s_waitcnt lgkmcnt(0)
	v_fma_f64 v[28:29], v[30:31], v[50:51], v[28:29]
.LBB71_18:
	s_or_b32 exec_lo, exec_lo, s3
	v_mov_b32_e32 v50, 0
	ds_load_b64 v[50:51], v50 offset:40
	s_waitcnt lgkmcnt(0)
	v_mul_f64 v[28:29], v[28:29], v[50:51]
.LBB71_19:
	s_or_b32 exec_lo, exec_lo, s2
	v_cmp_lt_u32_e64 s1, 4, v0
	ds_store_b64 v52, v[26:27]
	s_waitcnt lgkmcnt(0)
	s_barrier
	buffer_gl0_inv
	s_and_saveexec_b32 s4, s1
	s_cbranch_execz .LBB71_35
; %bb.20:
	s_and_not1_b32 vcc_lo, exec_lo, s10
	s_cbranch_vccnz .LBB71_22
; %bb.21:
	v_cmp_eq_u32_e32 vcc_lo, 1, v0
	v_dual_cndmask_b32 v50, v19, v21 :: v_dual_cndmask_b32 v51, v18, v20
	v_cmp_eq_u32_e32 vcc_lo, 2, v0
	s_delay_alu instid0(VALU_DEP_2) | instskip(SKIP_1) | instid1(VALU_DEP_2)
	v_dual_cndmask_b32 v50, v50, v23 :: v_dual_cndmask_b32 v51, v51, v22
	v_cmp_eq_u32_e32 vcc_lo, 3, v0
	v_dual_cndmask_b32 v50, v50, v25 :: v_dual_cndmask_b32 v51, v51, v24
	v_cmp_eq_u32_e32 vcc_lo, 4, v0
	s_delay_alu instid0(VALU_DEP_2) | instskip(SKIP_4) | instid1(VALU_DEP_2)
	v_dual_cndmask_b32 v53, v50, v27 :: v_dual_cndmask_b32 v54, v51, v26
	v_cmp_eq_u32_e32 vcc_lo, 5, v0
	ds_load_b64 v[50:51], v52
	v_dual_cndmask_b32 v53, v53, v29 :: v_dual_cndmask_b32 v54, v54, v28
	v_cmp_eq_u32_e32 vcc_lo, 6, v0
	v_cndmask_b32_e32 v53, v53, v31, vcc_lo
	s_delay_alu instid0(VALU_DEP_3) | instskip(SKIP_1) | instid1(VALU_DEP_2)
	v_cndmask_b32_e32 v55, v54, v30, vcc_lo
	v_cmp_eq_u32_e32 vcc_lo, 7, v0
	v_dual_cndmask_b32 v54, v53, v33 :: v_dual_cndmask_b32 v53, v55, v32
	s_waitcnt lgkmcnt(0)
	s_delay_alu instid0(VALU_DEP_1)
	v_mul_f64 v[50:51], v[53:54], v[50:51]
	s_cbranch_execz .LBB71_23
	s_branch .LBB71_24
.LBB71_22:
                                        ; implicit-def: $vgpr50_vgpr51
.LBB71_23:
	ds_load_b64 v[50:51], v52
.LBB71_24:
	s_and_saveexec_b32 s5, s0
	s_cbranch_execz .LBB71_34
; %bb.25:
	v_dual_mov_b32 v55, 5 :: v_dual_add_nc_u32 v54, -6, v0
	v_add_nc_u32_e32 v53, -5, v0
	s_mov_b32 s0, exec_lo
	s_delay_alu instid0(VALU_DEP_2)
	v_cmpx_lt_u32_e32 6, v54
	s_cbranch_execz .LBB71_29
; %bb.26:
	s_delay_alu instid0(VALU_DEP_2) | instskip(SKIP_3) | instid1(VALU_DEP_1)
	v_and_b32_e32 v54, -8, v53
	s_mov_b32 s6, 0
	s_mov_b64 s[2:3], 12
	s_movk_i32 s7, 0x68
	v_sub_nc_u32_e32 v54, 0, v54
.LBB71_27:                              ; =>This Inner Loop Header: Depth=1
	v_mov_b32_e32 v65, s7
	s_lshl_b32 s8, s2, 1
	s_delay_alu instid0(SALU_CYCLE_1)
	s_add_i32 m0, s8, -13
	v_movrels_b32_e32 v64, v18
	ds_load_2addr_b64 v[55:58], v65 offset1:1
	ds_load_2addr_b64 v[59:62], v65 offset0:2 offset1:3
	s_add_i32 m0, s8, -14
	v_movrels_b32_e32 v63, v18
	s_add_i32 m0, s8, -11
	s_waitcnt lgkmcnt(1)
	s_delay_alu instid0(VALU_DEP_1) | instskip(SKIP_4) | instid1(VALU_DEP_1)
	v_fma_f64 v[50:51], v[63:64], v[55:56], v[50:51]
	v_movrels_b32_e32 v56, v18
	s_add_i32 m0, s8, -12
	v_movrels_b32_e32 v55, v18
	s_add_i32 m0, s8, -9
	v_fma_f64 v[50:51], v[55:56], v[57:58], v[50:51]
	v_movrels_b32_e32 v56, v18
	s_add_i32 m0, s8, -10
	v_movrels_b32_e32 v55, v18
	s_add_i32 m0, s8, -7
	s_waitcnt lgkmcnt(0)
	s_delay_alu instid0(VALU_DEP_1)
	v_fma_f64 v[50:51], v[55:56], v[59:60], v[50:51]
	v_movrels_b32_e32 v56, v18
	s_add_i32 m0, s8, -8
	v_movrels_b32_e32 v55, v18
	s_add_i32 m0, s8, -5
	;; [unrolled: 2-line block ×4, first 2 shown]
	v_fma_f64 v[50:51], v[55:56], v[61:62], v[50:51]
	ds_load_2addr_b64 v[55:58], v65 offset0:4 offset1:5
	ds_load_2addr_b64 v[59:62], v65 offset0:6 offset1:7
	s_waitcnt lgkmcnt(1)
	v_fma_f64 v[50:51], v[63:64], v[55:56], v[50:51]
	v_movrels_b32_e32 v56, v18
	s_add_i32 m0, s8, -4
	v_movrels_b32_e32 v55, v18
	s_add_i32 m0, s8, -1
	s_delay_alu instid0(VALU_DEP_1)
	v_fma_f64 v[50:51], v[55:56], v[57:58], v[50:51]
	v_movrels_b32_e32 v56, v18
	s_add_i32 m0, s8, -2
	s_add_u32 s2, s2, 8
	v_movrels_b32_e32 v55, v18
	s_mov_b32 m0, s8
	s_addc_u32 s3, s3, 0
	s_add_i32 s8, s2, -7
	s_add_i32 s7, s7, 64
	s_waitcnt lgkmcnt(0)
	s_delay_alu instid0(VALU_DEP_3) | instskip(SKIP_2) | instid1(VALU_DEP_1)
	v_fma_f64 v[50:51], v[55:56], v[59:60], v[50:51]
	v_movrels_b32_e32 v56, v19
	v_movrels_b32_e32 v55, v18
	v_fma_f64 v[50:51], v[55:56], v[61:62], v[50:51]
	v_add_nc_u32_e32 v55, s2, v54
	s_delay_alu instid0(VALU_DEP_1) | instskip(SKIP_2) | instid1(SALU_CYCLE_1)
	v_cmp_eq_u32_e32 vcc_lo, 12, v55
	v_mov_b32_e32 v55, s8
	s_or_b32 s6, vcc_lo, s6
	s_and_not1_b32 exec_lo, exec_lo, s6
	s_cbranch_execnz .LBB71_27
; %bb.28:
	s_or_b32 exec_lo, exec_lo, s6
.LBB71_29:
	s_delay_alu instid0(SALU_CYCLE_1) | instskip(SKIP_3) | instid1(VALU_DEP_1)
	s_or_b32 exec_lo, exec_lo, s0
	v_and_b32_e32 v53, 7, v53
	s_mov_b32 s3, 0
	s_mov_b32 s2, exec_lo
	v_cmpx_ne_u32_e32 0, v53
	s_cbranch_execz .LBB71_33
; %bb.30:
	v_lshl_add_u32 v54, v55, 3, 64
	v_mov_b32_e32 v56, 0
	s_set_inst_prefetch_distance 0x1
	.p2align	6
.LBB71_31:                              ; =>This Inner Loop Header: Depth=1
	v_cmp_eq_u32_e32 vcc_lo, 1, v55
	v_cmp_eq_u32_e64 s0, 2, v55
	v_add_nc_u32_e32 v53, -1, v53
	v_dual_cndmask_b32 v57, v19, v21 :: v_dual_cndmask_b32 v58, v18, v20
	v_cmp_eq_u32_e32 vcc_lo, 3, v55
	s_delay_alu instid0(VALU_DEP_2) | instskip(NEXT) | instid1(VALU_DEP_3)
	v_cndmask_b32_e64 v57, v57, v23, s0
	v_cndmask_b32_e64 v58, v58, v22, s0
	v_cmp_eq_u32_e64 s0, 4, v55
	s_delay_alu instid0(VALU_DEP_2)
	v_dual_cndmask_b32 v59, v57, v25 :: v_dual_cndmask_b32 v60, v58, v24
	ds_load_b64 v[57:58], v54
	v_cmp_eq_u32_e32 vcc_lo, 5, v55
	v_add_nc_u32_e32 v54, 8, v54
	v_cndmask_b32_e64 v59, v59, v27, s0
	v_cndmask_b32_e64 v60, v60, v26, s0
	v_cmp_eq_u32_e64 s0, 6, v55
	s_delay_alu instid0(VALU_DEP_2) | instskip(SKIP_1) | instid1(VALU_DEP_2)
	v_dual_cndmask_b32 v59, v59, v29 :: v_dual_cndmask_b32 v60, v60, v28
	v_cmp_eq_u32_e32 vcc_lo, 7, v55
	v_cndmask_b32_e64 v59, v59, v31, s0
	s_delay_alu instid0(VALU_DEP_3) | instskip(SKIP_1) | instid1(VALU_DEP_1)
	v_cndmask_b32_e64 v61, v60, v30, s0
	v_add_co_u32 v55, s0, v55, 1
	v_add_co_ci_u32_e64 v56, s0, 0, v56, s0
	s_delay_alu instid0(VALU_DEP_3) | instskip(SKIP_2) | instid1(VALU_DEP_2)
	v_dual_cndmask_b32 v60, v59, v33 :: v_dual_cndmask_b32 v59, v61, v32
	v_cmp_eq_u32_e32 vcc_lo, 0, v53
	s_waitcnt lgkmcnt(0)
	v_fma_f64 v[50:51], v[59:60], v[57:58], v[50:51]
	s_or_b32 s3, vcc_lo, s3
	s_delay_alu instid0(SALU_CYCLE_1)
	s_and_not1_b32 exec_lo, exec_lo, s3
	s_cbranch_execnz .LBB71_31
; %bb.32:
	s_set_inst_prefetch_distance 0x2
	s_or_b32 exec_lo, exec_lo, s3
.LBB71_33:
	s_delay_alu instid0(SALU_CYCLE_1)
	s_or_b32 exec_lo, exec_lo, s2
.LBB71_34:
	s_delay_alu instid0(SALU_CYCLE_1)
	s_or_b32 exec_lo, exec_lo, s5
	v_mov_b32_e32 v26, 0
	ds_load_b64 v[26:27], v26 offset:32
	s_waitcnt lgkmcnt(0)
	v_mul_f64 v[26:27], v[50:51], v[26:27]
.LBB71_35:
	s_or_b32 exec_lo, exec_lo, s4
	v_cmp_lt_u32_e64 s0, 3, v0
	ds_store_b64 v52, v[24:25]
	s_waitcnt lgkmcnt(0)
	s_barrier
	buffer_gl0_inv
	s_and_saveexec_b32 s4, s0
	s_cbranch_execz .LBB71_51
; %bb.36:
	s_and_not1_b32 vcc_lo, exec_lo, s10
	s_cbranch_vccnz .LBB71_38
; %bb.37:
	v_cmp_eq_u32_e32 vcc_lo, 1, v0
	v_dual_cndmask_b32 v50, v19, v21 :: v_dual_cndmask_b32 v51, v18, v20
	v_cmp_eq_u32_e32 vcc_lo, 2, v0
	s_delay_alu instid0(VALU_DEP_2) | instskip(SKIP_1) | instid1(VALU_DEP_2)
	v_dual_cndmask_b32 v50, v50, v23 :: v_dual_cndmask_b32 v51, v51, v22
	v_cmp_eq_u32_e32 vcc_lo, 3, v0
	v_dual_cndmask_b32 v50, v50, v25 :: v_dual_cndmask_b32 v51, v51, v24
	v_cmp_eq_u32_e32 vcc_lo, 4, v0
	s_delay_alu instid0(VALU_DEP_2) | instskip(SKIP_4) | instid1(VALU_DEP_2)
	v_dual_cndmask_b32 v53, v50, v27 :: v_dual_cndmask_b32 v54, v51, v26
	v_cmp_eq_u32_e32 vcc_lo, 5, v0
	ds_load_b64 v[50:51], v52
	v_dual_cndmask_b32 v53, v53, v29 :: v_dual_cndmask_b32 v54, v54, v28
	v_cmp_eq_u32_e32 vcc_lo, 6, v0
	v_cndmask_b32_e32 v53, v53, v31, vcc_lo
	s_delay_alu instid0(VALU_DEP_3) | instskip(SKIP_1) | instid1(VALU_DEP_2)
	v_cndmask_b32_e32 v55, v54, v30, vcc_lo
	v_cmp_eq_u32_e32 vcc_lo, 7, v0
	v_dual_cndmask_b32 v54, v53, v33 :: v_dual_cndmask_b32 v53, v55, v32
	s_waitcnt lgkmcnt(0)
	s_delay_alu instid0(VALU_DEP_1)
	v_mul_f64 v[50:51], v[53:54], v[50:51]
	s_cbranch_execz .LBB71_39
	s_branch .LBB71_40
.LBB71_38:
                                        ; implicit-def: $vgpr50_vgpr51
.LBB71_39:
	ds_load_b64 v[50:51], v52
.LBB71_40:
	s_and_saveexec_b32 s5, s1
	s_cbranch_execz .LBB71_50
; %bb.41:
	v_dual_mov_b32 v55, 4 :: v_dual_add_nc_u32 v54, -5, v0
	v_add_nc_u32_e32 v53, -4, v0
	s_mov_b32 s1, exec_lo
	s_delay_alu instid0(VALU_DEP_2)
	v_cmpx_lt_u32_e32 6, v54
	s_cbranch_execz .LBB71_45
; %bb.42:
	s_delay_alu instid0(VALU_DEP_2) | instskip(SKIP_3) | instid1(VALU_DEP_1)
	v_and_b32_e32 v54, -8, v53
	s_mov_b32 s6, 0
	s_mov_b64 s[2:3], 5
	s_movk_i32 s7, 0x60
	v_sub_nc_u32_e32 v54, 0, v54
.LBB71_43:                              ; =>This Inner Loop Header: Depth=1
	v_mov_b32_e32 v65, s7
	s_lshl_b32 s8, s2, 1
	s_delay_alu instid0(SALU_CYCLE_1)
	s_add_i32 m0, s8, -1
	s_add_i32 s9, s8, 3
	ds_load_b128 v[55:58], v65
	ds_load_b128 v[59:62], v65 offset:16
	v_movrels_b32_e32 v64, v18
	s_add_i32 m0, s8, -2
	s_add_i32 s11, s8, 2
	v_movrels_b32_e32 v63, v18
	s_mov_b32 m0, s8
	s_waitcnt lgkmcnt(1)
	s_delay_alu instid0(VALU_DEP_1) | instskip(SKIP_4) | instid1(VALU_DEP_1)
	v_fma_f64 v[50:51], v[63:64], v[55:56], v[50:51]
	v_movrels_b32_e32 v56, v19
	v_movrels_b32_e32 v55, v18
	s_mov_b32 m0, s9
	s_add_i32 s9, s8, 5
	v_fma_f64 v[50:51], v[55:56], v[57:58], v[50:51]
	v_movrels_b32_e32 v56, v18
	s_mov_b32 m0, s11
	s_add_i32 s11, s8, 4
	v_movrels_b32_e32 v55, v18
	s_mov_b32 m0, s9
	s_add_i32 s9, s8, 7
	s_waitcnt lgkmcnt(0)
	s_delay_alu instid0(VALU_DEP_1)
	v_fma_f64 v[50:51], v[55:56], v[59:60], v[50:51]
	v_movrels_b32_e32 v56, v18
	s_mov_b32 m0, s11
	s_add_i32 s11, s8, 6
	v_movrels_b32_e32 v55, v18
	s_mov_b32 m0, s9
	s_add_i32 s9, s8, 9
	;; [unrolled: 3-line block ×4, first 2 shown]
	v_fma_f64 v[50:51], v[55:56], v[61:62], v[50:51]
	ds_load_b128 v[55:58], v65 offset:32
	ds_load_b128 v[59:62], v65 offset:48
	s_waitcnt lgkmcnt(1)
	v_fma_f64 v[50:51], v[63:64], v[55:56], v[50:51]
	v_movrels_b32_e32 v56, v18
	s_mov_b32 m0, s11
	s_add_i32 s11, s8, 10
	v_movrels_b32_e32 v55, v18
	s_mov_b32 m0, s9
	s_add_i32 s9, s8, 13
	s_add_i32 s8, s8, 12
	s_add_u32 s2, s2, 8
	s_addc_u32 s3, s3, 0
	s_add_i32 s7, s7, 64
	s_delay_alu instid0(VALU_DEP_3)
	v_fma_f64 v[50:51], v[55:56], v[57:58], v[50:51]
	v_movrels_b32_e32 v56, v18
	s_mov_b32 m0, s11
	v_movrels_b32_e32 v55, v18
	s_mov_b32 m0, s9
	s_waitcnt lgkmcnt(0)
	s_delay_alu instid0(VALU_DEP_1) | instskip(SKIP_4) | instid1(VALU_DEP_1)
	v_fma_f64 v[50:51], v[55:56], v[59:60], v[50:51]
	v_movrels_b32_e32 v56, v18
	s_mov_b32 m0, s8
	s_add_i32 s8, s2, -1
	v_movrels_b32_e32 v55, v18
	v_fma_f64 v[50:51], v[55:56], v[61:62], v[50:51]
	v_add_nc_u32_e32 v55, s2, v54
	s_delay_alu instid0(VALU_DEP_1) | instskip(SKIP_2) | instid1(SALU_CYCLE_1)
	v_cmp_eq_u32_e32 vcc_lo, 5, v55
	v_mov_b32_e32 v55, s8
	s_or_b32 s6, vcc_lo, s6
	s_and_not1_b32 exec_lo, exec_lo, s6
	s_cbranch_execnz .LBB71_43
; %bb.44:
	s_or_b32 exec_lo, exec_lo, s6
.LBB71_45:
	s_delay_alu instid0(SALU_CYCLE_1) | instskip(SKIP_3) | instid1(VALU_DEP_1)
	s_or_b32 exec_lo, exec_lo, s1
	v_and_b32_e32 v53, 7, v53
	s_mov_b32 s3, 0
	s_mov_b32 s2, exec_lo
	v_cmpx_ne_u32_e32 0, v53
	s_cbranch_execz .LBB71_49
; %bb.46:
	v_lshl_add_u32 v54, v55, 3, 64
	v_mov_b32_e32 v56, 0
	s_set_inst_prefetch_distance 0x1
	.p2align	6
.LBB71_47:                              ; =>This Inner Loop Header: Depth=1
	v_cmp_eq_u32_e32 vcc_lo, 1, v55
	v_cmp_eq_u32_e64 s1, 2, v55
	v_add_nc_u32_e32 v53, -1, v53
	v_dual_cndmask_b32 v57, v19, v21 :: v_dual_cndmask_b32 v58, v18, v20
	v_cmp_eq_u32_e32 vcc_lo, 3, v55
	s_delay_alu instid0(VALU_DEP_2) | instskip(NEXT) | instid1(VALU_DEP_3)
	v_cndmask_b32_e64 v57, v57, v23, s1
	v_cndmask_b32_e64 v58, v58, v22, s1
	v_cmp_eq_u32_e64 s1, 4, v55
	s_delay_alu instid0(VALU_DEP_2)
	v_dual_cndmask_b32 v59, v57, v25 :: v_dual_cndmask_b32 v60, v58, v24
	ds_load_b64 v[57:58], v54
	v_cmp_eq_u32_e32 vcc_lo, 5, v55
	v_add_nc_u32_e32 v54, 8, v54
	v_cndmask_b32_e64 v59, v59, v27, s1
	v_cndmask_b32_e64 v60, v60, v26, s1
	v_cmp_eq_u32_e64 s1, 6, v55
	s_delay_alu instid0(VALU_DEP_2) | instskip(SKIP_1) | instid1(VALU_DEP_2)
	v_dual_cndmask_b32 v59, v59, v29 :: v_dual_cndmask_b32 v60, v60, v28
	v_cmp_eq_u32_e32 vcc_lo, 7, v55
	v_cndmask_b32_e64 v59, v59, v31, s1
	s_delay_alu instid0(VALU_DEP_3) | instskip(SKIP_1) | instid1(VALU_DEP_1)
	v_cndmask_b32_e64 v61, v60, v30, s1
	v_add_co_u32 v55, s1, v55, 1
	v_add_co_ci_u32_e64 v56, s1, 0, v56, s1
	s_delay_alu instid0(VALU_DEP_3) | instskip(SKIP_2) | instid1(VALU_DEP_2)
	v_dual_cndmask_b32 v60, v59, v33 :: v_dual_cndmask_b32 v59, v61, v32
	v_cmp_eq_u32_e32 vcc_lo, 0, v53
	s_waitcnt lgkmcnt(0)
	v_fma_f64 v[50:51], v[59:60], v[57:58], v[50:51]
	s_or_b32 s3, vcc_lo, s3
	s_delay_alu instid0(SALU_CYCLE_1)
	s_and_not1_b32 exec_lo, exec_lo, s3
	s_cbranch_execnz .LBB71_47
; %bb.48:
	s_set_inst_prefetch_distance 0x2
	s_or_b32 exec_lo, exec_lo, s3
.LBB71_49:
	s_delay_alu instid0(SALU_CYCLE_1)
	s_or_b32 exec_lo, exec_lo, s2
.LBB71_50:
	s_delay_alu instid0(SALU_CYCLE_1)
	s_or_b32 exec_lo, exec_lo, s5
	v_mov_b32_e32 v24, 0
	ds_load_b64 v[24:25], v24 offset:24
	s_waitcnt lgkmcnt(0)
	v_mul_f64 v[24:25], v[50:51], v[24:25]
.LBB71_51:
	s_or_b32 exec_lo, exec_lo, s4
	v_cmp_lt_u32_e64 s1, 2, v0
	ds_store_b64 v52, v[22:23]
	s_waitcnt lgkmcnt(0)
	s_barrier
	buffer_gl0_inv
	s_and_saveexec_b32 s4, s1
	s_cbranch_execz .LBB71_67
; %bb.52:
	s_and_not1_b32 vcc_lo, exec_lo, s10
	s_cbranch_vccnz .LBB71_54
; %bb.53:
	v_cmp_eq_u32_e32 vcc_lo, 1, v0
	v_dual_cndmask_b32 v50, v19, v21 :: v_dual_cndmask_b32 v51, v18, v20
	v_cmp_eq_u32_e32 vcc_lo, 2, v0
	s_delay_alu instid0(VALU_DEP_2) | instskip(SKIP_1) | instid1(VALU_DEP_2)
	v_dual_cndmask_b32 v50, v50, v23 :: v_dual_cndmask_b32 v51, v51, v22
	v_cmp_eq_u32_e32 vcc_lo, 3, v0
	v_dual_cndmask_b32 v50, v50, v25 :: v_dual_cndmask_b32 v51, v51, v24
	v_cmp_eq_u32_e32 vcc_lo, 4, v0
	s_delay_alu instid0(VALU_DEP_2) | instskip(SKIP_4) | instid1(VALU_DEP_2)
	v_dual_cndmask_b32 v53, v50, v27 :: v_dual_cndmask_b32 v54, v51, v26
	v_cmp_eq_u32_e32 vcc_lo, 5, v0
	ds_load_b64 v[50:51], v52
	v_dual_cndmask_b32 v53, v53, v29 :: v_dual_cndmask_b32 v54, v54, v28
	v_cmp_eq_u32_e32 vcc_lo, 6, v0
	v_cndmask_b32_e32 v53, v53, v31, vcc_lo
	s_delay_alu instid0(VALU_DEP_3) | instskip(SKIP_1) | instid1(VALU_DEP_2)
	v_cndmask_b32_e32 v55, v54, v30, vcc_lo
	v_cmp_eq_u32_e32 vcc_lo, 7, v0
	v_dual_cndmask_b32 v54, v53, v33 :: v_dual_cndmask_b32 v53, v55, v32
	s_waitcnt lgkmcnt(0)
	s_delay_alu instid0(VALU_DEP_1)
	v_mul_f64 v[50:51], v[53:54], v[50:51]
	s_cbranch_execz .LBB71_55
	s_branch .LBB71_56
.LBB71_54:
                                        ; implicit-def: $vgpr50_vgpr51
.LBB71_55:
	ds_load_b64 v[50:51], v52
.LBB71_56:
	s_and_saveexec_b32 s5, s0
	s_cbranch_execz .LBB71_66
; %bb.57:
	v_dual_mov_b32 v55, 3 :: v_dual_add_nc_u32 v54, -4, v0
	v_add_nc_u32_e32 v53, -3, v0
	s_mov_b32 s0, exec_lo
	s_delay_alu instid0(VALU_DEP_2)
	v_cmpx_lt_u32_e32 6, v54
	s_cbranch_execz .LBB71_61
; %bb.58:
	s_delay_alu instid0(VALU_DEP_2) | instskip(SKIP_3) | instid1(VALU_DEP_1)
	v_and_b32_e32 v54, -8, v53
	s_mov_b32 s6, 0
	s_mov_b64 s[2:3], 10
	s_movk_i32 s7, 0x58
	v_sub_nc_u32_e32 v54, 0, v54
.LBB71_59:                              ; =>This Inner Loop Header: Depth=1
	v_mov_b32_e32 v65, s7
	s_lshl_b32 s8, s2, 1
	s_delay_alu instid0(SALU_CYCLE_1)
	s_add_i32 m0, s8, -13
	v_movrels_b32_e32 v64, v18
	ds_load_2addr_b64 v[55:58], v65 offset1:1
	ds_load_2addr_b64 v[59:62], v65 offset0:2 offset1:3
	s_add_i32 m0, s8, -14
	v_movrels_b32_e32 v63, v18
	s_add_i32 m0, s8, -11
	s_waitcnt lgkmcnt(1)
	s_delay_alu instid0(VALU_DEP_1) | instskip(SKIP_4) | instid1(VALU_DEP_1)
	v_fma_f64 v[50:51], v[63:64], v[55:56], v[50:51]
	v_movrels_b32_e32 v56, v18
	s_add_i32 m0, s8, -12
	v_movrels_b32_e32 v55, v18
	s_add_i32 m0, s8, -9
	v_fma_f64 v[50:51], v[55:56], v[57:58], v[50:51]
	v_movrels_b32_e32 v56, v18
	s_add_i32 m0, s8, -10
	v_movrels_b32_e32 v55, v18
	s_add_i32 m0, s8, -7
	s_waitcnt lgkmcnt(0)
	s_delay_alu instid0(VALU_DEP_1)
	v_fma_f64 v[50:51], v[55:56], v[59:60], v[50:51]
	v_movrels_b32_e32 v56, v18
	s_add_i32 m0, s8, -8
	v_movrels_b32_e32 v55, v18
	s_add_i32 m0, s8, -5
	;; [unrolled: 2-line block ×4, first 2 shown]
	v_fma_f64 v[50:51], v[55:56], v[61:62], v[50:51]
	ds_load_2addr_b64 v[55:58], v65 offset0:4 offset1:5
	ds_load_2addr_b64 v[59:62], v65 offset0:6 offset1:7
	s_waitcnt lgkmcnt(1)
	v_fma_f64 v[50:51], v[63:64], v[55:56], v[50:51]
	v_movrels_b32_e32 v56, v18
	s_add_i32 m0, s8, -4
	v_movrels_b32_e32 v55, v18
	s_add_i32 m0, s8, -1
	s_delay_alu instid0(VALU_DEP_1)
	v_fma_f64 v[50:51], v[55:56], v[57:58], v[50:51]
	v_movrels_b32_e32 v56, v18
	s_add_i32 m0, s8, -2
	s_add_u32 s2, s2, 8
	v_movrels_b32_e32 v55, v18
	s_mov_b32 m0, s8
	s_addc_u32 s3, s3, 0
	s_add_i32 s8, s2, -7
	s_add_i32 s7, s7, 64
	s_waitcnt lgkmcnt(0)
	s_delay_alu instid0(VALU_DEP_3) | instskip(SKIP_2) | instid1(VALU_DEP_1)
	v_fma_f64 v[50:51], v[55:56], v[59:60], v[50:51]
	v_movrels_b32_e32 v56, v19
	v_movrels_b32_e32 v55, v18
	v_fma_f64 v[50:51], v[55:56], v[61:62], v[50:51]
	v_add_nc_u32_e32 v55, s2, v54
	s_delay_alu instid0(VALU_DEP_1) | instskip(SKIP_2) | instid1(SALU_CYCLE_1)
	v_cmp_eq_u32_e32 vcc_lo, 10, v55
	v_mov_b32_e32 v55, s8
	s_or_b32 s6, vcc_lo, s6
	s_and_not1_b32 exec_lo, exec_lo, s6
	s_cbranch_execnz .LBB71_59
; %bb.60:
	s_or_b32 exec_lo, exec_lo, s6
.LBB71_61:
	s_delay_alu instid0(SALU_CYCLE_1) | instskip(SKIP_3) | instid1(VALU_DEP_1)
	s_or_b32 exec_lo, exec_lo, s0
	v_and_b32_e32 v53, 7, v53
	s_mov_b32 s3, 0
	s_mov_b32 s2, exec_lo
	v_cmpx_ne_u32_e32 0, v53
	s_cbranch_execz .LBB71_65
; %bb.62:
	v_lshl_add_u32 v54, v55, 3, 64
	v_mov_b32_e32 v56, 0
	s_set_inst_prefetch_distance 0x1
	.p2align	6
.LBB71_63:                              ; =>This Inner Loop Header: Depth=1
	v_cmp_eq_u32_e32 vcc_lo, 1, v55
	v_cmp_eq_u32_e64 s0, 2, v55
	v_add_nc_u32_e32 v53, -1, v53
	v_dual_cndmask_b32 v57, v19, v21 :: v_dual_cndmask_b32 v58, v18, v20
	v_cmp_eq_u32_e32 vcc_lo, 3, v55
	s_delay_alu instid0(VALU_DEP_2) | instskip(NEXT) | instid1(VALU_DEP_3)
	v_cndmask_b32_e64 v57, v57, v23, s0
	v_cndmask_b32_e64 v58, v58, v22, s0
	v_cmp_eq_u32_e64 s0, 4, v55
	s_delay_alu instid0(VALU_DEP_2)
	v_dual_cndmask_b32 v59, v57, v25 :: v_dual_cndmask_b32 v60, v58, v24
	ds_load_b64 v[57:58], v54
	v_cmp_eq_u32_e32 vcc_lo, 5, v55
	v_add_nc_u32_e32 v54, 8, v54
	v_cndmask_b32_e64 v59, v59, v27, s0
	v_cndmask_b32_e64 v60, v60, v26, s0
	v_cmp_eq_u32_e64 s0, 6, v55
	s_delay_alu instid0(VALU_DEP_2) | instskip(SKIP_1) | instid1(VALU_DEP_2)
	v_dual_cndmask_b32 v59, v59, v29 :: v_dual_cndmask_b32 v60, v60, v28
	v_cmp_eq_u32_e32 vcc_lo, 7, v55
	v_cndmask_b32_e64 v59, v59, v31, s0
	s_delay_alu instid0(VALU_DEP_3) | instskip(SKIP_1) | instid1(VALU_DEP_1)
	v_cndmask_b32_e64 v61, v60, v30, s0
	v_add_co_u32 v55, s0, v55, 1
	v_add_co_ci_u32_e64 v56, s0, 0, v56, s0
	s_delay_alu instid0(VALU_DEP_3) | instskip(SKIP_2) | instid1(VALU_DEP_2)
	v_dual_cndmask_b32 v60, v59, v33 :: v_dual_cndmask_b32 v59, v61, v32
	v_cmp_eq_u32_e32 vcc_lo, 0, v53
	s_waitcnt lgkmcnt(0)
	v_fma_f64 v[50:51], v[59:60], v[57:58], v[50:51]
	s_or_b32 s3, vcc_lo, s3
	s_delay_alu instid0(SALU_CYCLE_1)
	s_and_not1_b32 exec_lo, exec_lo, s3
	s_cbranch_execnz .LBB71_63
; %bb.64:
	s_set_inst_prefetch_distance 0x2
	s_or_b32 exec_lo, exec_lo, s3
.LBB71_65:
	s_delay_alu instid0(SALU_CYCLE_1)
	s_or_b32 exec_lo, exec_lo, s2
.LBB71_66:
	s_delay_alu instid0(SALU_CYCLE_1)
	s_or_b32 exec_lo, exec_lo, s5
	v_mov_b32_e32 v22, 0
	ds_load_b64 v[22:23], v22 offset:16
	s_waitcnt lgkmcnt(0)
	v_mul_f64 v[22:23], v[50:51], v[22:23]
.LBB71_67:
	s_or_b32 exec_lo, exec_lo, s4
	v_cmp_lt_u32_e64 s0, 1, v0
	ds_store_b64 v52, v[20:21]
	s_waitcnt lgkmcnt(0)
	s_barrier
	buffer_gl0_inv
	s_and_saveexec_b32 s4, s0
	s_cbranch_execz .LBB71_83
; %bb.68:
	s_and_not1_b32 vcc_lo, exec_lo, s10
	s_cbranch_vccnz .LBB71_70
; %bb.69:
	v_cmp_eq_u32_e32 vcc_lo, 1, v0
	v_dual_cndmask_b32 v50, v19, v21 :: v_dual_cndmask_b32 v51, v18, v20
	v_cmp_eq_u32_e32 vcc_lo, 2, v0
	s_delay_alu instid0(VALU_DEP_2) | instskip(SKIP_1) | instid1(VALU_DEP_2)
	v_dual_cndmask_b32 v50, v50, v23 :: v_dual_cndmask_b32 v51, v51, v22
	v_cmp_eq_u32_e32 vcc_lo, 3, v0
	v_dual_cndmask_b32 v50, v50, v25 :: v_dual_cndmask_b32 v51, v51, v24
	v_cmp_eq_u32_e32 vcc_lo, 4, v0
	s_delay_alu instid0(VALU_DEP_2) | instskip(SKIP_4) | instid1(VALU_DEP_2)
	v_dual_cndmask_b32 v53, v50, v27 :: v_dual_cndmask_b32 v54, v51, v26
	v_cmp_eq_u32_e32 vcc_lo, 5, v0
	ds_load_b64 v[50:51], v52
	v_dual_cndmask_b32 v53, v53, v29 :: v_dual_cndmask_b32 v54, v54, v28
	v_cmp_eq_u32_e32 vcc_lo, 6, v0
	v_cndmask_b32_e32 v53, v53, v31, vcc_lo
	s_delay_alu instid0(VALU_DEP_3) | instskip(SKIP_1) | instid1(VALU_DEP_2)
	v_cndmask_b32_e32 v55, v54, v30, vcc_lo
	v_cmp_eq_u32_e32 vcc_lo, 7, v0
	v_dual_cndmask_b32 v54, v53, v33 :: v_dual_cndmask_b32 v53, v55, v32
	s_waitcnt lgkmcnt(0)
	s_delay_alu instid0(VALU_DEP_1)
	v_mul_f64 v[50:51], v[53:54], v[50:51]
	s_cbranch_execz .LBB71_71
	s_branch .LBB71_72
.LBB71_70:
                                        ; implicit-def: $vgpr50_vgpr51
.LBB71_71:
	ds_load_b64 v[50:51], v52
.LBB71_72:
	s_and_saveexec_b32 s5, s1
	s_cbranch_execz .LBB71_82
; %bb.73:
	v_dual_mov_b32 v55, 2 :: v_dual_add_nc_u32 v54, -3, v0
	v_add_nc_u32_e32 v53, -2, v0
	s_mov_b32 s1, exec_lo
	s_delay_alu instid0(VALU_DEP_2)
	v_cmpx_lt_u32_e32 6, v54
	s_cbranch_execz .LBB71_77
; %bb.74:
	s_delay_alu instid0(VALU_DEP_2) | instskip(SKIP_3) | instid1(VALU_DEP_1)
	v_and_b32_e32 v54, -8, v53
	s_mov_b32 s6, 0
	s_mov_b64 s[2:3], 9
	s_movk_i32 s7, 0x50
	v_sub_nc_u32_e32 v54, 0, v54
.LBB71_75:                              ; =>This Inner Loop Header: Depth=1
	v_mov_b32_e32 v65, s7
	s_lshl_b32 s8, s2, 1
	s_delay_alu instid0(SALU_CYCLE_1)
	s_add_i32 m0, s8, -13
	v_movrels_b32_e32 v64, v18
	ds_load_b128 v[55:58], v65
	ds_load_b128 v[59:62], v65 offset:16
	s_add_i32 m0, s8, -14
	v_movrels_b32_e32 v63, v18
	s_add_i32 m0, s8, -11
	s_waitcnt lgkmcnt(1)
	s_delay_alu instid0(VALU_DEP_1) | instskip(SKIP_4) | instid1(VALU_DEP_1)
	v_fma_f64 v[50:51], v[63:64], v[55:56], v[50:51]
	v_movrels_b32_e32 v56, v18
	s_add_i32 m0, s8, -12
	v_movrels_b32_e32 v55, v18
	s_add_i32 m0, s8, -9
	v_fma_f64 v[50:51], v[55:56], v[57:58], v[50:51]
	v_movrels_b32_e32 v56, v18
	s_add_i32 m0, s8, -10
	v_movrels_b32_e32 v55, v18
	s_add_i32 m0, s8, -7
	s_waitcnt lgkmcnt(0)
	s_delay_alu instid0(VALU_DEP_1)
	v_fma_f64 v[50:51], v[55:56], v[59:60], v[50:51]
	v_movrels_b32_e32 v56, v18
	s_add_i32 m0, s8, -8
	v_movrels_b32_e32 v55, v18
	s_add_i32 m0, s8, -5
	;; [unrolled: 2-line block ×4, first 2 shown]
	v_fma_f64 v[50:51], v[55:56], v[61:62], v[50:51]
	ds_load_b128 v[55:58], v65 offset:32
	ds_load_b128 v[59:62], v65 offset:48
	s_waitcnt lgkmcnt(1)
	v_fma_f64 v[50:51], v[63:64], v[55:56], v[50:51]
	v_movrels_b32_e32 v56, v18
	s_add_i32 m0, s8, -4
	v_movrels_b32_e32 v55, v18
	s_add_i32 m0, s8, -1
	s_delay_alu instid0(VALU_DEP_1)
	v_fma_f64 v[50:51], v[55:56], v[57:58], v[50:51]
	v_movrels_b32_e32 v56, v18
	s_add_i32 m0, s8, -2
	s_add_u32 s2, s2, 8
	v_movrels_b32_e32 v55, v18
	s_mov_b32 m0, s8
	s_addc_u32 s3, s3, 0
	s_add_i32 s8, s2, -7
	s_add_i32 s7, s7, 64
	s_waitcnt lgkmcnt(0)
	s_delay_alu instid0(VALU_DEP_3) | instskip(SKIP_2) | instid1(VALU_DEP_1)
	v_fma_f64 v[50:51], v[55:56], v[59:60], v[50:51]
	v_movrels_b32_e32 v56, v19
	v_movrels_b32_e32 v55, v18
	v_fma_f64 v[50:51], v[55:56], v[61:62], v[50:51]
	v_add_nc_u32_e32 v55, s2, v54
	s_delay_alu instid0(VALU_DEP_1) | instskip(SKIP_2) | instid1(SALU_CYCLE_1)
	v_cmp_eq_u32_e32 vcc_lo, 9, v55
	v_mov_b32_e32 v55, s8
	s_or_b32 s6, vcc_lo, s6
	s_and_not1_b32 exec_lo, exec_lo, s6
	s_cbranch_execnz .LBB71_75
; %bb.76:
	s_or_b32 exec_lo, exec_lo, s6
.LBB71_77:
	s_delay_alu instid0(SALU_CYCLE_1) | instskip(SKIP_3) | instid1(VALU_DEP_1)
	s_or_b32 exec_lo, exec_lo, s1
	v_and_b32_e32 v53, 7, v53
	s_mov_b32 s3, 0
	s_mov_b32 s2, exec_lo
	v_cmpx_ne_u32_e32 0, v53
	s_cbranch_execz .LBB71_81
; %bb.78:
	v_lshl_add_u32 v54, v55, 3, 64
	v_mov_b32_e32 v56, 0
	s_set_inst_prefetch_distance 0x1
	.p2align	6
.LBB71_79:                              ; =>This Inner Loop Header: Depth=1
	v_cmp_eq_u32_e32 vcc_lo, 1, v55
	v_cmp_eq_u32_e64 s1, 2, v55
	v_add_nc_u32_e32 v53, -1, v53
	v_dual_cndmask_b32 v57, v19, v21 :: v_dual_cndmask_b32 v58, v18, v20
	v_cmp_eq_u32_e32 vcc_lo, 3, v55
	s_delay_alu instid0(VALU_DEP_2) | instskip(NEXT) | instid1(VALU_DEP_3)
	v_cndmask_b32_e64 v57, v57, v23, s1
	v_cndmask_b32_e64 v58, v58, v22, s1
	v_cmp_eq_u32_e64 s1, 4, v55
	s_delay_alu instid0(VALU_DEP_2)
	v_dual_cndmask_b32 v59, v57, v25 :: v_dual_cndmask_b32 v60, v58, v24
	ds_load_b64 v[57:58], v54
	v_cmp_eq_u32_e32 vcc_lo, 5, v55
	v_add_nc_u32_e32 v54, 8, v54
	v_cndmask_b32_e64 v59, v59, v27, s1
	v_cndmask_b32_e64 v60, v60, v26, s1
	v_cmp_eq_u32_e64 s1, 6, v55
	s_delay_alu instid0(VALU_DEP_2) | instskip(SKIP_1) | instid1(VALU_DEP_2)
	v_dual_cndmask_b32 v59, v59, v29 :: v_dual_cndmask_b32 v60, v60, v28
	v_cmp_eq_u32_e32 vcc_lo, 7, v55
	v_cndmask_b32_e64 v59, v59, v31, s1
	s_delay_alu instid0(VALU_DEP_3) | instskip(SKIP_1) | instid1(VALU_DEP_1)
	v_cndmask_b32_e64 v61, v60, v30, s1
	v_add_co_u32 v55, s1, v55, 1
	v_add_co_ci_u32_e64 v56, s1, 0, v56, s1
	s_delay_alu instid0(VALU_DEP_3) | instskip(SKIP_2) | instid1(VALU_DEP_2)
	v_dual_cndmask_b32 v60, v59, v33 :: v_dual_cndmask_b32 v59, v61, v32
	v_cmp_eq_u32_e32 vcc_lo, 0, v53
	s_waitcnt lgkmcnt(0)
	v_fma_f64 v[50:51], v[59:60], v[57:58], v[50:51]
	s_or_b32 s3, vcc_lo, s3
	s_delay_alu instid0(SALU_CYCLE_1)
	s_and_not1_b32 exec_lo, exec_lo, s3
	s_cbranch_execnz .LBB71_79
; %bb.80:
	s_set_inst_prefetch_distance 0x2
	s_or_b32 exec_lo, exec_lo, s3
.LBB71_81:
	s_delay_alu instid0(SALU_CYCLE_1)
	s_or_b32 exec_lo, exec_lo, s2
.LBB71_82:
	s_delay_alu instid0(SALU_CYCLE_1)
	s_or_b32 exec_lo, exec_lo, s5
	v_mov_b32_e32 v20, 0
	ds_load_b64 v[20:21], v20 offset:8
	s_waitcnt lgkmcnt(0)
	v_mul_f64 v[20:21], v[50:51], v[20:21]
.LBB71_83:
	s_or_b32 exec_lo, exec_lo, s4
	s_mov_b32 s2, 0
	s_mov_b32 s3, exec_lo
	ds_store_b64 v52, v[18:19]
	s_waitcnt lgkmcnt(0)
	s_barrier
	buffer_gl0_inv
	v_cmpx_ne_u32_e32 0, v0
	s_cbranch_execz .LBB71_99
; %bb.84:
	s_and_not1_b32 vcc_lo, exec_lo, s10
	s_cbranch_vccnz .LBB71_86
; %bb.85:
	v_cmp_eq_u32_e32 vcc_lo, 1, v0
	v_dual_cndmask_b32 v50, v19, v21 :: v_dual_cndmask_b32 v51, v18, v20
	v_cmp_eq_u32_e32 vcc_lo, 2, v0
	s_delay_alu instid0(VALU_DEP_2) | instskip(SKIP_1) | instid1(VALU_DEP_2)
	v_dual_cndmask_b32 v50, v50, v23 :: v_dual_cndmask_b32 v51, v51, v22
	v_cmp_eq_u32_e32 vcc_lo, 3, v0
	v_dual_cndmask_b32 v50, v50, v25 :: v_dual_cndmask_b32 v51, v51, v24
	v_cmp_eq_u32_e32 vcc_lo, 4, v0
	s_delay_alu instid0(VALU_DEP_2) | instskip(SKIP_4) | instid1(VALU_DEP_2)
	v_dual_cndmask_b32 v53, v50, v27 :: v_dual_cndmask_b32 v54, v51, v26
	v_cmp_eq_u32_e32 vcc_lo, 5, v0
	ds_load_b64 v[50:51], v52
	v_dual_cndmask_b32 v53, v53, v29 :: v_dual_cndmask_b32 v54, v54, v28
	v_cmp_eq_u32_e32 vcc_lo, 6, v0
	v_cndmask_b32_e32 v53, v53, v31, vcc_lo
	s_delay_alu instid0(VALU_DEP_3) | instskip(SKIP_1) | instid1(VALU_DEP_2)
	v_cndmask_b32_e32 v55, v54, v30, vcc_lo
	v_cmp_eq_u32_e32 vcc_lo, 7, v0
	v_dual_cndmask_b32 v54, v53, v33 :: v_dual_cndmask_b32 v53, v55, v32
	s_waitcnt lgkmcnt(0)
	s_delay_alu instid0(VALU_DEP_1)
	v_mul_f64 v[50:51], v[53:54], v[50:51]
	s_cbranch_execz .LBB71_87
	s_branch .LBB71_88
.LBB71_86:
                                        ; implicit-def: $vgpr50_vgpr51
.LBB71_87:
	ds_load_b64 v[50:51], v52
.LBB71_88:
	s_and_saveexec_b32 s4, s0
	s_cbranch_execz .LBB71_98
; %bb.89:
	v_dual_mov_b32 v55, 1 :: v_dual_add_nc_u32 v54, -2, v0
	v_add_nc_u32_e32 v53, -1, v0
	s_mov_b32 s5, exec_lo
	s_delay_alu instid0(VALU_DEP_2)
	v_cmpx_lt_u32_e32 6, v54
	s_cbranch_execz .LBB71_93
; %bb.90:
	s_delay_alu instid0(VALU_DEP_2) | instskip(SKIP_3) | instid1(VALU_DEP_1)
	v_and_b32_e32 v54, -8, v53
	s_mov_b32 s6, 0
	s_mov_b64 s[0:1], 8
	s_movk_i32 s7, 0x48
	v_sub_nc_u32_e32 v54, 0, v54
.LBB71_91:                              ; =>This Inner Loop Header: Depth=1
	v_mov_b32_e32 v65, s7
	s_lshl_b32 s8, s0, 1
	s_delay_alu instid0(SALU_CYCLE_1)
	s_add_i32 m0, s8, -13
	v_movrels_b32_e32 v64, v18
	ds_load_2addr_b64 v[55:58], v65 offset1:1
	ds_load_2addr_b64 v[59:62], v65 offset0:2 offset1:3
	s_add_i32 m0, s8, -14
	v_movrels_b32_e32 v63, v18
	s_add_i32 m0, s8, -11
	s_waitcnt lgkmcnt(1)
	s_delay_alu instid0(VALU_DEP_1) | instskip(SKIP_4) | instid1(VALU_DEP_1)
	v_fma_f64 v[50:51], v[63:64], v[55:56], v[50:51]
	v_movrels_b32_e32 v56, v18
	s_add_i32 m0, s8, -12
	v_movrels_b32_e32 v55, v18
	s_add_i32 m0, s8, -9
	v_fma_f64 v[50:51], v[55:56], v[57:58], v[50:51]
	v_movrels_b32_e32 v56, v18
	s_add_i32 m0, s8, -10
	v_movrels_b32_e32 v55, v18
	s_add_i32 m0, s8, -7
	s_waitcnt lgkmcnt(0)
	s_delay_alu instid0(VALU_DEP_1)
	v_fma_f64 v[50:51], v[55:56], v[59:60], v[50:51]
	v_movrels_b32_e32 v56, v18
	s_add_i32 m0, s8, -8
	v_movrels_b32_e32 v55, v18
	s_add_i32 m0, s8, -5
	;; [unrolled: 2-line block ×4, first 2 shown]
	v_fma_f64 v[50:51], v[55:56], v[61:62], v[50:51]
	ds_load_2addr_b64 v[55:58], v65 offset0:4 offset1:5
	ds_load_2addr_b64 v[59:62], v65 offset0:6 offset1:7
	s_waitcnt lgkmcnt(1)
	v_fma_f64 v[50:51], v[63:64], v[55:56], v[50:51]
	v_movrels_b32_e32 v56, v18
	s_add_i32 m0, s8, -4
	v_movrels_b32_e32 v55, v18
	s_add_i32 m0, s8, -1
	s_delay_alu instid0(VALU_DEP_1)
	v_fma_f64 v[50:51], v[55:56], v[57:58], v[50:51]
	v_movrels_b32_e32 v56, v18
	s_add_i32 m0, s8, -2
	s_add_u32 s0, s0, 8
	v_movrels_b32_e32 v55, v18
	s_mov_b32 m0, s8
	s_addc_u32 s1, s1, 0
	s_add_i32 s8, s0, -7
	s_add_i32 s7, s7, 64
	s_waitcnt lgkmcnt(0)
	s_delay_alu instid0(VALU_DEP_3) | instskip(SKIP_2) | instid1(VALU_DEP_1)
	v_fma_f64 v[50:51], v[55:56], v[59:60], v[50:51]
	v_movrels_b32_e32 v56, v19
	v_movrels_b32_e32 v55, v18
	v_fma_f64 v[50:51], v[55:56], v[61:62], v[50:51]
	v_add_nc_u32_e32 v55, s0, v54
	s_delay_alu instid0(VALU_DEP_1) | instskip(SKIP_2) | instid1(SALU_CYCLE_1)
	v_cmp_eq_u32_e32 vcc_lo, 8, v55
	v_mov_b32_e32 v55, s8
	s_or_b32 s6, vcc_lo, s6
	s_and_not1_b32 exec_lo, exec_lo, s6
	s_cbranch_execnz .LBB71_91
; %bb.92:
	s_or_b32 exec_lo, exec_lo, s6
.LBB71_93:
	s_delay_alu instid0(SALU_CYCLE_1) | instskip(SKIP_3) | instid1(VALU_DEP_1)
	s_or_b32 exec_lo, exec_lo, s5
	v_and_b32_e32 v53, 7, v53
	s_mov_b32 s5, 0
	s_mov_b32 s1, exec_lo
	v_cmpx_ne_u32_e32 0, v53
	s_cbranch_execz .LBB71_97
; %bb.94:
	v_lshl_add_u32 v54, v55, 3, 64
	v_mov_b32_e32 v56, 0
	s_set_inst_prefetch_distance 0x1
	.p2align	6
.LBB71_95:                              ; =>This Inner Loop Header: Depth=1
	v_cmp_eq_u32_e32 vcc_lo, 1, v55
	v_cmp_eq_u32_e64 s0, 2, v55
	v_add_nc_u32_e32 v53, -1, v53
	v_dual_cndmask_b32 v57, v19, v21 :: v_dual_cndmask_b32 v58, v18, v20
	v_cmp_eq_u32_e32 vcc_lo, 3, v55
	s_delay_alu instid0(VALU_DEP_2) | instskip(NEXT) | instid1(VALU_DEP_3)
	v_cndmask_b32_e64 v57, v57, v23, s0
	v_cndmask_b32_e64 v58, v58, v22, s0
	v_cmp_eq_u32_e64 s0, 4, v55
	s_delay_alu instid0(VALU_DEP_2)
	v_dual_cndmask_b32 v59, v57, v25 :: v_dual_cndmask_b32 v60, v58, v24
	ds_load_b64 v[57:58], v54
	v_cmp_eq_u32_e32 vcc_lo, 5, v55
	v_add_nc_u32_e32 v54, 8, v54
	v_cndmask_b32_e64 v59, v59, v27, s0
	v_cndmask_b32_e64 v60, v60, v26, s0
	v_cmp_eq_u32_e64 s0, 6, v55
	s_delay_alu instid0(VALU_DEP_2) | instskip(SKIP_1) | instid1(VALU_DEP_2)
	v_dual_cndmask_b32 v59, v59, v29 :: v_dual_cndmask_b32 v60, v60, v28
	v_cmp_eq_u32_e32 vcc_lo, 7, v55
	v_cndmask_b32_e64 v59, v59, v31, s0
	s_delay_alu instid0(VALU_DEP_3) | instskip(SKIP_1) | instid1(VALU_DEP_1)
	v_cndmask_b32_e64 v61, v60, v30, s0
	v_add_co_u32 v55, s0, v55, 1
	v_add_co_ci_u32_e64 v56, s0, 0, v56, s0
	s_delay_alu instid0(VALU_DEP_3) | instskip(SKIP_2) | instid1(VALU_DEP_2)
	v_dual_cndmask_b32 v60, v59, v33 :: v_dual_cndmask_b32 v59, v61, v32
	v_cmp_eq_u32_e32 vcc_lo, 0, v53
	s_waitcnt lgkmcnt(0)
	v_fma_f64 v[50:51], v[59:60], v[57:58], v[50:51]
	s_or_b32 s5, vcc_lo, s5
	s_delay_alu instid0(SALU_CYCLE_1)
	s_and_not1_b32 exec_lo, exec_lo, s5
	s_cbranch_execnz .LBB71_95
; %bb.96:
	s_set_inst_prefetch_distance 0x2
	s_or_b32 exec_lo, exec_lo, s5
.LBB71_97:
	s_delay_alu instid0(SALU_CYCLE_1)
	s_or_b32 exec_lo, exec_lo, s1
.LBB71_98:
	s_delay_alu instid0(SALU_CYCLE_1)
	s_or_b32 exec_lo, exec_lo, s4
	v_mov_b32_e32 v18, 0
	ds_load_b64 v[18:19], v18
	s_waitcnt lgkmcnt(0)
	v_mul_f64 v[18:19], v[50:51], v[18:19]
.LBB71_99:
	s_or_b32 exec_lo, exec_lo, s3
	s_delay_alu instid0(SALU_CYCLE_1)
	s_and_b32 vcc_lo, exec_lo, s2
	s_cbranch_vccz .LBB71_165
.LBB71_100:
	v_cmp_eq_u32_e64 s0, 0, v0
	s_waitcnt vmcnt(7)
	ds_store_b64 v52, v[4:5]
	s_waitcnt vmcnt(0) lgkmcnt(0)
	s_barrier
	buffer_gl0_inv
	s_and_saveexec_b32 s1, s0
	s_cbranch_execz .LBB71_106
; %bb.101:
	s_and_b32 vcc_lo, exec_lo, s10
	s_cbranch_vccz .LBB71_103
; %bb.102:
	v_cmp_eq_u32_e32 vcc_lo, 1, v0
	v_dual_cndmask_b32 v5, v3, v5 :: v_dual_cndmask_b32 v4, v2, v4
	v_cmp_eq_u32_e32 vcc_lo, 2, v0
	s_delay_alu instid0(VALU_DEP_2) | instskip(SKIP_1) | instid1(VALU_DEP_2)
	v_dual_cndmask_b32 v5, v5, v7 :: v_dual_cndmask_b32 v4, v4, v6
	v_cmp_eq_u32_e32 vcc_lo, 3, v0
	v_dual_cndmask_b32 v5, v5, v9 :: v_dual_cndmask_b32 v4, v4, v8
	v_cmp_eq_u32_e32 vcc_lo, 4, v0
	s_delay_alu instid0(VALU_DEP_2) | instskip(SKIP_4) | instid1(VALU_DEP_2)
	v_dual_cndmask_b32 v18, v5, v11 :: v_dual_cndmask_b32 v19, v4, v10
	v_cmp_eq_u32_e32 vcc_lo, 5, v0
	ds_load_b64 v[4:5], v52
	v_dual_cndmask_b32 v18, v18, v13 :: v_dual_cndmask_b32 v19, v19, v12
	v_cmp_eq_u32_e32 vcc_lo, 6, v0
	v_cndmask_b32_e32 v18, v18, v15, vcc_lo
	s_delay_alu instid0(VALU_DEP_3) | instskip(SKIP_1) | instid1(VALU_DEP_2)
	v_cndmask_b32_e32 v20, v19, v14, vcc_lo
	v_cmp_eq_u32_e32 vcc_lo, 7, v0
	v_dual_cndmask_b32 v19, v18, v17 :: v_dual_cndmask_b32 v18, v20, v16
	s_waitcnt lgkmcnt(0)
	s_delay_alu instid0(VALU_DEP_1)
	v_mul_f64 v[4:5], v[18:19], v[4:5]
	s_cbranch_execz .LBB71_104
	s_branch .LBB71_105
.LBB71_103:
                                        ; implicit-def: $vgpr4_vgpr5
.LBB71_104:
	ds_load_b64 v[4:5], v52
.LBB71_105:
	v_mov_b32_e32 v18, 0
	ds_load_b64 v[18:19], v18 offset:8
	s_waitcnt lgkmcnt(0)
	v_mul_f64 v[4:5], v[4:5], v[18:19]
.LBB71_106:
	s_or_b32 exec_lo, exec_lo, s1
	v_add_nc_u32_e32 v20, 1, v0
	v_cndmask_b32_e64 v22, 0, 1, s10
	s_mov_b32 s1, exec_lo
	ds_store_b64 v52, v[6:7]
	s_waitcnt lgkmcnt(0)
	s_barrier
	buffer_gl0_inv
	v_cmpx_gt_u32_e32 2, v0
	s_cbranch_execz .LBB71_114
; %bb.107:
	s_and_not1_b32 vcc_lo, exec_lo, s10
	s_cbranch_vccnz .LBB71_109
; %bb.108:
	v_cmp_eq_u32_e32 vcc_lo, 1, v0
	v_dual_cndmask_b32 v18, v3, v5 :: v_dual_cndmask_b32 v19, v2, v4
	v_cmp_eq_u32_e32 vcc_lo, 2, v0
	s_delay_alu instid0(VALU_DEP_2) | instskip(SKIP_1) | instid1(VALU_DEP_2)
	v_dual_cndmask_b32 v18, v18, v7 :: v_dual_cndmask_b32 v19, v19, v6
	v_cmp_eq_u32_e32 vcc_lo, 3, v0
	v_dual_cndmask_b32 v18, v18, v9 :: v_dual_cndmask_b32 v19, v19, v8
	v_cmp_eq_u32_e32 vcc_lo, 4, v0
	s_delay_alu instid0(VALU_DEP_2) | instskip(NEXT) | instid1(VALU_DEP_3)
	v_cndmask_b32_e32 v21, v18, v11, vcc_lo
	v_cndmask_b32_e32 v23, v19, v10, vcc_lo
	v_cmp_eq_u32_e32 vcc_lo, 5, v0
	ds_load_b64 v[18:19], v52
	v_cndmask_b32_e32 v21, v21, v13, vcc_lo
	v_cndmask_b32_e32 v23, v23, v12, vcc_lo
	v_cmp_eq_u32_e32 vcc_lo, 6, v0
	s_delay_alu instid0(VALU_DEP_3) | instskip(NEXT) | instid1(VALU_DEP_3)
	v_cndmask_b32_e32 v21, v21, v15, vcc_lo
	v_cndmask_b32_e32 v23, v23, v14, vcc_lo
	v_cmp_eq_u32_e32 vcc_lo, 7, v0
	s_delay_alu instid0(VALU_DEP_2) | instskip(SKIP_1) | instid1(VALU_DEP_1)
	v_dual_cndmask_b32 v24, v21, v17 :: v_dual_cndmask_b32 v23, v23, v16
	s_waitcnt lgkmcnt(0)
	v_mul_f64 v[18:19], v[23:24], v[18:19]
	s_cbranch_execz .LBB71_110
	s_branch .LBB71_111
.LBB71_109:
                                        ; implicit-def: $vgpr18_vgpr19
.LBB71_110:
	ds_load_b64 v[18:19], v52
.LBB71_111:
	s_and_saveexec_b32 s2, s0
	s_cbranch_execz .LBB71_113
; %bb.112:
	v_cmp_eq_u32_e32 vcc_lo, 1, v20
	v_cndmask_b32_e32 v21, v3, v5, vcc_lo
	v_cndmask_b32_e32 v23, v2, v4, vcc_lo
	v_cmp_eq_u32_e32 vcc_lo, 2, v20
	s_delay_alu instid0(VALU_DEP_2) | instskip(SKIP_1) | instid1(VALU_DEP_2)
	v_dual_cndmask_b32 v7, v21, v7 :: v_dual_cndmask_b32 v6, v23, v6
	v_cmp_eq_u32_e32 vcc_lo, 3, v20
	v_dual_cndmask_b32 v7, v7, v9 :: v_dual_cndmask_b32 v6, v6, v8
	v_cmp_eq_u32_e32 vcc_lo, 4, v20
	s_delay_alu instid0(VALU_DEP_2) | instskip(NEXT) | instid1(VALU_DEP_3)
	v_cndmask_b32_e32 v21, v7, v11, vcc_lo
	v_cndmask_b32_e32 v23, v6, v10, vcc_lo
	v_cmp_eq_u32_e32 vcc_lo, 5, v20
	ds_load_b64 v[6:7], v52 offset:8
	v_cndmask_b32_e32 v21, v21, v13, vcc_lo
	v_cndmask_b32_e32 v23, v23, v12, vcc_lo
	v_cmp_eq_u32_e32 vcc_lo, 6, v20
	s_delay_alu instid0(VALU_DEP_3) | instskip(NEXT) | instid1(VALU_DEP_3)
	v_cndmask_b32_e32 v21, v21, v15, vcc_lo
	v_cndmask_b32_e32 v23, v23, v14, vcc_lo
	v_cmp_eq_u32_e32 vcc_lo, 7, v20
	s_delay_alu instid0(VALU_DEP_2) | instskip(SKIP_1) | instid1(VALU_DEP_1)
	v_dual_cndmask_b32 v24, v21, v17 :: v_dual_cndmask_b32 v23, v23, v16
	s_waitcnt lgkmcnt(0)
	v_fma_f64 v[18:19], v[23:24], v[6:7], v[18:19]
.LBB71_113:
	s_or_b32 exec_lo, exec_lo, s2
	v_mov_b32_e32 v6, 0
	ds_load_b64 v[6:7], v6 offset:16
	s_waitcnt lgkmcnt(0)
	v_mul_f64 v[6:7], v[18:19], v[6:7]
.LBB71_114:
	s_or_b32 exec_lo, exec_lo, s1
	s_delay_alu instid0(SALU_CYCLE_1)
	s_mov_b32 s1, exec_lo
	ds_store_b64 v52, v[8:9]
	s_waitcnt lgkmcnt(0)
	s_barrier
	buffer_gl0_inv
	v_cmpx_gt_u32_e32 3, v0
	s_cbranch_execz .LBB71_124
; %bb.115:
	v_cmp_ne_u32_e32 vcc_lo, 1, v22
	s_cbranch_vccnz .LBB71_117
; %bb.116:
	v_cmp_eq_u32_e32 vcc_lo, 1, v0
	v_dual_cndmask_b32 v18, v3, v5 :: v_dual_cndmask_b32 v19, v2, v4
	v_cmp_eq_u32_e32 vcc_lo, 2, v0
	s_delay_alu instid0(VALU_DEP_2) | instskip(SKIP_1) | instid1(VALU_DEP_2)
	v_dual_cndmask_b32 v18, v18, v7 :: v_dual_cndmask_b32 v19, v19, v6
	v_cmp_eq_u32_e32 vcc_lo, 3, v0
	v_dual_cndmask_b32 v18, v18, v9 :: v_dual_cndmask_b32 v19, v19, v8
	v_cmp_eq_u32_e32 vcc_lo, 4, v0
	s_delay_alu instid0(VALU_DEP_2) | instskip(NEXT) | instid1(VALU_DEP_3)
	v_cndmask_b32_e32 v21, v18, v11, vcc_lo
	v_cndmask_b32_e32 v23, v19, v10, vcc_lo
	v_cmp_eq_u32_e32 vcc_lo, 5, v0
	ds_load_b64 v[18:19], v52
	v_cndmask_b32_e32 v21, v21, v13, vcc_lo
	v_cndmask_b32_e32 v23, v23, v12, vcc_lo
	v_cmp_eq_u32_e32 vcc_lo, 6, v0
	s_delay_alu instid0(VALU_DEP_3) | instskip(NEXT) | instid1(VALU_DEP_3)
	v_cndmask_b32_e32 v21, v21, v15, vcc_lo
	v_cndmask_b32_e32 v23, v23, v14, vcc_lo
	v_cmp_eq_u32_e32 vcc_lo, 7, v0
	s_delay_alu instid0(VALU_DEP_2) | instskip(SKIP_1) | instid1(VALU_DEP_1)
	v_dual_cndmask_b32 v24, v21, v17 :: v_dual_cndmask_b32 v23, v23, v16
	s_waitcnt lgkmcnt(0)
	v_mul_f64 v[18:19], v[23:24], v[18:19]
	s_cbranch_execz .LBB71_118
	s_branch .LBB71_119
.LBB71_117:
                                        ; implicit-def: $vgpr18_vgpr19
.LBB71_118:
	ds_load_b64 v[18:19], v52
.LBB71_119:
	s_mov_b32 s2, exec_lo
	v_cmpx_ne_u32_e32 2, v0
	s_cbranch_execz .LBB71_123
; %bb.120:
	v_cmp_eq_u32_e32 vcc_lo, 1, v20
	v_cndmask_b32_e32 v21, v3, v5, vcc_lo
	v_cndmask_b32_e32 v23, v2, v4, vcc_lo
	v_cmp_eq_u32_e32 vcc_lo, 2, v20
	s_delay_alu instid0(VALU_DEP_2) | instskip(NEXT) | instid1(VALU_DEP_4)
	v_cndmask_b32_e32 v23, v23, v6, vcc_lo
	v_cndmask_b32_e32 v21, v21, v7, vcc_lo
	v_cmp_eq_u32_e32 vcc_lo, 3, v20
	s_delay_alu instid0(VALU_DEP_2) | instskip(SKIP_1) | instid1(VALU_DEP_2)
	v_dual_cndmask_b32 v8, v23, v8 :: v_dual_cndmask_b32 v9, v21, v9
	v_cmp_eq_u32_e32 vcc_lo, 4, v20
	v_cndmask_b32_e32 v21, v9, v11, vcc_lo
	s_delay_alu instid0(VALU_DEP_3)
	v_cndmask_b32_e32 v23, v8, v10, vcc_lo
	v_cmp_eq_u32_e32 vcc_lo, 5, v20
	ds_load_b64 v[8:9], v52 offset:8
	v_cndmask_b32_e32 v21, v21, v13, vcc_lo
	v_cndmask_b32_e32 v23, v23, v12, vcc_lo
	v_cmp_eq_u32_e32 vcc_lo, 6, v20
	s_delay_alu instid0(VALU_DEP_3) | instskip(NEXT) | instid1(VALU_DEP_3)
	v_cndmask_b32_e32 v21, v21, v15, vcc_lo
	v_cndmask_b32_e32 v23, v23, v14, vcc_lo
	v_cmp_eq_u32_e32 vcc_lo, 7, v20
	s_delay_alu instid0(VALU_DEP_2) | instskip(SKIP_1) | instid1(VALU_DEP_1)
	v_dual_cndmask_b32 v20, v23, v16 :: v_dual_cndmask_b32 v21, v21, v17
	s_waitcnt lgkmcnt(0)
	v_fma_f64 v[18:19], v[20:21], v[8:9], v[18:19]
	s_and_saveexec_b32 s3, s0
	s_cbranch_execz .LBB71_122
; %bb.121:
	v_mov_b32_e32 v8, 0
	ds_load_b64 v[8:9], v8 offset:80
	s_waitcnt lgkmcnt(0)
	v_fma_f64 v[18:19], v[6:7], v[8:9], v[18:19]
.LBB71_122:
	s_or_b32 exec_lo, exec_lo, s3
.LBB71_123:
	s_delay_alu instid0(SALU_CYCLE_1)
	s_or_b32 exec_lo, exec_lo, s2
	v_mov_b32_e32 v8, 0
	ds_load_b64 v[8:9], v8 offset:24
	s_waitcnt lgkmcnt(0)
	v_mul_f64 v[8:9], v[18:19], v[8:9]
.LBB71_124:
	s_or_b32 exec_lo, exec_lo, s1
	s_delay_alu instid0(SALU_CYCLE_1)
	s_mov_b32 s1, exec_lo
	ds_store_b64 v52, v[10:11]
	s_waitcnt lgkmcnt(0)
	s_barrier
	buffer_gl0_inv
	v_cmpx_gt_u32_e32 4, v0
	s_cbranch_execz .LBB71_134
; %bb.125:
	v_cmp_ne_u32_e32 vcc_lo, 1, v22
	s_cbranch_vccnz .LBB71_127
; %bb.126:
	v_cmp_eq_u32_e32 vcc_lo, 1, v0
	v_dual_cndmask_b32 v18, v3, v5 :: v_dual_cndmask_b32 v19, v2, v4
	v_cmp_eq_u32_e32 vcc_lo, 2, v0
	s_delay_alu instid0(VALU_DEP_2) | instskip(SKIP_1) | instid1(VALU_DEP_2)
	v_dual_cndmask_b32 v18, v18, v7 :: v_dual_cndmask_b32 v19, v19, v6
	v_cmp_eq_u32_e32 vcc_lo, 3, v0
	v_dual_cndmask_b32 v18, v18, v9 :: v_dual_cndmask_b32 v19, v19, v8
	v_cmp_eq_u32_e32 vcc_lo, 4, v0
	s_delay_alu instid0(VALU_DEP_2) | instskip(SKIP_4) | instid1(VALU_DEP_2)
	v_dual_cndmask_b32 v20, v18, v11 :: v_dual_cndmask_b32 v21, v19, v10
	v_cmp_eq_u32_e32 vcc_lo, 5, v0
	ds_load_b64 v[18:19], v52
	v_dual_cndmask_b32 v20, v20, v13 :: v_dual_cndmask_b32 v21, v21, v12
	v_cmp_eq_u32_e32 vcc_lo, 6, v0
	v_dual_cndmask_b32 v20, v20, v15 :: v_dual_cndmask_b32 v23, v21, v14
	v_cmp_eq_u32_e32 vcc_lo, 7, v0
	s_delay_alu instid0(VALU_DEP_2) | instskip(SKIP_1) | instid1(VALU_DEP_1)
	v_dual_cndmask_b32 v21, v20, v17 :: v_dual_cndmask_b32 v20, v23, v16
	s_waitcnt lgkmcnt(0)
	v_mul_f64 v[18:19], v[20:21], v[18:19]
	s_cbranch_execz .LBB71_128
	s_branch .LBB71_129
.LBB71_127:
                                        ; implicit-def: $vgpr18_vgpr19
.LBB71_128:
	ds_load_b64 v[18:19], v52
.LBB71_129:
	s_mov_b32 s2, exec_lo
	v_cmpx_ne_u32_e32 3, v0
	s_cbranch_execz .LBB71_133
; %bb.130:
	v_lshl_add_u32 v23, v0, 3, 0x48
	v_dual_mov_b32 v21, v1 :: v_dual_mov_b32 v20, v0
	s_mov_b32 s3, 0
	s_set_inst_prefetch_distance 0x1
	.p2align	6
.LBB71_131:                             ; =>This Inner Loop Header: Depth=1
	s_delay_alu instid0(VALU_DEP_1) | instskip(NEXT) | instid1(VALU_DEP_2)
	v_add_co_u32 v20, vcc_lo, v20, 1
	v_add_co_ci_u32_e32 v21, vcc_lo, 0, v21, vcc_lo
	s_delay_alu instid0(VALU_DEP_2) | instskip(SKIP_3) | instid1(VALU_DEP_2)
	v_cmp_eq_u32_e32 vcc_lo, 1, v20
	v_cmp_eq_u32_e64 s0, 2, v20
	v_dual_cndmask_b32 v24, v3, v5 :: v_dual_cndmask_b32 v25, v2, v4
	v_cmp_eq_u32_e32 vcc_lo, 3, v20
	v_cndmask_b32_e64 v24, v24, v7, s0
	s_delay_alu instid0(VALU_DEP_3) | instskip(SKIP_1) | instid1(VALU_DEP_2)
	v_cndmask_b32_e64 v25, v25, v6, s0
	v_cmp_eq_u32_e64 s0, 4, v20
	v_dual_cndmask_b32 v26, v24, v9 :: v_dual_cndmask_b32 v27, v25, v8
	ds_load_b64 v[24:25], v23
	v_cmp_eq_u32_e32 vcc_lo, 5, v20
	v_add_nc_u32_e32 v23, 8, v23
	v_cndmask_b32_e64 v26, v26, v11, s0
	v_cndmask_b32_e64 v27, v27, v10, s0
	v_cmp_eq_u32_e64 s0, 6, v20
	s_delay_alu instid0(VALU_DEP_2) | instskip(SKIP_1) | instid1(VALU_DEP_2)
	v_dual_cndmask_b32 v26, v26, v13 :: v_dual_cndmask_b32 v27, v27, v12
	v_cmp_eq_u32_e32 vcc_lo, 7, v20
	v_cndmask_b32_e64 v26, v26, v15, s0
	s_delay_alu instid0(VALU_DEP_3) | instskip(NEXT) | instid1(VALU_DEP_1)
	v_cndmask_b32_e64 v28, v27, v14, s0
	v_dual_cndmask_b32 v27, v26, v17 :: v_dual_cndmask_b32 v26, v28, v16
	v_cmp_lt_u32_e32 vcc_lo, 2, v20
	s_waitcnt lgkmcnt(0)
	s_delay_alu instid0(VALU_DEP_2) | instskip(SKIP_1) | instid1(SALU_CYCLE_1)
	v_fma_f64 v[18:19], v[26:27], v[24:25], v[18:19]
	s_or_b32 s3, vcc_lo, s3
	s_and_not1_b32 exec_lo, exec_lo, s3
	s_cbranch_execnz .LBB71_131
; %bb.132:
	s_set_inst_prefetch_distance 0x2
	s_or_b32 exec_lo, exec_lo, s3
.LBB71_133:
	s_delay_alu instid0(SALU_CYCLE_1)
	s_or_b32 exec_lo, exec_lo, s2
	v_mov_b32_e32 v10, 0
	ds_load_b64 v[10:11], v10 offset:32
	s_waitcnt lgkmcnt(0)
	v_mul_f64 v[10:11], v[18:19], v[10:11]
.LBB71_134:
	s_or_b32 exec_lo, exec_lo, s1
	s_delay_alu instid0(SALU_CYCLE_1)
	s_mov_b32 s1, exec_lo
	ds_store_b64 v52, v[12:13]
	s_waitcnt lgkmcnt(0)
	s_barrier
	buffer_gl0_inv
	v_cmpx_gt_u32_e32 5, v0
	s_cbranch_execz .LBB71_144
; %bb.135:
	v_cmp_ne_u32_e32 vcc_lo, 1, v22
	s_cbranch_vccnz .LBB71_137
; %bb.136:
	v_cmp_eq_u32_e32 vcc_lo, 1, v0
	v_dual_cndmask_b32 v18, v3, v5 :: v_dual_cndmask_b32 v19, v2, v4
	v_cmp_eq_u32_e32 vcc_lo, 2, v0
	s_delay_alu instid0(VALU_DEP_2) | instskip(SKIP_1) | instid1(VALU_DEP_2)
	v_dual_cndmask_b32 v18, v18, v7 :: v_dual_cndmask_b32 v19, v19, v6
	v_cmp_eq_u32_e32 vcc_lo, 3, v0
	v_dual_cndmask_b32 v18, v18, v9 :: v_dual_cndmask_b32 v19, v19, v8
	v_cmp_eq_u32_e32 vcc_lo, 4, v0
	s_delay_alu instid0(VALU_DEP_2) | instskip(SKIP_4) | instid1(VALU_DEP_2)
	v_dual_cndmask_b32 v20, v18, v11 :: v_dual_cndmask_b32 v21, v19, v10
	v_cmp_eq_u32_e32 vcc_lo, 5, v0
	ds_load_b64 v[18:19], v52
	v_dual_cndmask_b32 v20, v20, v13 :: v_dual_cndmask_b32 v21, v21, v12
	v_cmp_eq_u32_e32 vcc_lo, 6, v0
	v_dual_cndmask_b32 v20, v20, v15 :: v_dual_cndmask_b32 v23, v21, v14
	v_cmp_eq_u32_e32 vcc_lo, 7, v0
	s_delay_alu instid0(VALU_DEP_2) | instskip(SKIP_1) | instid1(VALU_DEP_1)
	v_dual_cndmask_b32 v21, v20, v17 :: v_dual_cndmask_b32 v20, v23, v16
	s_waitcnt lgkmcnt(0)
	v_mul_f64 v[18:19], v[20:21], v[18:19]
	s_cbranch_execz .LBB71_138
	s_branch .LBB71_139
.LBB71_137:
                                        ; implicit-def: $vgpr18_vgpr19
.LBB71_138:
	ds_load_b64 v[18:19], v52
.LBB71_139:
	s_mov_b32 s2, exec_lo
	v_cmpx_ne_u32_e32 4, v0
	s_cbranch_execz .LBB71_143
; %bb.140:
	v_lshl_add_u32 v23, v0, 3, 0x48
	v_dual_mov_b32 v21, v1 :: v_dual_mov_b32 v20, v0
	s_mov_b32 s3, 0
	s_set_inst_prefetch_distance 0x1
	.p2align	6
.LBB71_141:                             ; =>This Inner Loop Header: Depth=1
	s_delay_alu instid0(VALU_DEP_1) | instskip(NEXT) | instid1(VALU_DEP_2)
	v_add_co_u32 v20, vcc_lo, v20, 1
	v_add_co_ci_u32_e32 v21, vcc_lo, 0, v21, vcc_lo
	s_delay_alu instid0(VALU_DEP_2) | instskip(SKIP_3) | instid1(VALU_DEP_2)
	v_cmp_eq_u32_e32 vcc_lo, 1, v20
	v_cmp_eq_u32_e64 s0, 2, v20
	v_dual_cndmask_b32 v24, v3, v5 :: v_dual_cndmask_b32 v25, v2, v4
	v_cmp_eq_u32_e32 vcc_lo, 3, v20
	v_cndmask_b32_e64 v24, v24, v7, s0
	s_delay_alu instid0(VALU_DEP_3) | instskip(SKIP_1) | instid1(VALU_DEP_2)
	v_cndmask_b32_e64 v25, v25, v6, s0
	v_cmp_eq_u32_e64 s0, 4, v20
	v_dual_cndmask_b32 v26, v24, v9 :: v_dual_cndmask_b32 v27, v25, v8
	ds_load_b64 v[24:25], v23
	v_cmp_eq_u32_e32 vcc_lo, 5, v20
	v_add_nc_u32_e32 v23, 8, v23
	v_cndmask_b32_e64 v26, v26, v11, s0
	v_cndmask_b32_e64 v27, v27, v10, s0
	v_cmp_eq_u32_e64 s0, 6, v20
	s_delay_alu instid0(VALU_DEP_2) | instskip(SKIP_1) | instid1(VALU_DEP_2)
	v_dual_cndmask_b32 v26, v26, v13 :: v_dual_cndmask_b32 v27, v27, v12
	v_cmp_eq_u32_e32 vcc_lo, 7, v20
	v_cndmask_b32_e64 v26, v26, v15, s0
	s_delay_alu instid0(VALU_DEP_3) | instskip(NEXT) | instid1(VALU_DEP_1)
	v_cndmask_b32_e64 v28, v27, v14, s0
	v_dual_cndmask_b32 v27, v26, v17 :: v_dual_cndmask_b32 v26, v28, v16
	v_cmp_lt_u32_e32 vcc_lo, 3, v20
	s_waitcnt lgkmcnt(0)
	s_delay_alu instid0(VALU_DEP_2) | instskip(SKIP_1) | instid1(SALU_CYCLE_1)
	v_fma_f64 v[18:19], v[26:27], v[24:25], v[18:19]
	s_or_b32 s3, vcc_lo, s3
	s_and_not1_b32 exec_lo, exec_lo, s3
	s_cbranch_execnz .LBB71_141
; %bb.142:
	s_set_inst_prefetch_distance 0x2
	s_or_b32 exec_lo, exec_lo, s3
.LBB71_143:
	s_delay_alu instid0(SALU_CYCLE_1)
	s_or_b32 exec_lo, exec_lo, s2
	v_mov_b32_e32 v12, 0
	ds_load_b64 v[12:13], v12 offset:40
	s_waitcnt lgkmcnt(0)
	v_mul_f64 v[12:13], v[18:19], v[12:13]
.LBB71_144:
	s_or_b32 exec_lo, exec_lo, s1
	v_cmp_gt_u32_e64 s0, 6, v0
	ds_store_b64 v52, v[14:15]
	s_waitcnt lgkmcnt(0)
	s_barrier
	buffer_gl0_inv
	s_and_saveexec_b32 s2, s0
	s_cbranch_execz .LBB71_154
; %bb.145:
	v_cmp_ne_u32_e32 vcc_lo, 1, v22
	s_cbranch_vccnz .LBB71_147
; %bb.146:
	v_cmp_eq_u32_e32 vcc_lo, 1, v0
	v_dual_cndmask_b32 v18, v3, v5 :: v_dual_cndmask_b32 v19, v2, v4
	v_cmp_eq_u32_e32 vcc_lo, 2, v0
	s_delay_alu instid0(VALU_DEP_2) | instskip(SKIP_1) | instid1(VALU_DEP_2)
	v_dual_cndmask_b32 v18, v18, v7 :: v_dual_cndmask_b32 v19, v19, v6
	v_cmp_eq_u32_e32 vcc_lo, 3, v0
	v_dual_cndmask_b32 v18, v18, v9 :: v_dual_cndmask_b32 v19, v19, v8
	v_cmp_eq_u32_e32 vcc_lo, 4, v0
	s_delay_alu instid0(VALU_DEP_2) | instskip(SKIP_4) | instid1(VALU_DEP_2)
	v_dual_cndmask_b32 v20, v18, v11 :: v_dual_cndmask_b32 v21, v19, v10
	v_cmp_eq_u32_e32 vcc_lo, 5, v0
	ds_load_b64 v[18:19], v52
	v_dual_cndmask_b32 v20, v20, v13 :: v_dual_cndmask_b32 v21, v21, v12
	v_cmp_eq_u32_e32 vcc_lo, 6, v0
	v_dual_cndmask_b32 v20, v20, v15 :: v_dual_cndmask_b32 v23, v21, v14
	v_cmp_eq_u32_e32 vcc_lo, 7, v0
	s_delay_alu instid0(VALU_DEP_2) | instskip(SKIP_1) | instid1(VALU_DEP_1)
	v_dual_cndmask_b32 v21, v20, v17 :: v_dual_cndmask_b32 v20, v23, v16
	s_waitcnt lgkmcnt(0)
	v_mul_f64 v[18:19], v[20:21], v[18:19]
	s_cbranch_execz .LBB71_148
	s_branch .LBB71_149
.LBB71_147:
                                        ; implicit-def: $vgpr18_vgpr19
.LBB71_148:
	ds_load_b64 v[18:19], v52
.LBB71_149:
	s_mov_b32 s3, exec_lo
	v_cmpx_ne_u32_e32 5, v0
	s_cbranch_execz .LBB71_153
; %bb.150:
	v_lshl_add_u32 v23, v0, 3, 0x48
	v_dual_mov_b32 v21, v1 :: v_dual_mov_b32 v20, v0
	s_mov_b32 s4, 0
	s_set_inst_prefetch_distance 0x1
	.p2align	6
.LBB71_151:                             ; =>This Inner Loop Header: Depth=1
	s_delay_alu instid0(VALU_DEP_1) | instskip(NEXT) | instid1(VALU_DEP_2)
	v_add_co_u32 v20, vcc_lo, v20, 1
	v_add_co_ci_u32_e32 v21, vcc_lo, 0, v21, vcc_lo
	s_delay_alu instid0(VALU_DEP_2) | instskip(SKIP_3) | instid1(VALU_DEP_2)
	v_cmp_eq_u32_e32 vcc_lo, 1, v20
	v_cmp_eq_u32_e64 s1, 2, v20
	v_dual_cndmask_b32 v24, v3, v5 :: v_dual_cndmask_b32 v25, v2, v4
	v_cmp_eq_u32_e32 vcc_lo, 3, v20
	v_cndmask_b32_e64 v24, v24, v7, s1
	s_delay_alu instid0(VALU_DEP_3) | instskip(SKIP_1) | instid1(VALU_DEP_2)
	v_cndmask_b32_e64 v25, v25, v6, s1
	v_cmp_eq_u32_e64 s1, 4, v20
	v_dual_cndmask_b32 v26, v24, v9 :: v_dual_cndmask_b32 v27, v25, v8
	ds_load_b64 v[24:25], v23
	v_cmp_eq_u32_e32 vcc_lo, 5, v20
	v_add_nc_u32_e32 v23, 8, v23
	v_cndmask_b32_e64 v26, v26, v11, s1
	v_cndmask_b32_e64 v27, v27, v10, s1
	v_cmp_eq_u32_e64 s1, 6, v20
	s_delay_alu instid0(VALU_DEP_2) | instskip(SKIP_1) | instid1(VALU_DEP_2)
	v_dual_cndmask_b32 v26, v26, v13 :: v_dual_cndmask_b32 v27, v27, v12
	v_cmp_eq_u32_e32 vcc_lo, 7, v20
	v_cndmask_b32_e64 v26, v26, v15, s1
	s_delay_alu instid0(VALU_DEP_3) | instskip(NEXT) | instid1(VALU_DEP_1)
	v_cndmask_b32_e64 v28, v27, v14, s1
	v_dual_cndmask_b32 v27, v26, v17 :: v_dual_cndmask_b32 v26, v28, v16
	v_cmp_lt_u32_e32 vcc_lo, 4, v20
	s_waitcnt lgkmcnt(0)
	s_delay_alu instid0(VALU_DEP_2) | instskip(SKIP_1) | instid1(SALU_CYCLE_1)
	v_fma_f64 v[18:19], v[26:27], v[24:25], v[18:19]
	s_or_b32 s4, vcc_lo, s4
	s_and_not1_b32 exec_lo, exec_lo, s4
	s_cbranch_execnz .LBB71_151
; %bb.152:
	s_set_inst_prefetch_distance 0x2
	s_or_b32 exec_lo, exec_lo, s4
.LBB71_153:
	s_delay_alu instid0(SALU_CYCLE_1)
	s_or_b32 exec_lo, exec_lo, s3
	v_mov_b32_e32 v14, 0
	ds_load_b64 v[14:15], v14 offset:48
	s_waitcnt lgkmcnt(0)
	v_mul_f64 v[14:15], v[18:19], v[14:15]
.LBB71_154:
	s_or_b32 exec_lo, exec_lo, s2
	s_delay_alu instid0(SALU_CYCLE_1)
	s_mov_b32 s1, exec_lo
	ds_store_b64 v52, v[16:17]
	s_waitcnt lgkmcnt(0)
	s_barrier
	buffer_gl0_inv
	v_cmpx_ne_u32_e32 7, v0
	s_cbranch_execz .LBB71_164
; %bb.155:
	v_cmp_ne_u32_e32 vcc_lo, 1, v22
	s_cbranch_vccnz .LBB71_157
; %bb.156:
	v_cmp_eq_u32_e32 vcc_lo, 1, v0
	v_dual_cndmask_b32 v18, v3, v5 :: v_dual_cndmask_b32 v19, v2, v4
	v_cmp_eq_u32_e32 vcc_lo, 2, v0
	s_delay_alu instid0(VALU_DEP_2) | instskip(SKIP_1) | instid1(VALU_DEP_2)
	v_dual_cndmask_b32 v18, v18, v7 :: v_dual_cndmask_b32 v19, v19, v6
	v_cmp_eq_u32_e32 vcc_lo, 3, v0
	v_dual_cndmask_b32 v18, v18, v9 :: v_dual_cndmask_b32 v19, v19, v8
	v_cmp_eq_u32_e32 vcc_lo, 4, v0
	s_delay_alu instid0(VALU_DEP_2) | instskip(SKIP_4) | instid1(VALU_DEP_2)
	v_dual_cndmask_b32 v20, v18, v11 :: v_dual_cndmask_b32 v21, v19, v10
	v_cmp_eq_u32_e32 vcc_lo, 5, v0
	ds_load_b64 v[18:19], v52
	v_dual_cndmask_b32 v20, v20, v13 :: v_dual_cndmask_b32 v21, v21, v12
	v_cmp_eq_u32_e32 vcc_lo, 6, v0
	v_cndmask_b32_e32 v20, v20, v15, vcc_lo
	s_delay_alu instid0(VALU_DEP_3) | instskip(SKIP_1) | instid1(VALU_DEP_2)
	v_cndmask_b32_e32 v22, v21, v14, vcc_lo
	v_cmp_eq_u32_e32 vcc_lo, 7, v0
	v_dual_cndmask_b32 v21, v20, v17 :: v_dual_cndmask_b32 v20, v22, v16
	s_waitcnt lgkmcnt(0)
	s_delay_alu instid0(VALU_DEP_1)
	v_mul_f64 v[18:19], v[20:21], v[18:19]
	s_cbranch_execz .LBB71_158
	s_branch .LBB71_159
.LBB71_157:
                                        ; implicit-def: $vgpr18_vgpr19
.LBB71_158:
	ds_load_b64 v[18:19], v52
.LBB71_159:
	s_and_saveexec_b32 s2, s0
	s_cbranch_execz .LBB71_163
; %bb.160:
	v_lshl_add_u32 v20, v0, 3, 0x48
	s_mov_b32 s3, 0
	s_set_inst_prefetch_distance 0x1
	.p2align	6
.LBB71_161:                             ; =>This Inner Loop Header: Depth=1
	v_add_co_u32 v0, vcc_lo, v0, 1
	v_add_co_ci_u32_e32 v1, vcc_lo, 0, v1, vcc_lo
	s_delay_alu instid0(VALU_DEP_2) | instskip(SKIP_3) | instid1(VALU_DEP_2)
	v_cmp_eq_u32_e32 vcc_lo, 1, v0
	v_cmp_eq_u32_e64 s0, 2, v0
	v_dual_cndmask_b32 v21, v3, v5 :: v_dual_cndmask_b32 v22, v2, v4
	v_cmp_eq_u32_e32 vcc_lo, 3, v0
	v_cndmask_b32_e64 v21, v21, v7, s0
	s_delay_alu instid0(VALU_DEP_3) | instskip(SKIP_1) | instid1(VALU_DEP_2)
	v_cndmask_b32_e64 v22, v22, v6, s0
	v_cmp_eq_u32_e64 s0, 4, v0
	v_dual_cndmask_b32 v23, v21, v9 :: v_dual_cndmask_b32 v24, v22, v8
	ds_load_b64 v[21:22], v20
	v_cmp_eq_u32_e32 vcc_lo, 5, v0
	v_add_nc_u32_e32 v20, 8, v20
	v_cndmask_b32_e64 v23, v23, v11, s0
	v_cndmask_b32_e64 v24, v24, v10, s0
	v_cmp_eq_u32_e64 s0, 6, v0
	s_delay_alu instid0(VALU_DEP_2) | instskip(SKIP_1) | instid1(VALU_DEP_2)
	v_dual_cndmask_b32 v23, v23, v13 :: v_dual_cndmask_b32 v24, v24, v12
	v_cmp_eq_u32_e32 vcc_lo, 7, v0
	v_cndmask_b32_e64 v23, v23, v15, s0
	s_delay_alu instid0(VALU_DEP_3) | instskip(NEXT) | instid1(VALU_DEP_1)
	v_cndmask_b32_e64 v25, v24, v14, s0
	v_dual_cndmask_b32 v24, v23, v17 :: v_dual_cndmask_b32 v23, v25, v16
	v_cmp_lt_u32_e32 vcc_lo, 5, v0
	s_waitcnt lgkmcnt(0)
	s_delay_alu instid0(VALU_DEP_2) | instskip(SKIP_1) | instid1(SALU_CYCLE_1)
	v_fma_f64 v[18:19], v[23:24], v[21:22], v[18:19]
	s_or_b32 s3, vcc_lo, s3
	s_and_not1_b32 exec_lo, exec_lo, s3
	s_cbranch_execnz .LBB71_161
; %bb.162:
	s_set_inst_prefetch_distance 0x2
	s_or_b32 exec_lo, exec_lo, s3
.LBB71_163:
	s_delay_alu instid0(SALU_CYCLE_1)
	s_or_b32 exec_lo, exec_lo, s2
	v_mov_b32_e32 v0, 0
	ds_load_b64 v[0:1], v0 offset:56
	s_waitcnt lgkmcnt(0)
	v_mul_f64 v[16:17], v[18:19], v[0:1]
.LBB71_164:
	s_or_b32 exec_lo, exec_lo, s1
	s_delay_alu instid0(VALU_DEP_1)
	v_dual_mov_b32 v33, v17 :: v_dual_mov_b32 v32, v16
	v_dual_mov_b32 v31, v15 :: v_dual_mov_b32 v30, v14
	;; [unrolled: 1-line block ×8, first 2 shown]
.LBB71_165:
	s_clause 0x7
	global_store_b64 v[46:47], v[18:19], off
	global_store_b64 v[48:49], v[20:21], off
	;; [unrolled: 1-line block ×8, first 2 shown]
.LBB71_166:
	s_nop 0
	s_sendmsg sendmsg(MSG_DEALLOC_VGPRS)
	s_endpgm
	.section	.rodata,"a",@progbits
	.p2align	6, 0x0
	.amdhsa_kernel _ZN9rocsolver6v33100L18trti2_kernel_smallILi8EdPKPdEEv13rocblas_fill_17rocblas_diagonal_T1_iil
		.amdhsa_group_segment_fixed_size 128
		.amdhsa_private_segment_fixed_size 0
		.amdhsa_kernarg_size 32
		.amdhsa_user_sgpr_count 15
		.amdhsa_user_sgpr_dispatch_ptr 0
		.amdhsa_user_sgpr_queue_ptr 0
		.amdhsa_user_sgpr_kernarg_segment_ptr 1
		.amdhsa_user_sgpr_dispatch_id 0
		.amdhsa_user_sgpr_private_segment_size 0
		.amdhsa_wavefront_size32 1
		.amdhsa_uses_dynamic_stack 0
		.amdhsa_enable_private_segment 0
		.amdhsa_system_sgpr_workgroup_id_x 1
		.amdhsa_system_sgpr_workgroup_id_y 0
		.amdhsa_system_sgpr_workgroup_id_z 0
		.amdhsa_system_sgpr_workgroup_info 0
		.amdhsa_system_vgpr_workitem_id 0
		.amdhsa_next_free_vgpr 66
		.amdhsa_next_free_sgpr 16
		.amdhsa_reserve_vcc 1
		.amdhsa_float_round_mode_32 0
		.amdhsa_float_round_mode_16_64 0
		.amdhsa_float_denorm_mode_32 3
		.amdhsa_float_denorm_mode_16_64 3
		.amdhsa_dx10_clamp 1
		.amdhsa_ieee_mode 1
		.amdhsa_fp16_overflow 0
		.amdhsa_workgroup_processor_mode 1
		.amdhsa_memory_ordered 1
		.amdhsa_forward_progress 0
		.amdhsa_shared_vgpr_count 0
		.amdhsa_exception_fp_ieee_invalid_op 0
		.amdhsa_exception_fp_denorm_src 0
		.amdhsa_exception_fp_ieee_div_zero 0
		.amdhsa_exception_fp_ieee_overflow 0
		.amdhsa_exception_fp_ieee_underflow 0
		.amdhsa_exception_fp_ieee_inexact 0
		.amdhsa_exception_int_div_zero 0
	.end_amdhsa_kernel
	.section	.text._ZN9rocsolver6v33100L18trti2_kernel_smallILi8EdPKPdEEv13rocblas_fill_17rocblas_diagonal_T1_iil,"axG",@progbits,_ZN9rocsolver6v33100L18trti2_kernel_smallILi8EdPKPdEEv13rocblas_fill_17rocblas_diagonal_T1_iil,comdat
.Lfunc_end71:
	.size	_ZN9rocsolver6v33100L18trti2_kernel_smallILi8EdPKPdEEv13rocblas_fill_17rocblas_diagonal_T1_iil, .Lfunc_end71-_ZN9rocsolver6v33100L18trti2_kernel_smallILi8EdPKPdEEv13rocblas_fill_17rocblas_diagonal_T1_iil
                                        ; -- End function
	.section	.AMDGPU.csdata,"",@progbits
; Kernel info:
; codeLenInByte = 8776
; NumSgprs: 18
; NumVgprs: 66
; ScratchSize: 0
; MemoryBound: 0
; FloatMode: 240
; IeeeMode: 1
; LDSByteSize: 128 bytes/workgroup (compile time only)
; SGPRBlocks: 2
; VGPRBlocks: 8
; NumSGPRsForWavesPerEU: 18
; NumVGPRsForWavesPerEU: 66
; Occupancy: 16
; WaveLimiterHint : 1
; COMPUTE_PGM_RSRC2:SCRATCH_EN: 0
; COMPUTE_PGM_RSRC2:USER_SGPR: 15
; COMPUTE_PGM_RSRC2:TRAP_HANDLER: 0
; COMPUTE_PGM_RSRC2:TGID_X_EN: 1
; COMPUTE_PGM_RSRC2:TGID_Y_EN: 0
; COMPUTE_PGM_RSRC2:TGID_Z_EN: 0
; COMPUTE_PGM_RSRC2:TIDIG_COMP_CNT: 0
	.section	.text._ZN9rocsolver6v33100L18trti2_kernel_smallILi9EdPKPdEEv13rocblas_fill_17rocblas_diagonal_T1_iil,"axG",@progbits,_ZN9rocsolver6v33100L18trti2_kernel_smallILi9EdPKPdEEv13rocblas_fill_17rocblas_diagonal_T1_iil,comdat
	.globl	_ZN9rocsolver6v33100L18trti2_kernel_smallILi9EdPKPdEEv13rocblas_fill_17rocblas_diagonal_T1_iil ; -- Begin function _ZN9rocsolver6v33100L18trti2_kernel_smallILi9EdPKPdEEv13rocblas_fill_17rocblas_diagonal_T1_iil
	.p2align	8
	.type	_ZN9rocsolver6v33100L18trti2_kernel_smallILi9EdPKPdEEv13rocblas_fill_17rocblas_diagonal_T1_iil,@function
_ZN9rocsolver6v33100L18trti2_kernel_smallILi9EdPKPdEEv13rocblas_fill_17rocblas_diagonal_T1_iil: ; @_ZN9rocsolver6v33100L18trti2_kernel_smallILi9EdPKPdEEv13rocblas_fill_17rocblas_diagonal_T1_iil
; %bb.0:
	s_mov_b32 s2, exec_lo
	v_cmpx_gt_u32_e32 9, v0
	s_cbranch_execz .LBB72_192
; %bb.1:
	s_mov_b32 s4, s15
	s_clause 0x1
	s_load_b64 s[2:3], s[0:1], 0x10
	s_load_b128 s[12:15], s[0:1], 0x0
	s_ashr_i32 s5, s4, 31
	v_lshlrev_b32_e32 v36, 3, v0
	s_lshl_b64 s[0:1], s[4:5], 3
	v_mov_b32_e32 v34, 0
	v_mov_b32_e32 v35, 0xbff00000
	s_waitcnt lgkmcnt(0)
	s_ashr_i32 s5, s2, 31
	s_add_u32 s0, s14, s0
	s_addc_u32 s1, s15, s1
	v_add3_u32 v1, s3, s3, v0
	s_load_b64 s[0:1], s[0:1], 0x0
	s_mov_b32 s4, s2
	s_mov_b32 s6, s3
	s_lshl_b64 s[4:5], s[4:5], 3
	v_add_nc_u32_e32 v3, s3, v1
	v_ashrrev_i32_e32 v2, 31, v1
	s_delay_alu instid0(VALU_DEP_2) | instskip(SKIP_1) | instid1(VALU_DEP_3)
	v_add_nc_u32_e32 v5, s3, v3
	v_ashrrev_i32_e32 v4, 31, v3
	v_lshlrev_b64 v[9:10], 3, v[1:2]
	v_mov_b32_e32 v1, 0
	s_delay_alu instid0(VALU_DEP_4) | instskip(SKIP_2) | instid1(VALU_DEP_3)
	v_ashrrev_i32_e32 v6, 31, v5
	v_add_nc_u32_e32 v7, s3, v5
	v_lshlrev_b64 v[11:12], 3, v[3:4]
	v_lshlrev_b64 v[4:5], 3, v[5:6]
	s_delay_alu instid0(VALU_DEP_3)
	v_ashrrev_i32_e32 v8, 31, v7
	v_add_nc_u32_e32 v6, s3, v7
	s_waitcnt lgkmcnt(0)
	s_add_u32 s0, s0, s4
	s_addc_u32 s1, s1, s5
	v_add_co_u32 v70, vcc_lo, s0, v9
	v_add_co_ci_u32_e32 v71, vcc_lo, s1, v10, vcc_lo
	v_lshlrev_b64 v[13:14], 3, v[7:8]
	v_ashrrev_i32_e32 v7, 31, v6
	v_add_nc_u32_e32 v8, s3, v6
	v_add_co_u32 v68, vcc_lo, s0, v11
	v_add_co_u32 v78, s2, s0, v36
	v_add_co_ci_u32_e32 v69, vcc_lo, s1, v12, vcc_lo
	s_ashr_i32 s7, s3, 31
	v_add_co_u32 v66, vcc_lo, s0, v4
	v_add_co_ci_u32_e64 v79, null, s1, 0, s2
	s_lshl_b64 s[4:5], s[6:7], 3
	v_add_co_ci_u32_e32 v67, vcc_lo, s1, v5, vcc_lo
	v_lshlrev_b64 v[4:5], 3, v[6:7]
	v_add_nc_u32_e32 v6, s3, v8
	v_add_co_u32 v82, vcc_lo, v78, s4
	v_ashrrev_i32_e32 v9, 31, v8
	v_add_co_ci_u32_e32 v83, vcc_lo, s5, v79, vcc_lo
	v_add_co_u32 v80, vcc_lo, s0, v13
	v_ashrrev_i32_e32 v7, 31, v6
	v_add_co_ci_u32_e32 v81, vcc_lo, s1, v14, vcc_lo
	v_lshlrev_b64 v[8:9], 3, v[8:9]
	v_add_co_u32 v74, vcc_lo, s0, v4
	v_add_co_ci_u32_e32 v75, vcc_lo, s1, v5, vcc_lo
	v_lshlrev_b64 v[4:5], 3, v[6:7]
	s_delay_alu instid0(VALU_DEP_4)
	v_add_co_u32 v76, vcc_lo, s0, v8
	v_add_co_ci_u32_e32 v77, vcc_lo, s1, v9, vcc_lo
	global_load_b64 v[2:3], v36, s[0:1]
	v_add_co_u32 v72, vcc_lo, s0, v4
	v_add_co_ci_u32_e32 v73, vcc_lo, s1, v5, vcc_lo
	s_clause 0x7
	global_load_b64 v[4:5], v[82:83], off
	global_load_b64 v[6:7], v[70:71], off
	;; [unrolled: 1-line block ×8, first 2 shown]
	v_cmp_eq_u32_e64 s0, 0, v0
	s_cmpk_lg_i32 s13, 0x84
	s_cselect_b32 s9, -1, 0
	s_cmpk_eq_i32 s13, 0x84
	s_cbranch_scc1 .LBB72_3
; %bb.2:
	v_cmp_eq_u32_e64 s1, 1, v0
	v_cmp_eq_u32_e64 s2, 2, v0
	;; [unrolled: 1-line block ×5, first 2 shown]
	s_waitcnt vmcnt(7)
	v_cndmask_b32_e64 v20, v3, v5, s1
	v_cndmask_b32_e64 v21, v2, v4, s1
	v_cmp_eq_u32_e64 s6, 6, v0
	v_cmp_eq_u32_e64 s7, 7, v0
	;; [unrolled: 1-line block ×3, first 2 shown]
	s_waitcnt vmcnt(6)
	v_cndmask_b32_e64 v20, v20, v7, s2
	v_cndmask_b32_e64 v21, v21, v6, s2
	s_waitcnt vmcnt(5)
	s_delay_alu instid0(VALU_DEP_2) | instskip(NEXT) | instid1(VALU_DEP_2)
	v_cndmask_b32_e64 v20, v20, v9, s3
	v_cndmask_b32_e64 v21, v21, v8, s3
	s_waitcnt vmcnt(4)
	s_delay_alu instid0(VALU_DEP_2) | instskip(NEXT) | instid1(VALU_DEP_2)
	;; [unrolled: 4-line block ×6, first 2 shown]
	v_cndmask_b32_e64 v21, v20, v19, s8
	v_cndmask_b32_e64 v20, v22, v18, s8
	s_delay_alu instid0(VALU_DEP_1) | instskip(SKIP_1) | instid1(VALU_DEP_2)
	v_div_scale_f64 v[22:23], null, v[20:21], v[20:21], 1.0
	v_div_scale_f64 v[28:29], vcc_lo, 1.0, v[20:21], 1.0
	v_rcp_f64_e32 v[24:25], v[22:23]
	s_waitcnt_depctr 0xfff
	v_fma_f64 v[26:27], -v[22:23], v[24:25], 1.0
	s_delay_alu instid0(VALU_DEP_1) | instskip(NEXT) | instid1(VALU_DEP_1)
	v_fma_f64 v[24:25], v[24:25], v[26:27], v[24:25]
	v_fma_f64 v[26:27], -v[22:23], v[24:25], 1.0
	s_delay_alu instid0(VALU_DEP_1) | instskip(NEXT) | instid1(VALU_DEP_1)
	v_fma_f64 v[24:25], v[24:25], v[26:27], v[24:25]
	v_mul_f64 v[26:27], v[28:29], v[24:25]
	s_delay_alu instid0(VALU_DEP_1) | instskip(NEXT) | instid1(VALU_DEP_1)
	v_fma_f64 v[22:23], -v[22:23], v[26:27], v[28:29]
	v_div_fmas_f64 v[22:23], v[22:23], v[24:25], v[26:27]
	s_delay_alu instid0(VALU_DEP_1) | instskip(NEXT) | instid1(VALU_DEP_1)
	v_div_fixup_f64 v[34:35], v[22:23], v[20:21], 1.0
	v_cndmask_b32_e64 v19, v19, v35, s8
	s_delay_alu instid0(VALU_DEP_2)
	v_cndmask_b32_e64 v18, v18, v34, s8
	v_cndmask_b32_e64 v17, v17, v35, s7
	v_cndmask_b32_e64 v16, v16, v34, s7
	v_cndmask_b32_e64 v15, v15, v35, s6
	v_cndmask_b32_e64 v14, v14, v34, s6
	v_cndmask_b32_e64 v13, v13, v35, s5
	v_cndmask_b32_e64 v12, v12, v34, s5
	v_cndmask_b32_e64 v11, v11, v35, s4
	v_cndmask_b32_e64 v10, v10, v34, s4
	v_cndmask_b32_e64 v9, v9, v35, s3
	v_cndmask_b32_e64 v8, v8, v34, s3
	v_cndmask_b32_e64 v7, v7, v35, s2
	v_cndmask_b32_e64 v6, v6, v34, s2
	v_cndmask_b32_e64 v5, v5, v35, s1
	v_cndmask_b32_e64 v4, v4, v34, s1
	v_cndmask_b32_e64 v3, v3, v35, s0
	v_cndmask_b32_e64 v2, v2, v34, s0
	v_xor_b32_e32 v35, 0x80000000, v35
.LBB72_3:
	v_add_nc_u32_e32 v86, 0x50, v36
	s_cmpk_eq_i32 s12, 0x79
	ds_store_b64 v36, v[34:35]
	s_cbranch_scc1 .LBB72_7
; %bb.4:
	s_waitcnt vmcnt(0)
	v_dual_mov_b32 v65, v33 :: v_dual_mov_b32 v64, v32
	v_dual_mov_b32 v63, v31 :: v_dual_mov_b32 v62, v30
	;; [unrolled: 1-line block ×16, first 2 shown]
	v_cmp_eq_u32_e64 s0, 8, v0
	ds_store_b64 v86, v[16:17]
	s_waitcnt lgkmcnt(0)
	s_barrier
	buffer_gl0_inv
	s_and_saveexec_b32 s1, s0
	s_cbranch_execz .LBB72_11
; %bb.5:
	s_and_b32 vcc_lo, exec_lo, s9
	s_cbranch_vccz .LBB72_8
; %bb.6:
	v_cmp_eq_u32_e32 vcc_lo, 1, v0
	v_dual_cndmask_b32 v34, v3, v5 :: v_dual_cndmask_b32 v35, v2, v4
	v_cmp_eq_u32_e32 vcc_lo, 2, v0
	s_delay_alu instid0(VALU_DEP_2) | instskip(SKIP_1) | instid1(VALU_DEP_2)
	v_dual_cndmask_b32 v34, v34, v7 :: v_dual_cndmask_b32 v35, v35, v6
	v_cmp_eq_u32_e32 vcc_lo, 3, v0
	v_dual_cndmask_b32 v34, v34, v9 :: v_dual_cndmask_b32 v35, v35, v8
	v_cmp_eq_u32_e32 vcc_lo, 4, v0
	s_delay_alu instid0(VALU_DEP_2) | instskip(SKIP_1) | instid1(VALU_DEP_2)
	v_dual_cndmask_b32 v34, v34, v11 :: v_dual_cndmask_b32 v35, v35, v10
	v_cmp_eq_u32_e32 vcc_lo, 5, v0
	v_dual_cndmask_b32 v36, v34, v13 :: v_dual_cndmask_b32 v37, v35, v12
	v_cmp_eq_u32_e32 vcc_lo, 6, v0
	ds_load_b64 v[34:35], v86
	v_dual_cndmask_b32 v36, v36, v15 :: v_dual_cndmask_b32 v37, v37, v14
	v_cmp_eq_u32_e32 vcc_lo, 7, v0
	s_delay_alu instid0(VALU_DEP_2) | instskip(NEXT) | instid1(VALU_DEP_3)
	v_cndmask_b32_e32 v36, v36, v17, vcc_lo
	v_cndmask_b32_e32 v38, v37, v16, vcc_lo
	v_cmp_eq_u32_e32 vcc_lo, 8, v0
	s_delay_alu instid0(VALU_DEP_2) | instskip(SKIP_1) | instid1(VALU_DEP_1)
	v_dual_cndmask_b32 v37, v36, v19 :: v_dual_cndmask_b32 v36, v38, v18
	s_waitcnt lgkmcnt(0)
	v_mul_f64 v[34:35], v[36:37], v[34:35]
	s_cbranch_execz .LBB72_9
	s_branch .LBB72_10
.LBB72_7:
                                        ; implicit-def: $vgpr34_vgpr35_vgpr36_vgpr37_vgpr38_vgpr39_vgpr40_vgpr41_vgpr42_vgpr43_vgpr44_vgpr45_vgpr46_vgpr47_vgpr48_vgpr49_vgpr50_vgpr51_vgpr52_vgpr53_vgpr54_vgpr55_vgpr56_vgpr57_vgpr58_vgpr59_vgpr60_vgpr61_vgpr62_vgpr63_vgpr64_vgpr65
	s_cbranch_execnz .LBB72_116
	s_branch .LBB72_191
.LBB72_8:
                                        ; implicit-def: $vgpr34_vgpr35
.LBB72_9:
	ds_load_b64 v[34:35], v86
.LBB72_10:
	v_mov_b32_e32 v36, 0
	v_dual_mov_b32 v38, v6 :: v_dual_mov_b32 v41, v9
	v_dual_mov_b32 v40, v8 :: v_dual_mov_b32 v43, v11
	ds_load_b64 v[36:37], v36 offset:56
	v_dual_mov_b32 v42, v10 :: v_dual_mov_b32 v45, v13
	v_dual_mov_b32 v44, v12 :: v_dual_mov_b32 v47, v15
	;; [unrolled: 1-line block ×4, first 2 shown]
	s_waitcnt lgkmcnt(0)
	v_mul_f64 v[48:49], v[34:35], v[36:37]
	v_dual_mov_b32 v34, v2 :: v_dual_mov_b32 v37, v5
	v_dual_mov_b32 v35, v3 :: v_dual_mov_b32 v36, v4
.LBB72_11:
	s_or_b32 exec_lo, exec_lo, s1
	v_cmp_lt_u32_e64 s1, 6, v0
	ds_store_b64 v86, v[46:47]
	s_waitcnt lgkmcnt(0)
	s_barrier
	buffer_gl0_inv
	s_and_saveexec_b32 s2, s1
	s_cbranch_execz .LBB72_19
; %bb.12:
	s_and_not1_b32 vcc_lo, exec_lo, s9
	s_cbranch_vccnz .LBB72_14
; %bb.13:
	v_cmp_eq_u32_e32 vcc_lo, 1, v0
	v_dual_cndmask_b32 v52, v35, v37 :: v_dual_cndmask_b32 v53, v34, v36
	v_cmp_eq_u32_e32 vcc_lo, 2, v0
	s_delay_alu instid0(VALU_DEP_2) | instskip(SKIP_1) | instid1(VALU_DEP_2)
	v_dual_cndmask_b32 v52, v52, v39 :: v_dual_cndmask_b32 v53, v53, v38
	v_cmp_eq_u32_e32 vcc_lo, 3, v0
	v_dual_cndmask_b32 v52, v52, v41 :: v_dual_cndmask_b32 v53, v53, v40
	v_cmp_eq_u32_e32 vcc_lo, 4, v0
	s_delay_alu instid0(VALU_DEP_2) | instskip(SKIP_1) | instid1(VALU_DEP_2)
	v_dual_cndmask_b32 v52, v52, v43 :: v_dual_cndmask_b32 v53, v53, v42
	v_cmp_eq_u32_e32 vcc_lo, 5, v0
	v_dual_cndmask_b32 v54, v52, v45 :: v_dual_cndmask_b32 v55, v53, v44
	v_cmp_eq_u32_e32 vcc_lo, 6, v0
	ds_load_b64 v[52:53], v86
	v_dual_cndmask_b32 v47, v54, v47 :: v_dual_cndmask_b32 v46, v55, v46
	v_cmp_eq_u32_e32 vcc_lo, 7, v0
	s_delay_alu instid0(VALU_DEP_2) | instskip(SKIP_1) | instid1(VALU_DEP_2)
	v_dual_cndmask_b32 v47, v47, v49 :: v_dual_cndmask_b32 v46, v46, v48
	v_cmp_eq_u32_e32 vcc_lo, 8, v0
	v_dual_cndmask_b32 v47, v47, v51 :: v_dual_cndmask_b32 v46, v46, v50
	s_waitcnt lgkmcnt(0)
	s_delay_alu instid0(VALU_DEP_1)
	v_mul_f64 v[46:47], v[46:47], v[52:53]
	s_cbranch_execz .LBB72_15
	s_branch .LBB72_16
.LBB72_14:
                                        ; implicit-def: $vgpr46_vgpr47
.LBB72_15:
	ds_load_b64 v[46:47], v86
.LBB72_16:
	s_and_saveexec_b32 s3, s0
	s_cbranch_execz .LBB72_18
; %bb.17:
	v_mov_b32_e32 v52, 0
	ds_load_b64 v[52:53], v52 offset:136
	s_waitcnt lgkmcnt(0)
	v_fma_f64 v[46:47], v[48:49], v[52:53], v[46:47]
.LBB72_18:
	s_or_b32 exec_lo, exec_lo, s3
	v_mov_b32_e32 v52, 0
	ds_load_b64 v[52:53], v52 offset:48
	s_waitcnt lgkmcnt(0)
	v_mul_f64 v[46:47], v[46:47], v[52:53]
.LBB72_19:
	s_or_b32 exec_lo, exec_lo, s2
	v_cmp_lt_u32_e64 s0, 5, v0
	ds_store_b64 v86, v[44:45]
	s_waitcnt lgkmcnt(0)
	s_barrier
	buffer_gl0_inv
	s_and_saveexec_b32 s4, s0
	s_cbranch_execz .LBB72_35
; %bb.20:
	s_and_not1_b32 vcc_lo, exec_lo, s9
	s_cbranch_vccnz .LBB72_22
; %bb.21:
	v_cmp_eq_u32_e32 vcc_lo, 1, v0
	v_dual_cndmask_b32 v84, v35, v37 :: v_dual_cndmask_b32 v85, v34, v36
	v_cmp_eq_u32_e32 vcc_lo, 2, v0
	s_delay_alu instid0(VALU_DEP_2) | instskip(SKIP_1) | instid1(VALU_DEP_2)
	v_dual_cndmask_b32 v84, v84, v39 :: v_dual_cndmask_b32 v85, v85, v38
	v_cmp_eq_u32_e32 vcc_lo, 3, v0
	v_dual_cndmask_b32 v84, v84, v41 :: v_dual_cndmask_b32 v85, v85, v40
	v_cmp_eq_u32_e32 vcc_lo, 4, v0
	s_delay_alu instid0(VALU_DEP_2) | instskip(SKIP_1) | instid1(VALU_DEP_2)
	v_dual_cndmask_b32 v84, v84, v43 :: v_dual_cndmask_b32 v85, v85, v42
	v_cmp_eq_u32_e32 vcc_lo, 5, v0
	v_dual_cndmask_b32 v87, v84, v45 :: v_dual_cndmask_b32 v88, v85, v44
	v_cmp_eq_u32_e32 vcc_lo, 6, v0
	ds_load_b64 v[84:85], v86
	v_dual_cndmask_b32 v87, v87, v47 :: v_dual_cndmask_b32 v88, v88, v46
	v_cmp_eq_u32_e32 vcc_lo, 7, v0
	s_delay_alu instid0(VALU_DEP_2) | instskip(NEXT) | instid1(VALU_DEP_3)
	v_cndmask_b32_e32 v87, v87, v49, vcc_lo
	v_cndmask_b32_e32 v89, v88, v48, vcc_lo
	v_cmp_eq_u32_e32 vcc_lo, 8, v0
	s_delay_alu instid0(VALU_DEP_2) | instskip(SKIP_1) | instid1(VALU_DEP_1)
	v_dual_cndmask_b32 v88, v87, v51 :: v_dual_cndmask_b32 v87, v89, v50
	s_waitcnt lgkmcnt(0)
	v_mul_f64 v[84:85], v[87:88], v[84:85]
	s_cbranch_execz .LBB72_23
	s_branch .LBB72_24
.LBB72_22:
                                        ; implicit-def: $vgpr84_vgpr85
.LBB72_23:
	ds_load_b64 v[84:85], v86
.LBB72_24:
	s_and_saveexec_b32 s5, s1
	s_cbranch_execz .LBB72_34
; %bb.25:
	v_dual_mov_b32 v89, 6 :: v_dual_add_nc_u32 v88, -7, v0
	v_add_nc_u32_e32 v87, -6, v0
	s_mov_b32 s1, exec_lo
	s_delay_alu instid0(VALU_DEP_2)
	v_cmpx_lt_u32_e32 6, v88
	s_cbranch_execz .LBB72_29
; %bb.26:
	s_delay_alu instid0(VALU_DEP_2) | instskip(SKIP_3) | instid1(VALU_DEP_1)
	v_and_b32_e32 v88, -8, v87
	s_mov_b32 s6, 0
	s_mov_b64 s[2:3], 13
	s_movk_i32 s7, 0x80
	v_sub_nc_u32_e32 v88, 0, v88
.LBB72_27:                              ; =>This Inner Loop Header: Depth=1
	v_mov_b32_e32 v99, s7
	s_lshl_b32 s8, s2, 1
	s_delay_alu instid0(SALU_CYCLE_1)
	s_add_i32 m0, s8, -13
	v_movrels_b32_e32 v98, v34
	ds_load_b128 v[89:92], v99
	ds_load_b128 v[93:96], v99 offset:16
	s_add_i32 m0, s8, -14
	v_movrels_b32_e32 v97, v34
	s_add_i32 m0, s8, -11
	s_waitcnt lgkmcnt(1)
	s_delay_alu instid0(VALU_DEP_1) | instskip(SKIP_4) | instid1(VALU_DEP_1)
	v_fma_f64 v[84:85], v[97:98], v[89:90], v[84:85]
	v_movrels_b32_e32 v90, v34
	s_add_i32 m0, s8, -12
	v_movrels_b32_e32 v89, v34
	s_add_i32 m0, s8, -9
	v_fma_f64 v[84:85], v[89:90], v[91:92], v[84:85]
	v_movrels_b32_e32 v90, v34
	s_add_i32 m0, s8, -10
	v_movrels_b32_e32 v89, v34
	s_add_i32 m0, s8, -7
	s_waitcnt lgkmcnt(0)
	s_delay_alu instid0(VALU_DEP_1)
	v_fma_f64 v[84:85], v[89:90], v[93:94], v[84:85]
	v_movrels_b32_e32 v90, v34
	s_add_i32 m0, s8, -8
	v_movrels_b32_e32 v89, v34
	s_add_i32 m0, s8, -5
	;; [unrolled: 2-line block ×4, first 2 shown]
	v_fma_f64 v[84:85], v[89:90], v[95:96], v[84:85]
	ds_load_b128 v[89:92], v99 offset:32
	ds_load_b128 v[93:96], v99 offset:48
	s_waitcnt lgkmcnt(1)
	v_fma_f64 v[84:85], v[97:98], v[89:90], v[84:85]
	v_movrels_b32_e32 v90, v34
	s_add_i32 m0, s8, -4
	v_movrels_b32_e32 v89, v34
	s_add_i32 m0, s8, -1
	s_delay_alu instid0(VALU_DEP_1)
	v_fma_f64 v[84:85], v[89:90], v[91:92], v[84:85]
	v_movrels_b32_e32 v90, v34
	s_add_i32 m0, s8, -2
	s_add_u32 s2, s2, 8
	v_movrels_b32_e32 v89, v34
	s_mov_b32 m0, s8
	s_addc_u32 s3, s3, 0
	s_add_i32 s8, s2, -7
	s_add_i32 s7, s7, 64
	s_waitcnt lgkmcnt(0)
	s_delay_alu instid0(VALU_DEP_3) | instskip(SKIP_2) | instid1(VALU_DEP_1)
	v_fma_f64 v[84:85], v[89:90], v[93:94], v[84:85]
	v_movrels_b32_e32 v90, v35
	v_movrels_b32_e32 v89, v34
	v_fma_f64 v[84:85], v[89:90], v[95:96], v[84:85]
	v_add_nc_u32_e32 v89, s2, v88
	s_delay_alu instid0(VALU_DEP_1) | instskip(SKIP_2) | instid1(SALU_CYCLE_1)
	v_cmp_eq_u32_e32 vcc_lo, 13, v89
	v_mov_b32_e32 v89, s8
	s_or_b32 s6, vcc_lo, s6
	s_and_not1_b32 exec_lo, exec_lo, s6
	s_cbranch_execnz .LBB72_27
; %bb.28:
	s_or_b32 exec_lo, exec_lo, s6
.LBB72_29:
	s_delay_alu instid0(SALU_CYCLE_1) | instskip(SKIP_3) | instid1(VALU_DEP_1)
	s_or_b32 exec_lo, exec_lo, s1
	v_and_b32_e32 v52, 7, v87
	s_mov_b32 s3, 0
	s_mov_b32 s2, exec_lo
	v_cmpx_ne_u32_e32 0, v52
	s_cbranch_execz .LBB72_33
; %bb.30:
	v_lshl_add_u32 v53, v89, 3, 0x50
	v_mov_b32_e32 v54, 0
.LBB72_31:                              ; =>This Inner Loop Header: Depth=1
	v_cmp_eq_u32_e32 vcc_lo, 1, v89
	v_cmp_eq_u32_e64 s1, 2, v89
	v_dual_cndmask_b32 v55, v35, v37 :: v_dual_add_nc_u32 v52, -1, v52
	v_cndmask_b32_e32 v56, v34, v36, vcc_lo
	v_cmp_eq_u32_e32 vcc_lo, 3, v89
	s_delay_alu instid0(VALU_DEP_3) | instskip(NEXT) | instid1(VALU_DEP_3)
	v_cndmask_b32_e64 v55, v55, v39, s1
	v_cndmask_b32_e64 v56, v56, v38, s1
	v_cmp_eq_u32_e64 s1, 4, v89
	s_delay_alu instid0(VALU_DEP_2) | instskip(SKIP_1) | instid1(VALU_DEP_2)
	v_dual_cndmask_b32 v55, v55, v41 :: v_dual_cndmask_b32 v56, v56, v40
	v_cmp_eq_u32_e32 vcc_lo, 5, v89
	v_cndmask_b32_e64 v57, v55, v43, s1
	s_delay_alu instid0(VALU_DEP_3)
	v_cndmask_b32_e64 v58, v56, v42, s1
	ds_load_b64 v[55:56], v53
	v_cmp_eq_u32_e64 s1, 6, v89
	v_add_nc_u32_e32 v53, 8, v53
	v_dual_cndmask_b32 v57, v57, v45 :: v_dual_cndmask_b32 v58, v58, v44
	v_cmp_eq_u32_e32 vcc_lo, 7, v89
	s_delay_alu instid0(VALU_DEP_2) | instskip(NEXT) | instid1(VALU_DEP_3)
	v_cndmask_b32_e64 v57, v57, v47, s1
	v_cndmask_b32_e64 v58, v58, v46, s1
	v_cmp_eq_u32_e64 s1, 8, v89
	s_delay_alu instid0(VALU_DEP_3) | instskip(NEXT) | instid1(VALU_DEP_3)
	v_cndmask_b32_e32 v57, v57, v49, vcc_lo
	v_cndmask_b32_e32 v59, v58, v48, vcc_lo
	v_cmp_eq_u32_e32 vcc_lo, 0, v52
	s_delay_alu instid0(VALU_DEP_3) | instskip(NEXT) | instid1(VALU_DEP_3)
	v_cndmask_b32_e64 v58, v57, v51, s1
	v_cndmask_b32_e64 v57, v59, v50, s1
	v_add_co_u32 v89, s1, v89, 1
	s_delay_alu instid0(VALU_DEP_1) | instskip(SKIP_1) | instid1(VALU_DEP_3)
	v_add_co_ci_u32_e64 v54, s1, 0, v54, s1
	s_waitcnt lgkmcnt(0)
	v_fma_f64 v[84:85], v[57:58], v[55:56], v[84:85]
	s_or_b32 s3, vcc_lo, s3
	s_delay_alu instid0(SALU_CYCLE_1)
	s_and_not1_b32 exec_lo, exec_lo, s3
	s_cbranch_execnz .LBB72_31
; %bb.32:
	s_or_b32 exec_lo, exec_lo, s3
.LBB72_33:
	s_delay_alu instid0(SALU_CYCLE_1)
	s_or_b32 exec_lo, exec_lo, s2
.LBB72_34:
	s_delay_alu instid0(SALU_CYCLE_1)
	s_or_b32 exec_lo, exec_lo, s5
	v_mov_b32_e32 v44, 0
	ds_load_b64 v[44:45], v44 offset:40
	s_waitcnt lgkmcnt(0)
	v_mul_f64 v[44:45], v[84:85], v[44:45]
.LBB72_35:
	s_or_b32 exec_lo, exec_lo, s4
	v_cmp_lt_u32_e64 s1, 4, v0
	ds_store_b64 v86, v[42:43]
	s_waitcnt lgkmcnt(0)
	s_barrier
	buffer_gl0_inv
	s_and_saveexec_b32 s4, s1
	s_cbranch_execz .LBB72_51
; %bb.36:
	s_and_not1_b32 vcc_lo, exec_lo, s9
	s_cbranch_vccnz .LBB72_38
; %bb.37:
	v_cmp_eq_u32_e32 vcc_lo, 1, v0
	v_dual_cndmask_b32 v84, v35, v37 :: v_dual_cndmask_b32 v85, v34, v36
	v_cmp_eq_u32_e32 vcc_lo, 2, v0
	s_delay_alu instid0(VALU_DEP_2) | instskip(SKIP_1) | instid1(VALU_DEP_2)
	v_dual_cndmask_b32 v84, v84, v39 :: v_dual_cndmask_b32 v85, v85, v38
	v_cmp_eq_u32_e32 vcc_lo, 3, v0
	v_dual_cndmask_b32 v84, v84, v41 :: v_dual_cndmask_b32 v85, v85, v40
	v_cmp_eq_u32_e32 vcc_lo, 4, v0
	s_delay_alu instid0(VALU_DEP_2) | instskip(SKIP_1) | instid1(VALU_DEP_2)
	v_dual_cndmask_b32 v84, v84, v43 :: v_dual_cndmask_b32 v85, v85, v42
	v_cmp_eq_u32_e32 vcc_lo, 5, v0
	v_dual_cndmask_b32 v87, v84, v45 :: v_dual_cndmask_b32 v88, v85, v44
	v_cmp_eq_u32_e32 vcc_lo, 6, v0
	ds_load_b64 v[84:85], v86
	v_dual_cndmask_b32 v87, v87, v47 :: v_dual_cndmask_b32 v88, v88, v46
	v_cmp_eq_u32_e32 vcc_lo, 7, v0
	s_delay_alu instid0(VALU_DEP_2) | instskip(NEXT) | instid1(VALU_DEP_3)
	v_cndmask_b32_e32 v87, v87, v49, vcc_lo
	v_cndmask_b32_e32 v89, v88, v48, vcc_lo
	v_cmp_eq_u32_e32 vcc_lo, 8, v0
	s_delay_alu instid0(VALU_DEP_2) | instskip(SKIP_1) | instid1(VALU_DEP_1)
	v_dual_cndmask_b32 v88, v87, v51 :: v_dual_cndmask_b32 v87, v89, v50
	s_waitcnt lgkmcnt(0)
	v_mul_f64 v[84:85], v[87:88], v[84:85]
	s_cbranch_execz .LBB72_39
	s_branch .LBB72_40
.LBB72_38:
                                        ; implicit-def: $vgpr84_vgpr85
.LBB72_39:
	ds_load_b64 v[84:85], v86
.LBB72_40:
	s_and_saveexec_b32 s5, s0
	s_cbranch_execz .LBB72_50
; %bb.41:
	v_dual_mov_b32 v89, 5 :: v_dual_add_nc_u32 v88, -6, v0
	v_add_nc_u32_e32 v87, -5, v0
	s_mov_b32 s0, exec_lo
	s_delay_alu instid0(VALU_DEP_2)
	v_cmpx_lt_u32_e32 6, v88
	s_cbranch_execz .LBB72_45
; %bb.42:
	s_delay_alu instid0(VALU_DEP_2) | instskip(SKIP_3) | instid1(VALU_DEP_1)
	v_and_b32_e32 v88, -8, v87
	s_mov_b32 s6, 0
	s_mov_b64 s[2:3], 12
	s_movk_i32 s7, 0x78
	v_sub_nc_u32_e32 v88, 0, v88
.LBB72_43:                              ; =>This Inner Loop Header: Depth=1
	v_mov_b32_e32 v99, s7
	s_lshl_b32 s8, s2, 1
	s_delay_alu instid0(SALU_CYCLE_1)
	s_add_i32 m0, s8, -13
	v_movrels_b32_e32 v98, v34
	ds_load_2addr_b64 v[89:92], v99 offset1:1
	ds_load_2addr_b64 v[93:96], v99 offset0:2 offset1:3
	s_add_i32 m0, s8, -14
	v_movrels_b32_e32 v97, v34
	s_add_i32 m0, s8, -11
	s_waitcnt lgkmcnt(1)
	s_delay_alu instid0(VALU_DEP_1) | instskip(SKIP_4) | instid1(VALU_DEP_1)
	v_fma_f64 v[84:85], v[97:98], v[89:90], v[84:85]
	v_movrels_b32_e32 v90, v34
	s_add_i32 m0, s8, -12
	v_movrels_b32_e32 v89, v34
	s_add_i32 m0, s8, -9
	v_fma_f64 v[84:85], v[89:90], v[91:92], v[84:85]
	v_movrels_b32_e32 v90, v34
	s_add_i32 m0, s8, -10
	v_movrels_b32_e32 v89, v34
	s_add_i32 m0, s8, -7
	s_waitcnt lgkmcnt(0)
	s_delay_alu instid0(VALU_DEP_1)
	v_fma_f64 v[84:85], v[89:90], v[93:94], v[84:85]
	v_movrels_b32_e32 v90, v34
	s_add_i32 m0, s8, -8
	v_movrels_b32_e32 v89, v34
	s_add_i32 m0, s8, -5
	;; [unrolled: 2-line block ×4, first 2 shown]
	v_fma_f64 v[84:85], v[89:90], v[95:96], v[84:85]
	ds_load_2addr_b64 v[89:92], v99 offset0:4 offset1:5
	ds_load_2addr_b64 v[93:96], v99 offset0:6 offset1:7
	s_waitcnt lgkmcnt(1)
	v_fma_f64 v[84:85], v[97:98], v[89:90], v[84:85]
	v_movrels_b32_e32 v90, v34
	s_add_i32 m0, s8, -4
	v_movrels_b32_e32 v89, v34
	s_add_i32 m0, s8, -1
	s_delay_alu instid0(VALU_DEP_1)
	v_fma_f64 v[84:85], v[89:90], v[91:92], v[84:85]
	v_movrels_b32_e32 v90, v34
	s_add_i32 m0, s8, -2
	s_add_u32 s2, s2, 8
	v_movrels_b32_e32 v89, v34
	s_mov_b32 m0, s8
	s_addc_u32 s3, s3, 0
	s_add_i32 s8, s2, -7
	s_add_i32 s7, s7, 64
	s_waitcnt lgkmcnt(0)
	s_delay_alu instid0(VALU_DEP_3) | instskip(SKIP_2) | instid1(VALU_DEP_1)
	v_fma_f64 v[84:85], v[89:90], v[93:94], v[84:85]
	v_movrels_b32_e32 v90, v35
	v_movrels_b32_e32 v89, v34
	v_fma_f64 v[84:85], v[89:90], v[95:96], v[84:85]
	v_add_nc_u32_e32 v89, s2, v88
	s_delay_alu instid0(VALU_DEP_1) | instskip(SKIP_2) | instid1(SALU_CYCLE_1)
	v_cmp_eq_u32_e32 vcc_lo, 12, v89
	v_mov_b32_e32 v89, s8
	s_or_b32 s6, vcc_lo, s6
	s_and_not1_b32 exec_lo, exec_lo, s6
	s_cbranch_execnz .LBB72_43
; %bb.44:
	s_or_b32 exec_lo, exec_lo, s6
.LBB72_45:
	s_delay_alu instid0(SALU_CYCLE_1) | instskip(SKIP_3) | instid1(VALU_DEP_1)
	s_or_b32 exec_lo, exec_lo, s0
	v_and_b32_e32 v52, 7, v87
	s_mov_b32 s3, 0
	s_mov_b32 s2, exec_lo
	v_cmpx_ne_u32_e32 0, v52
	s_cbranch_execz .LBB72_49
; %bb.46:
	v_lshl_add_u32 v53, v89, 3, 0x50
	v_mov_b32_e32 v54, 0
.LBB72_47:                              ; =>This Inner Loop Header: Depth=1
	v_cmp_eq_u32_e32 vcc_lo, 1, v89
	v_cmp_eq_u32_e64 s0, 2, v89
	v_dual_cndmask_b32 v55, v35, v37 :: v_dual_add_nc_u32 v52, -1, v52
	v_cndmask_b32_e32 v56, v34, v36, vcc_lo
	v_cmp_eq_u32_e32 vcc_lo, 3, v89
	s_delay_alu instid0(VALU_DEP_3) | instskip(NEXT) | instid1(VALU_DEP_3)
	v_cndmask_b32_e64 v55, v55, v39, s0
	v_cndmask_b32_e64 v56, v56, v38, s0
	v_cmp_eq_u32_e64 s0, 4, v89
	s_delay_alu instid0(VALU_DEP_2) | instskip(SKIP_1) | instid1(VALU_DEP_2)
	v_dual_cndmask_b32 v55, v55, v41 :: v_dual_cndmask_b32 v56, v56, v40
	v_cmp_eq_u32_e32 vcc_lo, 5, v89
	v_cndmask_b32_e64 v57, v55, v43, s0
	s_delay_alu instid0(VALU_DEP_3)
	v_cndmask_b32_e64 v58, v56, v42, s0
	ds_load_b64 v[55:56], v53
	v_cmp_eq_u32_e64 s0, 6, v89
	v_add_nc_u32_e32 v53, 8, v53
	v_dual_cndmask_b32 v57, v57, v45 :: v_dual_cndmask_b32 v58, v58, v44
	v_cmp_eq_u32_e32 vcc_lo, 7, v89
	s_delay_alu instid0(VALU_DEP_2) | instskip(NEXT) | instid1(VALU_DEP_3)
	v_cndmask_b32_e64 v57, v57, v47, s0
	v_cndmask_b32_e64 v58, v58, v46, s0
	v_cmp_eq_u32_e64 s0, 8, v89
	s_delay_alu instid0(VALU_DEP_3) | instskip(NEXT) | instid1(VALU_DEP_3)
	v_cndmask_b32_e32 v57, v57, v49, vcc_lo
	v_cndmask_b32_e32 v59, v58, v48, vcc_lo
	v_cmp_eq_u32_e32 vcc_lo, 0, v52
	s_delay_alu instid0(VALU_DEP_3) | instskip(NEXT) | instid1(VALU_DEP_3)
	v_cndmask_b32_e64 v58, v57, v51, s0
	v_cndmask_b32_e64 v57, v59, v50, s0
	v_add_co_u32 v89, s0, v89, 1
	s_delay_alu instid0(VALU_DEP_1) | instskip(SKIP_1) | instid1(VALU_DEP_3)
	v_add_co_ci_u32_e64 v54, s0, 0, v54, s0
	s_waitcnt lgkmcnt(0)
	v_fma_f64 v[84:85], v[57:58], v[55:56], v[84:85]
	s_or_b32 s3, vcc_lo, s3
	s_delay_alu instid0(SALU_CYCLE_1)
	s_and_not1_b32 exec_lo, exec_lo, s3
	s_cbranch_execnz .LBB72_47
; %bb.48:
	s_or_b32 exec_lo, exec_lo, s3
.LBB72_49:
	s_delay_alu instid0(SALU_CYCLE_1)
	s_or_b32 exec_lo, exec_lo, s2
.LBB72_50:
	s_delay_alu instid0(SALU_CYCLE_1)
	s_or_b32 exec_lo, exec_lo, s5
	v_mov_b32_e32 v42, 0
	ds_load_b64 v[42:43], v42 offset:32
	s_waitcnt lgkmcnt(0)
	v_mul_f64 v[42:43], v[84:85], v[42:43]
.LBB72_51:
	s_or_b32 exec_lo, exec_lo, s4
	v_cmp_lt_u32_e64 s0, 3, v0
	ds_store_b64 v86, v[40:41]
	s_waitcnt lgkmcnt(0)
	s_barrier
	buffer_gl0_inv
	s_and_saveexec_b32 s4, s0
	s_cbranch_execz .LBB72_67
; %bb.52:
	s_and_not1_b32 vcc_lo, exec_lo, s9
	s_cbranch_vccnz .LBB72_54
; %bb.53:
	v_cmp_eq_u32_e32 vcc_lo, 1, v0
	v_dual_cndmask_b32 v84, v35, v37 :: v_dual_cndmask_b32 v85, v34, v36
	v_cmp_eq_u32_e32 vcc_lo, 2, v0
	s_delay_alu instid0(VALU_DEP_2) | instskip(SKIP_1) | instid1(VALU_DEP_2)
	v_dual_cndmask_b32 v84, v84, v39 :: v_dual_cndmask_b32 v85, v85, v38
	v_cmp_eq_u32_e32 vcc_lo, 3, v0
	v_dual_cndmask_b32 v84, v84, v41 :: v_dual_cndmask_b32 v85, v85, v40
	v_cmp_eq_u32_e32 vcc_lo, 4, v0
	s_delay_alu instid0(VALU_DEP_2) | instskip(SKIP_1) | instid1(VALU_DEP_2)
	v_dual_cndmask_b32 v84, v84, v43 :: v_dual_cndmask_b32 v85, v85, v42
	v_cmp_eq_u32_e32 vcc_lo, 5, v0
	v_dual_cndmask_b32 v87, v84, v45 :: v_dual_cndmask_b32 v88, v85, v44
	v_cmp_eq_u32_e32 vcc_lo, 6, v0
	ds_load_b64 v[84:85], v86
	v_dual_cndmask_b32 v87, v87, v47 :: v_dual_cndmask_b32 v88, v88, v46
	v_cmp_eq_u32_e32 vcc_lo, 7, v0
	s_delay_alu instid0(VALU_DEP_2) | instskip(NEXT) | instid1(VALU_DEP_3)
	v_cndmask_b32_e32 v87, v87, v49, vcc_lo
	v_cndmask_b32_e32 v89, v88, v48, vcc_lo
	v_cmp_eq_u32_e32 vcc_lo, 8, v0
	s_delay_alu instid0(VALU_DEP_2) | instskip(SKIP_1) | instid1(VALU_DEP_1)
	v_dual_cndmask_b32 v88, v87, v51 :: v_dual_cndmask_b32 v87, v89, v50
	s_waitcnt lgkmcnt(0)
	v_mul_f64 v[84:85], v[87:88], v[84:85]
	s_cbranch_execz .LBB72_55
	s_branch .LBB72_56
.LBB72_54:
                                        ; implicit-def: $vgpr84_vgpr85
.LBB72_55:
	ds_load_b64 v[84:85], v86
.LBB72_56:
	s_and_saveexec_b32 s5, s1
	s_cbranch_execz .LBB72_66
; %bb.57:
	v_dual_mov_b32 v89, 4 :: v_dual_add_nc_u32 v88, -5, v0
	v_add_nc_u32_e32 v87, -4, v0
	s_mov_b32 s1, exec_lo
	s_delay_alu instid0(VALU_DEP_2)
	v_cmpx_lt_u32_e32 6, v88
	s_cbranch_execz .LBB72_61
; %bb.58:
	s_delay_alu instid0(VALU_DEP_2) | instskip(SKIP_3) | instid1(VALU_DEP_1)
	v_and_b32_e32 v88, -8, v87
	s_mov_b32 s6, 0
	s_mov_b64 s[2:3], 5
	s_movk_i32 s7, 0x70
	v_sub_nc_u32_e32 v88, 0, v88
.LBB72_59:                              ; =>This Inner Loop Header: Depth=1
	v_mov_b32_e32 v99, s7
	s_lshl_b32 s8, s2, 1
	s_delay_alu instid0(SALU_CYCLE_1)
	s_add_i32 m0, s8, -1
	s_add_i32 s10, s8, 3
	ds_load_b128 v[89:92], v99
	ds_load_b128 v[93:96], v99 offset:16
	v_movrels_b32_e32 v98, v34
	s_add_i32 m0, s8, -2
	s_add_i32 s11, s8, 2
	v_movrels_b32_e32 v97, v34
	s_mov_b32 m0, s8
	s_waitcnt lgkmcnt(1)
	s_delay_alu instid0(VALU_DEP_1) | instskip(SKIP_4) | instid1(VALU_DEP_1)
	v_fma_f64 v[84:85], v[97:98], v[89:90], v[84:85]
	v_movrels_b32_e32 v90, v35
	v_movrels_b32_e32 v89, v34
	s_mov_b32 m0, s10
	s_add_i32 s10, s8, 5
	v_fma_f64 v[84:85], v[89:90], v[91:92], v[84:85]
	v_movrels_b32_e32 v90, v34
	s_mov_b32 m0, s11
	s_add_i32 s11, s8, 4
	v_movrels_b32_e32 v89, v34
	s_mov_b32 m0, s10
	s_add_i32 s10, s8, 7
	s_waitcnt lgkmcnt(0)
	s_delay_alu instid0(VALU_DEP_1)
	v_fma_f64 v[84:85], v[89:90], v[93:94], v[84:85]
	v_movrels_b32_e32 v90, v34
	s_mov_b32 m0, s11
	s_add_i32 s11, s8, 6
	v_movrels_b32_e32 v89, v34
	s_mov_b32 m0, s10
	s_add_i32 s10, s8, 9
	;; [unrolled: 3-line block ×4, first 2 shown]
	v_fma_f64 v[84:85], v[89:90], v[95:96], v[84:85]
	ds_load_b128 v[89:92], v99 offset:32
	ds_load_b128 v[93:96], v99 offset:48
	s_waitcnt lgkmcnt(1)
	v_fma_f64 v[84:85], v[97:98], v[89:90], v[84:85]
	v_movrels_b32_e32 v90, v34
	s_mov_b32 m0, s11
	s_add_i32 s11, s8, 10
	v_movrels_b32_e32 v89, v34
	s_mov_b32 m0, s10
	s_add_i32 s10, s8, 13
	s_add_i32 s8, s8, 12
	s_add_u32 s2, s2, 8
	s_addc_u32 s3, s3, 0
	s_add_i32 s7, s7, 64
	s_delay_alu instid0(VALU_DEP_3)
	v_fma_f64 v[84:85], v[89:90], v[91:92], v[84:85]
	v_movrels_b32_e32 v90, v34
	s_mov_b32 m0, s11
	v_movrels_b32_e32 v89, v34
	s_mov_b32 m0, s10
	s_waitcnt lgkmcnt(0)
	s_delay_alu instid0(VALU_DEP_1) | instskip(SKIP_4) | instid1(VALU_DEP_1)
	v_fma_f64 v[84:85], v[89:90], v[93:94], v[84:85]
	v_movrels_b32_e32 v90, v34
	s_mov_b32 m0, s8
	s_add_i32 s8, s2, -1
	v_movrels_b32_e32 v89, v34
	v_fma_f64 v[84:85], v[89:90], v[95:96], v[84:85]
	v_add_nc_u32_e32 v89, s2, v88
	s_delay_alu instid0(VALU_DEP_1) | instskip(SKIP_2) | instid1(SALU_CYCLE_1)
	v_cmp_eq_u32_e32 vcc_lo, 5, v89
	v_mov_b32_e32 v89, s8
	s_or_b32 s6, vcc_lo, s6
	s_and_not1_b32 exec_lo, exec_lo, s6
	s_cbranch_execnz .LBB72_59
; %bb.60:
	s_or_b32 exec_lo, exec_lo, s6
.LBB72_61:
	s_delay_alu instid0(SALU_CYCLE_1) | instskip(SKIP_3) | instid1(VALU_DEP_1)
	s_or_b32 exec_lo, exec_lo, s1
	v_and_b32_e32 v52, 7, v87
	s_mov_b32 s3, 0
	s_mov_b32 s2, exec_lo
	v_cmpx_ne_u32_e32 0, v52
	s_cbranch_execz .LBB72_65
; %bb.62:
	v_lshl_add_u32 v53, v89, 3, 0x50
	v_mov_b32_e32 v54, 0
.LBB72_63:                              ; =>This Inner Loop Header: Depth=1
	v_cmp_eq_u32_e32 vcc_lo, 1, v89
	v_cmp_eq_u32_e64 s1, 2, v89
	v_dual_cndmask_b32 v55, v35, v37 :: v_dual_add_nc_u32 v52, -1, v52
	v_cndmask_b32_e32 v56, v34, v36, vcc_lo
	v_cmp_eq_u32_e32 vcc_lo, 3, v89
	s_delay_alu instid0(VALU_DEP_3) | instskip(NEXT) | instid1(VALU_DEP_3)
	v_cndmask_b32_e64 v55, v55, v39, s1
	v_cndmask_b32_e64 v56, v56, v38, s1
	v_cmp_eq_u32_e64 s1, 4, v89
	s_delay_alu instid0(VALU_DEP_2) | instskip(SKIP_1) | instid1(VALU_DEP_2)
	v_dual_cndmask_b32 v55, v55, v41 :: v_dual_cndmask_b32 v56, v56, v40
	v_cmp_eq_u32_e32 vcc_lo, 5, v89
	v_cndmask_b32_e64 v57, v55, v43, s1
	s_delay_alu instid0(VALU_DEP_3)
	v_cndmask_b32_e64 v58, v56, v42, s1
	ds_load_b64 v[55:56], v53
	v_cmp_eq_u32_e64 s1, 6, v89
	v_add_nc_u32_e32 v53, 8, v53
	v_dual_cndmask_b32 v57, v57, v45 :: v_dual_cndmask_b32 v58, v58, v44
	v_cmp_eq_u32_e32 vcc_lo, 7, v89
	s_delay_alu instid0(VALU_DEP_2) | instskip(NEXT) | instid1(VALU_DEP_3)
	v_cndmask_b32_e64 v57, v57, v47, s1
	v_cndmask_b32_e64 v58, v58, v46, s1
	v_cmp_eq_u32_e64 s1, 8, v89
	s_delay_alu instid0(VALU_DEP_3) | instskip(NEXT) | instid1(VALU_DEP_3)
	v_cndmask_b32_e32 v57, v57, v49, vcc_lo
	v_cndmask_b32_e32 v59, v58, v48, vcc_lo
	v_cmp_eq_u32_e32 vcc_lo, 0, v52
	s_delay_alu instid0(VALU_DEP_3) | instskip(NEXT) | instid1(VALU_DEP_3)
	v_cndmask_b32_e64 v58, v57, v51, s1
	v_cndmask_b32_e64 v57, v59, v50, s1
	v_add_co_u32 v89, s1, v89, 1
	s_delay_alu instid0(VALU_DEP_1) | instskip(SKIP_1) | instid1(VALU_DEP_3)
	v_add_co_ci_u32_e64 v54, s1, 0, v54, s1
	s_waitcnt lgkmcnt(0)
	v_fma_f64 v[84:85], v[57:58], v[55:56], v[84:85]
	s_or_b32 s3, vcc_lo, s3
	s_delay_alu instid0(SALU_CYCLE_1)
	s_and_not1_b32 exec_lo, exec_lo, s3
	s_cbranch_execnz .LBB72_63
; %bb.64:
	s_or_b32 exec_lo, exec_lo, s3
.LBB72_65:
	s_delay_alu instid0(SALU_CYCLE_1)
	s_or_b32 exec_lo, exec_lo, s2
.LBB72_66:
	s_delay_alu instid0(SALU_CYCLE_1)
	s_or_b32 exec_lo, exec_lo, s5
	v_mov_b32_e32 v40, 0
	ds_load_b64 v[40:41], v40 offset:24
	s_waitcnt lgkmcnt(0)
	v_mul_f64 v[40:41], v[84:85], v[40:41]
.LBB72_67:
	s_or_b32 exec_lo, exec_lo, s4
	v_cmp_lt_u32_e64 s1, 2, v0
	ds_store_b64 v86, v[38:39]
	s_waitcnt lgkmcnt(0)
	s_barrier
	buffer_gl0_inv
	s_and_saveexec_b32 s4, s1
	s_cbranch_execz .LBB72_83
; %bb.68:
	s_and_not1_b32 vcc_lo, exec_lo, s9
	s_cbranch_vccnz .LBB72_70
; %bb.69:
	v_cmp_eq_u32_e32 vcc_lo, 1, v0
	v_dual_cndmask_b32 v84, v35, v37 :: v_dual_cndmask_b32 v85, v34, v36
	v_cmp_eq_u32_e32 vcc_lo, 2, v0
	s_delay_alu instid0(VALU_DEP_2) | instskip(SKIP_1) | instid1(VALU_DEP_2)
	v_dual_cndmask_b32 v84, v84, v39 :: v_dual_cndmask_b32 v85, v85, v38
	v_cmp_eq_u32_e32 vcc_lo, 3, v0
	v_dual_cndmask_b32 v84, v84, v41 :: v_dual_cndmask_b32 v85, v85, v40
	v_cmp_eq_u32_e32 vcc_lo, 4, v0
	s_delay_alu instid0(VALU_DEP_2) | instskip(SKIP_1) | instid1(VALU_DEP_2)
	v_dual_cndmask_b32 v84, v84, v43 :: v_dual_cndmask_b32 v85, v85, v42
	v_cmp_eq_u32_e32 vcc_lo, 5, v0
	v_dual_cndmask_b32 v87, v84, v45 :: v_dual_cndmask_b32 v88, v85, v44
	v_cmp_eq_u32_e32 vcc_lo, 6, v0
	ds_load_b64 v[84:85], v86
	v_dual_cndmask_b32 v87, v87, v47 :: v_dual_cndmask_b32 v88, v88, v46
	v_cmp_eq_u32_e32 vcc_lo, 7, v0
	s_delay_alu instid0(VALU_DEP_2) | instskip(NEXT) | instid1(VALU_DEP_3)
	v_cndmask_b32_e32 v87, v87, v49, vcc_lo
	v_cndmask_b32_e32 v89, v88, v48, vcc_lo
	v_cmp_eq_u32_e32 vcc_lo, 8, v0
	s_delay_alu instid0(VALU_DEP_2) | instskip(SKIP_1) | instid1(VALU_DEP_1)
	v_dual_cndmask_b32 v88, v87, v51 :: v_dual_cndmask_b32 v87, v89, v50
	s_waitcnt lgkmcnt(0)
	v_mul_f64 v[84:85], v[87:88], v[84:85]
	s_cbranch_execz .LBB72_71
	s_branch .LBB72_72
.LBB72_70:
                                        ; implicit-def: $vgpr84_vgpr85
.LBB72_71:
	ds_load_b64 v[84:85], v86
.LBB72_72:
	s_and_saveexec_b32 s5, s0
	s_cbranch_execz .LBB72_82
; %bb.73:
	v_dual_mov_b32 v89, 3 :: v_dual_add_nc_u32 v88, -4, v0
	v_add_nc_u32_e32 v87, -3, v0
	s_mov_b32 s0, exec_lo
	s_delay_alu instid0(VALU_DEP_2)
	v_cmpx_lt_u32_e32 6, v88
	s_cbranch_execz .LBB72_77
; %bb.74:
	s_delay_alu instid0(VALU_DEP_2) | instskip(SKIP_3) | instid1(VALU_DEP_1)
	v_and_b32_e32 v88, -8, v87
	s_mov_b32 s6, 0
	s_mov_b64 s[2:3], 10
	s_movk_i32 s7, 0x68
	v_sub_nc_u32_e32 v88, 0, v88
.LBB72_75:                              ; =>This Inner Loop Header: Depth=1
	v_mov_b32_e32 v99, s7
	s_lshl_b32 s8, s2, 1
	s_delay_alu instid0(SALU_CYCLE_1)
	s_add_i32 m0, s8, -13
	v_movrels_b32_e32 v98, v34
	ds_load_2addr_b64 v[89:92], v99 offset1:1
	ds_load_2addr_b64 v[93:96], v99 offset0:2 offset1:3
	s_add_i32 m0, s8, -14
	v_movrels_b32_e32 v97, v34
	s_add_i32 m0, s8, -11
	s_waitcnt lgkmcnt(1)
	s_delay_alu instid0(VALU_DEP_1) | instskip(SKIP_4) | instid1(VALU_DEP_1)
	v_fma_f64 v[84:85], v[97:98], v[89:90], v[84:85]
	v_movrels_b32_e32 v90, v34
	s_add_i32 m0, s8, -12
	v_movrels_b32_e32 v89, v34
	s_add_i32 m0, s8, -9
	v_fma_f64 v[84:85], v[89:90], v[91:92], v[84:85]
	v_movrels_b32_e32 v90, v34
	s_add_i32 m0, s8, -10
	v_movrels_b32_e32 v89, v34
	s_add_i32 m0, s8, -7
	s_waitcnt lgkmcnt(0)
	s_delay_alu instid0(VALU_DEP_1)
	v_fma_f64 v[84:85], v[89:90], v[93:94], v[84:85]
	v_movrels_b32_e32 v90, v34
	s_add_i32 m0, s8, -8
	v_movrels_b32_e32 v89, v34
	s_add_i32 m0, s8, -5
	;; [unrolled: 2-line block ×4, first 2 shown]
	v_fma_f64 v[84:85], v[89:90], v[95:96], v[84:85]
	ds_load_2addr_b64 v[89:92], v99 offset0:4 offset1:5
	ds_load_2addr_b64 v[93:96], v99 offset0:6 offset1:7
	s_waitcnt lgkmcnt(1)
	v_fma_f64 v[84:85], v[97:98], v[89:90], v[84:85]
	v_movrels_b32_e32 v90, v34
	s_add_i32 m0, s8, -4
	v_movrels_b32_e32 v89, v34
	s_add_i32 m0, s8, -1
	s_delay_alu instid0(VALU_DEP_1)
	v_fma_f64 v[84:85], v[89:90], v[91:92], v[84:85]
	v_movrels_b32_e32 v90, v34
	s_add_i32 m0, s8, -2
	s_add_u32 s2, s2, 8
	v_movrels_b32_e32 v89, v34
	s_mov_b32 m0, s8
	s_addc_u32 s3, s3, 0
	s_add_i32 s8, s2, -7
	s_add_i32 s7, s7, 64
	s_waitcnt lgkmcnt(0)
	s_delay_alu instid0(VALU_DEP_3) | instskip(SKIP_2) | instid1(VALU_DEP_1)
	v_fma_f64 v[84:85], v[89:90], v[93:94], v[84:85]
	v_movrels_b32_e32 v90, v35
	v_movrels_b32_e32 v89, v34
	v_fma_f64 v[84:85], v[89:90], v[95:96], v[84:85]
	v_add_nc_u32_e32 v89, s2, v88
	s_delay_alu instid0(VALU_DEP_1) | instskip(SKIP_2) | instid1(SALU_CYCLE_1)
	v_cmp_eq_u32_e32 vcc_lo, 10, v89
	v_mov_b32_e32 v89, s8
	s_or_b32 s6, vcc_lo, s6
	s_and_not1_b32 exec_lo, exec_lo, s6
	s_cbranch_execnz .LBB72_75
; %bb.76:
	s_or_b32 exec_lo, exec_lo, s6
.LBB72_77:
	s_delay_alu instid0(SALU_CYCLE_1) | instskip(SKIP_3) | instid1(VALU_DEP_1)
	s_or_b32 exec_lo, exec_lo, s0
	v_and_b32_e32 v52, 7, v87
	s_mov_b32 s3, 0
	s_mov_b32 s2, exec_lo
	v_cmpx_ne_u32_e32 0, v52
	s_cbranch_execz .LBB72_81
; %bb.78:
	v_lshl_add_u32 v53, v89, 3, 0x50
	v_mov_b32_e32 v54, 0
.LBB72_79:                              ; =>This Inner Loop Header: Depth=1
	v_cmp_eq_u32_e32 vcc_lo, 1, v89
	v_cmp_eq_u32_e64 s0, 2, v89
	v_dual_cndmask_b32 v55, v35, v37 :: v_dual_add_nc_u32 v52, -1, v52
	v_cndmask_b32_e32 v56, v34, v36, vcc_lo
	v_cmp_eq_u32_e32 vcc_lo, 3, v89
	s_delay_alu instid0(VALU_DEP_3) | instskip(NEXT) | instid1(VALU_DEP_3)
	v_cndmask_b32_e64 v55, v55, v39, s0
	v_cndmask_b32_e64 v56, v56, v38, s0
	v_cmp_eq_u32_e64 s0, 4, v89
	s_delay_alu instid0(VALU_DEP_2) | instskip(SKIP_1) | instid1(VALU_DEP_2)
	v_dual_cndmask_b32 v55, v55, v41 :: v_dual_cndmask_b32 v56, v56, v40
	v_cmp_eq_u32_e32 vcc_lo, 5, v89
	v_cndmask_b32_e64 v57, v55, v43, s0
	s_delay_alu instid0(VALU_DEP_3)
	v_cndmask_b32_e64 v58, v56, v42, s0
	ds_load_b64 v[55:56], v53
	v_cmp_eq_u32_e64 s0, 6, v89
	v_add_nc_u32_e32 v53, 8, v53
	v_dual_cndmask_b32 v57, v57, v45 :: v_dual_cndmask_b32 v58, v58, v44
	v_cmp_eq_u32_e32 vcc_lo, 7, v89
	s_delay_alu instid0(VALU_DEP_2) | instskip(NEXT) | instid1(VALU_DEP_3)
	v_cndmask_b32_e64 v57, v57, v47, s0
	v_cndmask_b32_e64 v58, v58, v46, s0
	v_cmp_eq_u32_e64 s0, 8, v89
	s_delay_alu instid0(VALU_DEP_3) | instskip(NEXT) | instid1(VALU_DEP_3)
	v_cndmask_b32_e32 v57, v57, v49, vcc_lo
	v_cndmask_b32_e32 v59, v58, v48, vcc_lo
	v_cmp_eq_u32_e32 vcc_lo, 0, v52
	s_delay_alu instid0(VALU_DEP_3) | instskip(NEXT) | instid1(VALU_DEP_3)
	v_cndmask_b32_e64 v58, v57, v51, s0
	v_cndmask_b32_e64 v57, v59, v50, s0
	v_add_co_u32 v89, s0, v89, 1
	s_delay_alu instid0(VALU_DEP_1) | instskip(SKIP_1) | instid1(VALU_DEP_3)
	v_add_co_ci_u32_e64 v54, s0, 0, v54, s0
	s_waitcnt lgkmcnt(0)
	v_fma_f64 v[84:85], v[57:58], v[55:56], v[84:85]
	s_or_b32 s3, vcc_lo, s3
	s_delay_alu instid0(SALU_CYCLE_1)
	s_and_not1_b32 exec_lo, exec_lo, s3
	s_cbranch_execnz .LBB72_79
; %bb.80:
	s_or_b32 exec_lo, exec_lo, s3
.LBB72_81:
	s_delay_alu instid0(SALU_CYCLE_1)
	s_or_b32 exec_lo, exec_lo, s2
.LBB72_82:
	s_delay_alu instid0(SALU_CYCLE_1)
	s_or_b32 exec_lo, exec_lo, s5
	v_mov_b32_e32 v38, 0
	ds_load_b64 v[38:39], v38 offset:16
	s_waitcnt lgkmcnt(0)
	v_mul_f64 v[38:39], v[84:85], v[38:39]
.LBB72_83:
	s_or_b32 exec_lo, exec_lo, s4
	v_cmp_lt_u32_e64 s0, 1, v0
	ds_store_b64 v86, v[36:37]
	s_waitcnt lgkmcnt(0)
	s_barrier
	buffer_gl0_inv
	s_and_saveexec_b32 s4, s0
	s_cbranch_execz .LBB72_99
; %bb.84:
	s_and_not1_b32 vcc_lo, exec_lo, s9
	s_cbranch_vccnz .LBB72_86
; %bb.85:
	v_cmp_eq_u32_e32 vcc_lo, 1, v0
	v_dual_cndmask_b32 v84, v35, v37 :: v_dual_cndmask_b32 v85, v34, v36
	v_cmp_eq_u32_e32 vcc_lo, 2, v0
	s_delay_alu instid0(VALU_DEP_2) | instskip(SKIP_1) | instid1(VALU_DEP_2)
	v_dual_cndmask_b32 v84, v84, v39 :: v_dual_cndmask_b32 v85, v85, v38
	v_cmp_eq_u32_e32 vcc_lo, 3, v0
	v_dual_cndmask_b32 v84, v84, v41 :: v_dual_cndmask_b32 v85, v85, v40
	v_cmp_eq_u32_e32 vcc_lo, 4, v0
	s_delay_alu instid0(VALU_DEP_2) | instskip(SKIP_1) | instid1(VALU_DEP_2)
	v_dual_cndmask_b32 v84, v84, v43 :: v_dual_cndmask_b32 v85, v85, v42
	v_cmp_eq_u32_e32 vcc_lo, 5, v0
	v_dual_cndmask_b32 v87, v84, v45 :: v_dual_cndmask_b32 v88, v85, v44
	v_cmp_eq_u32_e32 vcc_lo, 6, v0
	ds_load_b64 v[84:85], v86
	v_dual_cndmask_b32 v87, v87, v47 :: v_dual_cndmask_b32 v88, v88, v46
	v_cmp_eq_u32_e32 vcc_lo, 7, v0
	s_delay_alu instid0(VALU_DEP_2) | instskip(NEXT) | instid1(VALU_DEP_3)
	v_cndmask_b32_e32 v87, v87, v49, vcc_lo
	v_cndmask_b32_e32 v89, v88, v48, vcc_lo
	v_cmp_eq_u32_e32 vcc_lo, 8, v0
	s_delay_alu instid0(VALU_DEP_2) | instskip(SKIP_1) | instid1(VALU_DEP_1)
	v_dual_cndmask_b32 v88, v87, v51 :: v_dual_cndmask_b32 v87, v89, v50
	s_waitcnt lgkmcnt(0)
	v_mul_f64 v[84:85], v[87:88], v[84:85]
	s_cbranch_execz .LBB72_87
	s_branch .LBB72_88
.LBB72_86:
                                        ; implicit-def: $vgpr84_vgpr85
.LBB72_87:
	ds_load_b64 v[84:85], v86
.LBB72_88:
	s_and_saveexec_b32 s5, s1
	s_cbranch_execz .LBB72_98
; %bb.89:
	v_dual_mov_b32 v89, 2 :: v_dual_add_nc_u32 v88, -3, v0
	v_add_nc_u32_e32 v87, -2, v0
	s_mov_b32 s1, exec_lo
	s_delay_alu instid0(VALU_DEP_2)
	v_cmpx_lt_u32_e32 6, v88
	s_cbranch_execz .LBB72_93
; %bb.90:
	s_delay_alu instid0(VALU_DEP_2) | instskip(SKIP_3) | instid1(VALU_DEP_1)
	v_and_b32_e32 v88, -8, v87
	s_mov_b32 s6, 0
	s_mov_b64 s[2:3], 9
	s_movk_i32 s7, 0x60
	v_sub_nc_u32_e32 v88, 0, v88
.LBB72_91:                              ; =>This Inner Loop Header: Depth=1
	v_mov_b32_e32 v99, s7
	s_lshl_b32 s8, s2, 1
	s_delay_alu instid0(SALU_CYCLE_1)
	s_add_i32 m0, s8, -13
	v_movrels_b32_e32 v98, v34
	ds_load_b128 v[89:92], v99
	ds_load_b128 v[93:96], v99 offset:16
	s_add_i32 m0, s8, -14
	v_movrels_b32_e32 v97, v34
	s_add_i32 m0, s8, -11
	s_waitcnt lgkmcnt(1)
	s_delay_alu instid0(VALU_DEP_1) | instskip(SKIP_4) | instid1(VALU_DEP_1)
	v_fma_f64 v[84:85], v[97:98], v[89:90], v[84:85]
	v_movrels_b32_e32 v90, v34
	s_add_i32 m0, s8, -12
	v_movrels_b32_e32 v89, v34
	s_add_i32 m0, s8, -9
	v_fma_f64 v[84:85], v[89:90], v[91:92], v[84:85]
	v_movrels_b32_e32 v90, v34
	s_add_i32 m0, s8, -10
	v_movrels_b32_e32 v89, v34
	s_add_i32 m0, s8, -7
	s_waitcnt lgkmcnt(0)
	s_delay_alu instid0(VALU_DEP_1)
	v_fma_f64 v[84:85], v[89:90], v[93:94], v[84:85]
	v_movrels_b32_e32 v90, v34
	s_add_i32 m0, s8, -8
	v_movrels_b32_e32 v89, v34
	s_add_i32 m0, s8, -5
	;; [unrolled: 2-line block ×4, first 2 shown]
	v_fma_f64 v[84:85], v[89:90], v[95:96], v[84:85]
	ds_load_b128 v[89:92], v99 offset:32
	ds_load_b128 v[93:96], v99 offset:48
	s_waitcnt lgkmcnt(1)
	v_fma_f64 v[84:85], v[97:98], v[89:90], v[84:85]
	v_movrels_b32_e32 v90, v34
	s_add_i32 m0, s8, -4
	v_movrels_b32_e32 v89, v34
	s_add_i32 m0, s8, -1
	s_delay_alu instid0(VALU_DEP_1)
	v_fma_f64 v[84:85], v[89:90], v[91:92], v[84:85]
	v_movrels_b32_e32 v90, v34
	s_add_i32 m0, s8, -2
	s_add_u32 s2, s2, 8
	v_movrels_b32_e32 v89, v34
	s_mov_b32 m0, s8
	s_addc_u32 s3, s3, 0
	s_add_i32 s8, s2, -7
	s_add_i32 s7, s7, 64
	s_waitcnt lgkmcnt(0)
	s_delay_alu instid0(VALU_DEP_3) | instskip(SKIP_2) | instid1(VALU_DEP_1)
	v_fma_f64 v[84:85], v[89:90], v[93:94], v[84:85]
	v_movrels_b32_e32 v90, v35
	v_movrels_b32_e32 v89, v34
	v_fma_f64 v[84:85], v[89:90], v[95:96], v[84:85]
	v_add_nc_u32_e32 v89, s2, v88
	s_delay_alu instid0(VALU_DEP_1) | instskip(SKIP_2) | instid1(SALU_CYCLE_1)
	v_cmp_eq_u32_e32 vcc_lo, 9, v89
	v_mov_b32_e32 v89, s8
	s_or_b32 s6, vcc_lo, s6
	s_and_not1_b32 exec_lo, exec_lo, s6
	s_cbranch_execnz .LBB72_91
; %bb.92:
	s_or_b32 exec_lo, exec_lo, s6
.LBB72_93:
	s_delay_alu instid0(SALU_CYCLE_1) | instskip(SKIP_3) | instid1(VALU_DEP_1)
	s_or_b32 exec_lo, exec_lo, s1
	v_and_b32_e32 v52, 7, v87
	s_mov_b32 s3, 0
	s_mov_b32 s2, exec_lo
	v_cmpx_ne_u32_e32 0, v52
	s_cbranch_execz .LBB72_97
; %bb.94:
	v_lshl_add_u32 v53, v89, 3, 0x50
	v_mov_b32_e32 v54, 0
.LBB72_95:                              ; =>This Inner Loop Header: Depth=1
	v_cmp_eq_u32_e32 vcc_lo, 1, v89
	v_cmp_eq_u32_e64 s1, 2, v89
	v_dual_cndmask_b32 v55, v35, v37 :: v_dual_add_nc_u32 v52, -1, v52
	v_cndmask_b32_e32 v56, v34, v36, vcc_lo
	v_cmp_eq_u32_e32 vcc_lo, 3, v89
	s_delay_alu instid0(VALU_DEP_3) | instskip(NEXT) | instid1(VALU_DEP_3)
	v_cndmask_b32_e64 v55, v55, v39, s1
	v_cndmask_b32_e64 v56, v56, v38, s1
	v_cmp_eq_u32_e64 s1, 4, v89
	s_delay_alu instid0(VALU_DEP_2) | instskip(SKIP_1) | instid1(VALU_DEP_2)
	v_dual_cndmask_b32 v55, v55, v41 :: v_dual_cndmask_b32 v56, v56, v40
	v_cmp_eq_u32_e32 vcc_lo, 5, v89
	v_cndmask_b32_e64 v57, v55, v43, s1
	s_delay_alu instid0(VALU_DEP_3)
	v_cndmask_b32_e64 v58, v56, v42, s1
	ds_load_b64 v[55:56], v53
	v_cmp_eq_u32_e64 s1, 6, v89
	v_add_nc_u32_e32 v53, 8, v53
	v_dual_cndmask_b32 v57, v57, v45 :: v_dual_cndmask_b32 v58, v58, v44
	v_cmp_eq_u32_e32 vcc_lo, 7, v89
	s_delay_alu instid0(VALU_DEP_2) | instskip(NEXT) | instid1(VALU_DEP_3)
	v_cndmask_b32_e64 v57, v57, v47, s1
	v_cndmask_b32_e64 v58, v58, v46, s1
	v_cmp_eq_u32_e64 s1, 8, v89
	s_delay_alu instid0(VALU_DEP_3) | instskip(NEXT) | instid1(VALU_DEP_3)
	v_cndmask_b32_e32 v57, v57, v49, vcc_lo
	v_cndmask_b32_e32 v59, v58, v48, vcc_lo
	v_cmp_eq_u32_e32 vcc_lo, 0, v52
	s_delay_alu instid0(VALU_DEP_3) | instskip(NEXT) | instid1(VALU_DEP_3)
	v_cndmask_b32_e64 v58, v57, v51, s1
	v_cndmask_b32_e64 v57, v59, v50, s1
	v_add_co_u32 v89, s1, v89, 1
	s_delay_alu instid0(VALU_DEP_1) | instskip(SKIP_1) | instid1(VALU_DEP_3)
	v_add_co_ci_u32_e64 v54, s1, 0, v54, s1
	s_waitcnt lgkmcnt(0)
	v_fma_f64 v[84:85], v[57:58], v[55:56], v[84:85]
	s_or_b32 s3, vcc_lo, s3
	s_delay_alu instid0(SALU_CYCLE_1)
	s_and_not1_b32 exec_lo, exec_lo, s3
	s_cbranch_execnz .LBB72_95
; %bb.96:
	s_or_b32 exec_lo, exec_lo, s3
.LBB72_97:
	s_delay_alu instid0(SALU_CYCLE_1)
	s_or_b32 exec_lo, exec_lo, s2
.LBB72_98:
	s_delay_alu instid0(SALU_CYCLE_1)
	s_or_b32 exec_lo, exec_lo, s5
	v_mov_b32_e32 v36, 0
	ds_load_b64 v[36:37], v36 offset:8
	s_waitcnt lgkmcnt(0)
	v_mul_f64 v[36:37], v[84:85], v[36:37]
.LBB72_99:
	s_or_b32 exec_lo, exec_lo, s4
	s_mov_b32 s2, 0
	s_mov_b32 s3, exec_lo
	ds_store_b64 v86, v[34:35]
	s_waitcnt lgkmcnt(0)
	s_barrier
	buffer_gl0_inv
	v_cmpx_ne_u32_e32 0, v0
	s_cbranch_execz .LBB72_115
; %bb.100:
	s_and_not1_b32 vcc_lo, exec_lo, s9
	s_cbranch_vccnz .LBB72_102
; %bb.101:
	v_cmp_eq_u32_e32 vcc_lo, 1, v0
	v_dual_cndmask_b32 v84, v35, v37 :: v_dual_cndmask_b32 v85, v34, v36
	v_cmp_eq_u32_e32 vcc_lo, 2, v0
	s_delay_alu instid0(VALU_DEP_2) | instskip(SKIP_1) | instid1(VALU_DEP_2)
	v_dual_cndmask_b32 v84, v84, v39 :: v_dual_cndmask_b32 v85, v85, v38
	v_cmp_eq_u32_e32 vcc_lo, 3, v0
	v_dual_cndmask_b32 v84, v84, v41 :: v_dual_cndmask_b32 v85, v85, v40
	v_cmp_eq_u32_e32 vcc_lo, 4, v0
	s_delay_alu instid0(VALU_DEP_2) | instskip(SKIP_1) | instid1(VALU_DEP_2)
	v_dual_cndmask_b32 v84, v84, v43 :: v_dual_cndmask_b32 v85, v85, v42
	v_cmp_eq_u32_e32 vcc_lo, 5, v0
	v_dual_cndmask_b32 v87, v84, v45 :: v_dual_cndmask_b32 v88, v85, v44
	v_cmp_eq_u32_e32 vcc_lo, 6, v0
	ds_load_b64 v[84:85], v86
	v_dual_cndmask_b32 v87, v87, v47 :: v_dual_cndmask_b32 v88, v88, v46
	v_cmp_eq_u32_e32 vcc_lo, 7, v0
	s_delay_alu instid0(VALU_DEP_2) | instskip(NEXT) | instid1(VALU_DEP_3)
	v_cndmask_b32_e32 v87, v87, v49, vcc_lo
	v_cndmask_b32_e32 v89, v88, v48, vcc_lo
	v_cmp_eq_u32_e32 vcc_lo, 8, v0
	s_delay_alu instid0(VALU_DEP_2) | instskip(SKIP_1) | instid1(VALU_DEP_1)
	v_dual_cndmask_b32 v88, v87, v51 :: v_dual_cndmask_b32 v87, v89, v50
	s_waitcnt lgkmcnt(0)
	v_mul_f64 v[84:85], v[87:88], v[84:85]
	s_cbranch_execz .LBB72_103
	s_branch .LBB72_104
.LBB72_102:
                                        ; implicit-def: $vgpr84_vgpr85
.LBB72_103:
	ds_load_b64 v[84:85], v86
.LBB72_104:
	s_and_saveexec_b32 s4, s0
	s_cbranch_execz .LBB72_114
; %bb.105:
	v_dual_mov_b32 v89, 1 :: v_dual_add_nc_u32 v88, -2, v0
	v_add_nc_u32_e32 v87, -1, v0
	s_mov_b32 s5, exec_lo
	s_delay_alu instid0(VALU_DEP_2)
	v_cmpx_lt_u32_e32 6, v88
	s_cbranch_execz .LBB72_109
; %bb.106:
	s_delay_alu instid0(VALU_DEP_2) | instskip(SKIP_3) | instid1(VALU_DEP_1)
	v_and_b32_e32 v88, -8, v87
	s_mov_b32 s6, 0
	s_mov_b64 s[0:1], 8
	s_movk_i32 s7, 0x58
	v_sub_nc_u32_e32 v88, 0, v88
.LBB72_107:                             ; =>This Inner Loop Header: Depth=1
	v_mov_b32_e32 v99, s7
	s_lshl_b32 s8, s0, 1
	s_delay_alu instid0(SALU_CYCLE_1)
	s_add_i32 m0, s8, -13
	v_movrels_b32_e32 v98, v34
	ds_load_2addr_b64 v[89:92], v99 offset1:1
	ds_load_2addr_b64 v[93:96], v99 offset0:2 offset1:3
	s_add_i32 m0, s8, -14
	v_movrels_b32_e32 v97, v34
	s_add_i32 m0, s8, -11
	s_waitcnt lgkmcnt(1)
	s_delay_alu instid0(VALU_DEP_1) | instskip(SKIP_4) | instid1(VALU_DEP_1)
	v_fma_f64 v[84:85], v[97:98], v[89:90], v[84:85]
	v_movrels_b32_e32 v90, v34
	s_add_i32 m0, s8, -12
	v_movrels_b32_e32 v89, v34
	s_add_i32 m0, s8, -9
	v_fma_f64 v[84:85], v[89:90], v[91:92], v[84:85]
	v_movrels_b32_e32 v90, v34
	s_add_i32 m0, s8, -10
	v_movrels_b32_e32 v89, v34
	s_add_i32 m0, s8, -7
	s_waitcnt lgkmcnt(0)
	s_delay_alu instid0(VALU_DEP_1)
	v_fma_f64 v[84:85], v[89:90], v[93:94], v[84:85]
	v_movrels_b32_e32 v90, v34
	s_add_i32 m0, s8, -8
	v_movrels_b32_e32 v89, v34
	s_add_i32 m0, s8, -5
	;; [unrolled: 2-line block ×4, first 2 shown]
	v_fma_f64 v[84:85], v[89:90], v[95:96], v[84:85]
	ds_load_2addr_b64 v[89:92], v99 offset0:4 offset1:5
	ds_load_2addr_b64 v[93:96], v99 offset0:6 offset1:7
	s_waitcnt lgkmcnt(1)
	v_fma_f64 v[84:85], v[97:98], v[89:90], v[84:85]
	v_movrels_b32_e32 v90, v34
	s_add_i32 m0, s8, -4
	v_movrels_b32_e32 v89, v34
	s_add_i32 m0, s8, -1
	s_delay_alu instid0(VALU_DEP_1)
	v_fma_f64 v[84:85], v[89:90], v[91:92], v[84:85]
	v_movrels_b32_e32 v90, v34
	s_add_i32 m0, s8, -2
	s_add_u32 s0, s0, 8
	v_movrels_b32_e32 v89, v34
	s_mov_b32 m0, s8
	s_addc_u32 s1, s1, 0
	s_add_i32 s8, s0, -7
	s_add_i32 s7, s7, 64
	s_waitcnt lgkmcnt(0)
	s_delay_alu instid0(VALU_DEP_3) | instskip(SKIP_2) | instid1(VALU_DEP_1)
	v_fma_f64 v[84:85], v[89:90], v[93:94], v[84:85]
	v_movrels_b32_e32 v90, v35
	v_movrels_b32_e32 v89, v34
	v_fma_f64 v[84:85], v[89:90], v[95:96], v[84:85]
	v_add_nc_u32_e32 v89, s0, v88
	s_delay_alu instid0(VALU_DEP_1) | instskip(SKIP_2) | instid1(SALU_CYCLE_1)
	v_cmp_eq_u32_e32 vcc_lo, 8, v89
	v_mov_b32_e32 v89, s8
	s_or_b32 s6, vcc_lo, s6
	s_and_not1_b32 exec_lo, exec_lo, s6
	s_cbranch_execnz .LBB72_107
; %bb.108:
	s_or_b32 exec_lo, exec_lo, s6
.LBB72_109:
	s_delay_alu instid0(SALU_CYCLE_1) | instskip(SKIP_3) | instid1(VALU_DEP_1)
	s_or_b32 exec_lo, exec_lo, s5
	v_and_b32_e32 v52, 7, v87
	s_mov_b32 s5, 0
	s_mov_b32 s1, exec_lo
	v_cmpx_ne_u32_e32 0, v52
	s_cbranch_execz .LBB72_113
; %bb.110:
	v_lshl_add_u32 v53, v89, 3, 0x50
	v_mov_b32_e32 v54, 0
.LBB72_111:                             ; =>This Inner Loop Header: Depth=1
	v_cmp_eq_u32_e32 vcc_lo, 1, v89
	v_cmp_eq_u32_e64 s0, 2, v89
	v_dual_cndmask_b32 v55, v35, v37 :: v_dual_add_nc_u32 v52, -1, v52
	v_cndmask_b32_e32 v56, v34, v36, vcc_lo
	v_cmp_eq_u32_e32 vcc_lo, 3, v89
	s_delay_alu instid0(VALU_DEP_3) | instskip(NEXT) | instid1(VALU_DEP_3)
	v_cndmask_b32_e64 v55, v55, v39, s0
	v_cndmask_b32_e64 v56, v56, v38, s0
	v_cmp_eq_u32_e64 s0, 4, v89
	s_delay_alu instid0(VALU_DEP_2) | instskip(SKIP_1) | instid1(VALU_DEP_2)
	v_dual_cndmask_b32 v55, v55, v41 :: v_dual_cndmask_b32 v56, v56, v40
	v_cmp_eq_u32_e32 vcc_lo, 5, v89
	v_cndmask_b32_e64 v57, v55, v43, s0
	s_delay_alu instid0(VALU_DEP_3)
	v_cndmask_b32_e64 v58, v56, v42, s0
	ds_load_b64 v[55:56], v53
	v_cmp_eq_u32_e64 s0, 6, v89
	v_add_nc_u32_e32 v53, 8, v53
	v_dual_cndmask_b32 v57, v57, v45 :: v_dual_cndmask_b32 v58, v58, v44
	v_cmp_eq_u32_e32 vcc_lo, 7, v89
	s_delay_alu instid0(VALU_DEP_2) | instskip(NEXT) | instid1(VALU_DEP_3)
	v_cndmask_b32_e64 v57, v57, v47, s0
	v_cndmask_b32_e64 v58, v58, v46, s0
	v_cmp_eq_u32_e64 s0, 8, v89
	s_delay_alu instid0(VALU_DEP_3) | instskip(NEXT) | instid1(VALU_DEP_3)
	v_cndmask_b32_e32 v57, v57, v49, vcc_lo
	v_cndmask_b32_e32 v59, v58, v48, vcc_lo
	v_cmp_eq_u32_e32 vcc_lo, 0, v52
	s_delay_alu instid0(VALU_DEP_3) | instskip(NEXT) | instid1(VALU_DEP_3)
	v_cndmask_b32_e64 v58, v57, v51, s0
	v_cndmask_b32_e64 v57, v59, v50, s0
	v_add_co_u32 v89, s0, v89, 1
	s_delay_alu instid0(VALU_DEP_1) | instskip(SKIP_1) | instid1(VALU_DEP_3)
	v_add_co_ci_u32_e64 v54, s0, 0, v54, s0
	s_waitcnt lgkmcnt(0)
	v_fma_f64 v[84:85], v[57:58], v[55:56], v[84:85]
	s_or_b32 s5, vcc_lo, s5
	s_delay_alu instid0(SALU_CYCLE_1)
	s_and_not1_b32 exec_lo, exec_lo, s5
	s_cbranch_execnz .LBB72_111
; %bb.112:
	s_or_b32 exec_lo, exec_lo, s5
.LBB72_113:
	s_delay_alu instid0(SALU_CYCLE_1)
	s_or_b32 exec_lo, exec_lo, s1
.LBB72_114:
	s_delay_alu instid0(SALU_CYCLE_1)
	s_or_b32 exec_lo, exec_lo, s4
	v_mov_b32_e32 v34, 0
	ds_load_b64 v[34:35], v34
	s_waitcnt lgkmcnt(0)
	v_mul_f64 v[34:35], v[84:85], v[34:35]
.LBB72_115:
	s_or_b32 exec_lo, exec_lo, s3
	s_delay_alu instid0(SALU_CYCLE_1)
	s_and_b32 vcc_lo, exec_lo, s2
	s_cbranch_vccz .LBB72_191
.LBB72_116:
	v_cmp_eq_u32_e64 s0, 0, v0
	s_waitcnt vmcnt(7)
	ds_store_b64 v86, v[4:5]
	s_waitcnt vmcnt(0) lgkmcnt(0)
	s_barrier
	buffer_gl0_inv
	s_and_saveexec_b32 s1, s0
	s_cbranch_execz .LBB72_122
; %bb.117:
	s_and_b32 vcc_lo, exec_lo, s9
	s_cbranch_vccz .LBB72_119
; %bb.118:
	v_cmp_eq_u32_e32 vcc_lo, 1, v0
	v_dual_cndmask_b32 v5, v3, v5 :: v_dual_cndmask_b32 v4, v2, v4
	v_cmp_eq_u32_e32 vcc_lo, 2, v0
	s_delay_alu instid0(VALU_DEP_2) | instskip(SKIP_1) | instid1(VALU_DEP_2)
	v_dual_cndmask_b32 v5, v5, v7 :: v_dual_cndmask_b32 v4, v4, v6
	v_cmp_eq_u32_e32 vcc_lo, 3, v0
	v_dual_cndmask_b32 v5, v5, v9 :: v_dual_cndmask_b32 v4, v4, v8
	v_cmp_eq_u32_e32 vcc_lo, 4, v0
	s_delay_alu instid0(VALU_DEP_2) | instskip(SKIP_1) | instid1(VALU_DEP_2)
	v_dual_cndmask_b32 v5, v5, v11 :: v_dual_cndmask_b32 v4, v4, v10
	v_cmp_eq_u32_e32 vcc_lo, 5, v0
	v_dual_cndmask_b32 v20, v5, v13 :: v_dual_cndmask_b32 v21, v4, v12
	v_cmp_eq_u32_e32 vcc_lo, 6, v0
	ds_load_b64 v[4:5], v86
	v_dual_cndmask_b32 v20, v20, v15 :: v_dual_cndmask_b32 v21, v21, v14
	v_cmp_eq_u32_e32 vcc_lo, 7, v0
	s_delay_alu instid0(VALU_DEP_2) | instskip(NEXT) | instid1(VALU_DEP_3)
	v_cndmask_b32_e32 v20, v20, v17, vcc_lo
	v_cndmask_b32_e32 v22, v21, v16, vcc_lo
	v_cmp_eq_u32_e32 vcc_lo, 8, v0
	s_delay_alu instid0(VALU_DEP_2) | instskip(SKIP_1) | instid1(VALU_DEP_1)
	v_dual_cndmask_b32 v21, v20, v19 :: v_dual_cndmask_b32 v20, v22, v18
	s_waitcnt lgkmcnt(0)
	v_mul_f64 v[4:5], v[20:21], v[4:5]
	s_cbranch_execz .LBB72_120
	s_branch .LBB72_121
.LBB72_119:
                                        ; implicit-def: $vgpr4_vgpr5
.LBB72_120:
	ds_load_b64 v[4:5], v86
.LBB72_121:
	v_mov_b32_e32 v20, 0
	ds_load_b64 v[20:21], v20 offset:8
	s_waitcnt lgkmcnt(0)
	v_mul_f64 v[4:5], v[4:5], v[20:21]
.LBB72_122:
	s_or_b32 exec_lo, exec_lo, s1
	v_add_nc_u32_e32 v35, 1, v0
	v_cndmask_b32_e64 v34, 0, 1, s9
	s_mov_b32 s1, exec_lo
	ds_store_b64 v86, v[6:7]
	s_waitcnt lgkmcnt(0)
	s_barrier
	buffer_gl0_inv
	v_cmpx_gt_u32_e32 2, v0
	s_cbranch_execz .LBB72_130
; %bb.123:
	s_and_not1_b32 vcc_lo, exec_lo, s9
	s_cbranch_vccnz .LBB72_125
; %bb.124:
	v_cmp_eq_u32_e32 vcc_lo, 1, v0
	v_dual_cndmask_b32 v20, v3, v5 :: v_dual_cndmask_b32 v21, v2, v4
	v_cmp_eq_u32_e32 vcc_lo, 2, v0
	s_delay_alu instid0(VALU_DEP_2) | instskip(SKIP_1) | instid1(VALU_DEP_2)
	v_dual_cndmask_b32 v20, v20, v7 :: v_dual_cndmask_b32 v21, v21, v6
	v_cmp_eq_u32_e32 vcc_lo, 3, v0
	v_dual_cndmask_b32 v20, v20, v9 :: v_dual_cndmask_b32 v21, v21, v8
	v_cmp_eq_u32_e32 vcc_lo, 4, v0
	s_delay_alu instid0(VALU_DEP_2) | instskip(SKIP_1) | instid1(VALU_DEP_2)
	v_dual_cndmask_b32 v20, v20, v11 :: v_dual_cndmask_b32 v21, v21, v10
	v_cmp_eq_u32_e32 vcc_lo, 5, v0
	v_dual_cndmask_b32 v22, v20, v13 :: v_dual_cndmask_b32 v23, v21, v12
	v_cmp_eq_u32_e32 vcc_lo, 6, v0
	ds_load_b64 v[20:21], v86
	v_dual_cndmask_b32 v22, v22, v15 :: v_dual_cndmask_b32 v23, v23, v14
	v_cmp_eq_u32_e32 vcc_lo, 7, v0
	s_delay_alu instid0(VALU_DEP_2) | instskip(NEXT) | instid1(VALU_DEP_3)
	v_cndmask_b32_e32 v22, v22, v17, vcc_lo
	v_cndmask_b32_e32 v24, v23, v16, vcc_lo
	v_cmp_eq_u32_e32 vcc_lo, 8, v0
	s_delay_alu instid0(VALU_DEP_2) | instskip(SKIP_1) | instid1(VALU_DEP_1)
	v_dual_cndmask_b32 v23, v22, v19 :: v_dual_cndmask_b32 v22, v24, v18
	s_waitcnt lgkmcnt(0)
	v_mul_f64 v[20:21], v[22:23], v[20:21]
	s_cbranch_execz .LBB72_126
	s_branch .LBB72_127
.LBB72_125:
                                        ; implicit-def: $vgpr20_vgpr21
.LBB72_126:
	ds_load_b64 v[20:21], v86
.LBB72_127:
	s_and_saveexec_b32 s2, s0
	s_cbranch_execz .LBB72_129
; %bb.128:
	v_cmp_eq_u32_e32 vcc_lo, 1, v35
	v_dual_cndmask_b32 v22, v3, v5 :: v_dual_cndmask_b32 v23, v2, v4
	v_cmp_eq_u32_e32 vcc_lo, 2, v35
	s_delay_alu instid0(VALU_DEP_2) | instskip(SKIP_1) | instid1(VALU_DEP_2)
	v_dual_cndmask_b32 v7, v22, v7 :: v_dual_cndmask_b32 v6, v23, v6
	v_cmp_eq_u32_e32 vcc_lo, 3, v35
	v_dual_cndmask_b32 v7, v7, v9 :: v_dual_cndmask_b32 v6, v6, v8
	v_cmp_eq_u32_e32 vcc_lo, 4, v35
	s_delay_alu instid0(VALU_DEP_2) | instskip(SKIP_1) | instid1(VALU_DEP_2)
	v_dual_cndmask_b32 v7, v7, v11 :: v_dual_cndmask_b32 v6, v6, v10
	v_cmp_eq_u32_e32 vcc_lo, 5, v35
	v_dual_cndmask_b32 v22, v7, v13 :: v_dual_cndmask_b32 v23, v6, v12
	v_cmp_eq_u32_e32 vcc_lo, 6, v35
	ds_load_b64 v[6:7], v86 offset:8
	v_dual_cndmask_b32 v22, v22, v15 :: v_dual_cndmask_b32 v23, v23, v14
	v_cmp_eq_u32_e32 vcc_lo, 7, v35
	s_delay_alu instid0(VALU_DEP_2) | instskip(NEXT) | instid1(VALU_DEP_3)
	v_cndmask_b32_e32 v22, v22, v17, vcc_lo
	v_cndmask_b32_e32 v24, v23, v16, vcc_lo
	v_cmp_eq_u32_e32 vcc_lo, 8, v35
	s_delay_alu instid0(VALU_DEP_2) | instskip(SKIP_1) | instid1(VALU_DEP_1)
	v_dual_cndmask_b32 v23, v22, v19 :: v_dual_cndmask_b32 v22, v24, v18
	s_waitcnt lgkmcnt(0)
	v_fma_f64 v[20:21], v[22:23], v[6:7], v[20:21]
.LBB72_129:
	s_or_b32 exec_lo, exec_lo, s2
	v_mov_b32_e32 v6, 0
	ds_load_b64 v[6:7], v6 offset:16
	s_waitcnt lgkmcnt(0)
	v_mul_f64 v[6:7], v[20:21], v[6:7]
.LBB72_130:
	s_or_b32 exec_lo, exec_lo, s1
	s_delay_alu instid0(SALU_CYCLE_1)
	s_mov_b32 s1, exec_lo
	ds_store_b64 v86, v[8:9]
	s_waitcnt lgkmcnt(0)
	s_barrier
	buffer_gl0_inv
	v_cmpx_gt_u32_e32 3, v0
	s_cbranch_execz .LBB72_140
; %bb.131:
	v_cmp_ne_u32_e32 vcc_lo, 1, v34
	s_cbranch_vccnz .LBB72_133
; %bb.132:
	v_cmp_eq_u32_e32 vcc_lo, 1, v0
	v_dual_cndmask_b32 v20, v3, v5 :: v_dual_cndmask_b32 v21, v2, v4
	v_cmp_eq_u32_e32 vcc_lo, 2, v0
	s_delay_alu instid0(VALU_DEP_2) | instskip(SKIP_1) | instid1(VALU_DEP_2)
	v_dual_cndmask_b32 v20, v20, v7 :: v_dual_cndmask_b32 v21, v21, v6
	v_cmp_eq_u32_e32 vcc_lo, 3, v0
	v_dual_cndmask_b32 v20, v20, v9 :: v_dual_cndmask_b32 v21, v21, v8
	v_cmp_eq_u32_e32 vcc_lo, 4, v0
	s_delay_alu instid0(VALU_DEP_2) | instskip(SKIP_1) | instid1(VALU_DEP_2)
	v_dual_cndmask_b32 v20, v20, v11 :: v_dual_cndmask_b32 v21, v21, v10
	v_cmp_eq_u32_e32 vcc_lo, 5, v0
	v_dual_cndmask_b32 v22, v20, v13 :: v_dual_cndmask_b32 v23, v21, v12
	v_cmp_eq_u32_e32 vcc_lo, 6, v0
	ds_load_b64 v[20:21], v86
	v_dual_cndmask_b32 v22, v22, v15 :: v_dual_cndmask_b32 v23, v23, v14
	v_cmp_eq_u32_e32 vcc_lo, 7, v0
	s_delay_alu instid0(VALU_DEP_2) | instskip(NEXT) | instid1(VALU_DEP_3)
	v_cndmask_b32_e32 v22, v22, v17, vcc_lo
	v_cndmask_b32_e32 v24, v23, v16, vcc_lo
	v_cmp_eq_u32_e32 vcc_lo, 8, v0
	s_delay_alu instid0(VALU_DEP_2) | instskip(SKIP_1) | instid1(VALU_DEP_1)
	v_dual_cndmask_b32 v23, v22, v19 :: v_dual_cndmask_b32 v22, v24, v18
	s_waitcnt lgkmcnt(0)
	v_mul_f64 v[20:21], v[22:23], v[20:21]
	s_cbranch_execz .LBB72_134
	s_branch .LBB72_135
.LBB72_133:
                                        ; implicit-def: $vgpr20_vgpr21
.LBB72_134:
	ds_load_b64 v[20:21], v86
.LBB72_135:
	s_mov_b32 s2, exec_lo
	v_cmpx_ne_u32_e32 2, v0
	s_cbranch_execz .LBB72_139
; %bb.136:
	v_cmp_eq_u32_e32 vcc_lo, 1, v35
	v_dual_cndmask_b32 v22, v3, v5 :: v_dual_cndmask_b32 v23, v2, v4
	v_cmp_eq_u32_e32 vcc_lo, 2, v35
	s_delay_alu instid0(VALU_DEP_2) | instskip(SKIP_1) | instid1(VALU_DEP_2)
	v_dual_cndmask_b32 v22, v22, v7 :: v_dual_cndmask_b32 v23, v23, v6
	v_cmp_eq_u32_e32 vcc_lo, 3, v35
	v_dual_cndmask_b32 v9, v22, v9 :: v_dual_cndmask_b32 v8, v23, v8
	v_cmp_eq_u32_e32 vcc_lo, 4, v35
	s_delay_alu instid0(VALU_DEP_2) | instskip(SKIP_1) | instid1(VALU_DEP_2)
	v_dual_cndmask_b32 v9, v9, v11 :: v_dual_cndmask_b32 v8, v8, v10
	v_cmp_eq_u32_e32 vcc_lo, 5, v35
	v_dual_cndmask_b32 v22, v9, v13 :: v_dual_cndmask_b32 v23, v8, v12
	v_cmp_eq_u32_e32 vcc_lo, 6, v35
	ds_load_b64 v[8:9], v86 offset:8
	v_dual_cndmask_b32 v22, v22, v15 :: v_dual_cndmask_b32 v23, v23, v14
	v_cmp_eq_u32_e32 vcc_lo, 7, v35
	s_delay_alu instid0(VALU_DEP_2) | instskip(NEXT) | instid1(VALU_DEP_3)
	v_cndmask_b32_e32 v22, v22, v17, vcc_lo
	v_cndmask_b32_e32 v24, v23, v16, vcc_lo
	v_cmp_eq_u32_e32 vcc_lo, 8, v35
	s_delay_alu instid0(VALU_DEP_2) | instskip(SKIP_1) | instid1(VALU_DEP_1)
	v_dual_cndmask_b32 v23, v22, v19 :: v_dual_cndmask_b32 v22, v24, v18
	s_waitcnt lgkmcnt(0)
	v_fma_f64 v[20:21], v[22:23], v[8:9], v[20:21]
	s_and_saveexec_b32 s3, s0
	s_cbranch_execz .LBB72_138
; %bb.137:
	v_mov_b32_e32 v8, 0
	ds_load_b64 v[8:9], v8 offset:96
	s_waitcnt lgkmcnt(0)
	v_fma_f64 v[20:21], v[6:7], v[8:9], v[20:21]
.LBB72_138:
	s_or_b32 exec_lo, exec_lo, s3
.LBB72_139:
	s_delay_alu instid0(SALU_CYCLE_1)
	s_or_b32 exec_lo, exec_lo, s2
	v_mov_b32_e32 v8, 0
	ds_load_b64 v[8:9], v8 offset:24
	s_waitcnt lgkmcnt(0)
	v_mul_f64 v[8:9], v[20:21], v[8:9]
.LBB72_140:
	s_or_b32 exec_lo, exec_lo, s1
	s_delay_alu instid0(SALU_CYCLE_1)
	s_mov_b32 s1, exec_lo
	ds_store_b64 v86, v[10:11]
	s_waitcnt lgkmcnt(0)
	s_barrier
	buffer_gl0_inv
	v_cmpx_gt_u32_e32 4, v0
	s_cbranch_execz .LBB72_150
; %bb.141:
	v_cmp_ne_u32_e32 vcc_lo, 1, v34
	s_cbranch_vccnz .LBB72_143
; %bb.142:
	v_cmp_eq_u32_e32 vcc_lo, 1, v0
	v_dual_cndmask_b32 v20, v3, v5 :: v_dual_cndmask_b32 v21, v2, v4
	v_cmp_eq_u32_e32 vcc_lo, 2, v0
	s_delay_alu instid0(VALU_DEP_2) | instskip(SKIP_1) | instid1(VALU_DEP_2)
	v_dual_cndmask_b32 v20, v20, v7 :: v_dual_cndmask_b32 v21, v21, v6
	v_cmp_eq_u32_e32 vcc_lo, 3, v0
	v_dual_cndmask_b32 v20, v20, v9 :: v_dual_cndmask_b32 v21, v21, v8
	v_cmp_eq_u32_e32 vcc_lo, 4, v0
	s_delay_alu instid0(VALU_DEP_2) | instskip(SKIP_1) | instid1(VALU_DEP_2)
	v_dual_cndmask_b32 v20, v20, v11 :: v_dual_cndmask_b32 v21, v21, v10
	v_cmp_eq_u32_e32 vcc_lo, 5, v0
	v_dual_cndmask_b32 v22, v20, v13 :: v_dual_cndmask_b32 v23, v21, v12
	v_cmp_eq_u32_e32 vcc_lo, 6, v0
	ds_load_b64 v[20:21], v86
	v_dual_cndmask_b32 v22, v22, v15 :: v_dual_cndmask_b32 v23, v23, v14
	v_cmp_eq_u32_e32 vcc_lo, 7, v0
	s_delay_alu instid0(VALU_DEP_2) | instskip(NEXT) | instid1(VALU_DEP_3)
	v_cndmask_b32_e32 v22, v22, v17, vcc_lo
	v_cndmask_b32_e32 v24, v23, v16, vcc_lo
	v_cmp_eq_u32_e32 vcc_lo, 8, v0
	s_delay_alu instid0(VALU_DEP_2) | instskip(SKIP_1) | instid1(VALU_DEP_1)
	v_dual_cndmask_b32 v23, v22, v19 :: v_dual_cndmask_b32 v22, v24, v18
	s_waitcnt lgkmcnt(0)
	v_mul_f64 v[20:21], v[22:23], v[20:21]
	s_cbranch_execz .LBB72_144
	s_branch .LBB72_145
.LBB72_143:
                                        ; implicit-def: $vgpr20_vgpr21
.LBB72_144:
	ds_load_b64 v[20:21], v86
.LBB72_145:
	s_mov_b32 s2, exec_lo
	v_cmpx_ne_u32_e32 3, v0
	s_cbranch_execz .LBB72_149
; %bb.146:
	v_lshl_add_u32 v24, v0, 3, 0x58
	v_dual_mov_b32 v23, v1 :: v_dual_mov_b32 v22, v0
	s_mov_b32 s3, 0
	s_set_inst_prefetch_distance 0x1
	.p2align	6
.LBB72_147:                             ; =>This Inner Loop Header: Depth=1
	s_delay_alu instid0(VALU_DEP_1) | instskip(NEXT) | instid1(VALU_DEP_2)
	v_add_co_u32 v22, vcc_lo, v22, 1
	v_add_co_ci_u32_e32 v23, vcc_lo, 0, v23, vcc_lo
	s_delay_alu instid0(VALU_DEP_2) | instskip(SKIP_3) | instid1(VALU_DEP_2)
	v_cmp_eq_u32_e32 vcc_lo, 1, v22
	v_cmp_eq_u32_e64 s0, 2, v22
	v_dual_cndmask_b32 v25, v3, v5 :: v_dual_cndmask_b32 v26, v2, v4
	v_cmp_eq_u32_e32 vcc_lo, 3, v22
	v_cndmask_b32_e64 v25, v25, v7, s0
	s_delay_alu instid0(VALU_DEP_3) | instskip(SKIP_1) | instid1(VALU_DEP_2)
	v_cndmask_b32_e64 v26, v26, v6, s0
	v_cmp_eq_u32_e64 s0, 4, v22
	v_dual_cndmask_b32 v25, v25, v9 :: v_dual_cndmask_b32 v26, v26, v8
	v_cmp_eq_u32_e32 vcc_lo, 5, v22
	s_delay_alu instid0(VALU_DEP_2) | instskip(NEXT) | instid1(VALU_DEP_3)
	v_cndmask_b32_e64 v27, v25, v11, s0
	v_cndmask_b32_e64 v28, v26, v10, s0
	ds_load_b64 v[25:26], v24
	v_cmp_eq_u32_e64 s0, 6, v22
	v_dual_cndmask_b32 v27, v27, v13 :: v_dual_add_nc_u32 v24, 8, v24
	v_cndmask_b32_e32 v28, v28, v12, vcc_lo
	v_cmp_eq_u32_e32 vcc_lo, 7, v22
	s_delay_alu instid0(VALU_DEP_3) | instskip(NEXT) | instid1(VALU_DEP_3)
	v_cndmask_b32_e64 v27, v27, v15, s0
	v_cndmask_b32_e64 v28, v28, v14, s0
	v_cmp_eq_u32_e64 s0, 8, v22
	s_delay_alu instid0(VALU_DEP_3) | instskip(NEXT) | instid1(VALU_DEP_3)
	v_cndmask_b32_e32 v27, v27, v17, vcc_lo
	v_cndmask_b32_e32 v29, v28, v16, vcc_lo
	v_cmp_lt_u32_e32 vcc_lo, 2, v22
	s_delay_alu instid0(VALU_DEP_3) | instskip(NEXT) | instid1(VALU_DEP_3)
	v_cndmask_b32_e64 v28, v27, v19, s0
	v_cndmask_b32_e64 v27, v29, v18, s0
	s_or_b32 s3, vcc_lo, s3
	s_waitcnt lgkmcnt(0)
	s_delay_alu instid0(VALU_DEP_1)
	v_fma_f64 v[20:21], v[27:28], v[25:26], v[20:21]
	s_and_not1_b32 exec_lo, exec_lo, s3
	s_cbranch_execnz .LBB72_147
; %bb.148:
	s_set_inst_prefetch_distance 0x2
	s_or_b32 exec_lo, exec_lo, s3
.LBB72_149:
	s_delay_alu instid0(SALU_CYCLE_1)
	s_or_b32 exec_lo, exec_lo, s2
	v_mov_b32_e32 v10, 0
	ds_load_b64 v[10:11], v10 offset:32
	s_waitcnt lgkmcnt(0)
	v_mul_f64 v[10:11], v[20:21], v[10:11]
.LBB72_150:
	s_or_b32 exec_lo, exec_lo, s1
	s_delay_alu instid0(SALU_CYCLE_1)
	s_mov_b32 s1, exec_lo
	ds_store_b64 v86, v[12:13]
	s_waitcnt lgkmcnt(0)
	s_barrier
	buffer_gl0_inv
	v_cmpx_gt_u32_e32 5, v0
	s_cbranch_execz .LBB72_160
; %bb.151:
	v_cmp_ne_u32_e32 vcc_lo, 1, v34
	s_cbranch_vccnz .LBB72_153
; %bb.152:
	v_cmp_eq_u32_e32 vcc_lo, 1, v0
	v_dual_cndmask_b32 v20, v3, v5 :: v_dual_cndmask_b32 v21, v2, v4
	v_cmp_eq_u32_e32 vcc_lo, 2, v0
	s_delay_alu instid0(VALU_DEP_2) | instskip(SKIP_1) | instid1(VALU_DEP_2)
	v_dual_cndmask_b32 v20, v20, v7 :: v_dual_cndmask_b32 v21, v21, v6
	v_cmp_eq_u32_e32 vcc_lo, 3, v0
	v_dual_cndmask_b32 v20, v20, v9 :: v_dual_cndmask_b32 v21, v21, v8
	v_cmp_eq_u32_e32 vcc_lo, 4, v0
	s_delay_alu instid0(VALU_DEP_2) | instskip(SKIP_1) | instid1(VALU_DEP_2)
	v_dual_cndmask_b32 v20, v20, v11 :: v_dual_cndmask_b32 v21, v21, v10
	v_cmp_eq_u32_e32 vcc_lo, 5, v0
	v_dual_cndmask_b32 v22, v20, v13 :: v_dual_cndmask_b32 v23, v21, v12
	v_cmp_eq_u32_e32 vcc_lo, 6, v0
	ds_load_b64 v[20:21], v86
	v_dual_cndmask_b32 v22, v22, v15 :: v_dual_cndmask_b32 v23, v23, v14
	v_cmp_eq_u32_e32 vcc_lo, 7, v0
	s_delay_alu instid0(VALU_DEP_2) | instskip(NEXT) | instid1(VALU_DEP_3)
	v_cndmask_b32_e32 v22, v22, v17, vcc_lo
	v_cndmask_b32_e32 v24, v23, v16, vcc_lo
	v_cmp_eq_u32_e32 vcc_lo, 8, v0
	s_delay_alu instid0(VALU_DEP_2) | instskip(SKIP_1) | instid1(VALU_DEP_1)
	v_dual_cndmask_b32 v23, v22, v19 :: v_dual_cndmask_b32 v22, v24, v18
	s_waitcnt lgkmcnt(0)
	v_mul_f64 v[20:21], v[22:23], v[20:21]
	s_cbranch_execz .LBB72_154
	s_branch .LBB72_155
.LBB72_153:
                                        ; implicit-def: $vgpr20_vgpr21
.LBB72_154:
	ds_load_b64 v[20:21], v86
.LBB72_155:
	s_mov_b32 s2, exec_lo
	v_cmpx_ne_u32_e32 4, v0
	s_cbranch_execz .LBB72_159
; %bb.156:
	v_lshl_add_u32 v24, v0, 3, 0x58
	v_dual_mov_b32 v23, v1 :: v_dual_mov_b32 v22, v0
	s_mov_b32 s3, 0
	s_set_inst_prefetch_distance 0x1
	.p2align	6
.LBB72_157:                             ; =>This Inner Loop Header: Depth=1
	s_delay_alu instid0(VALU_DEP_1) | instskip(NEXT) | instid1(VALU_DEP_2)
	v_add_co_u32 v22, vcc_lo, v22, 1
	v_add_co_ci_u32_e32 v23, vcc_lo, 0, v23, vcc_lo
	s_delay_alu instid0(VALU_DEP_2) | instskip(SKIP_3) | instid1(VALU_DEP_2)
	v_cmp_eq_u32_e32 vcc_lo, 1, v22
	v_cmp_eq_u32_e64 s0, 2, v22
	v_dual_cndmask_b32 v25, v3, v5 :: v_dual_cndmask_b32 v26, v2, v4
	v_cmp_eq_u32_e32 vcc_lo, 3, v22
	v_cndmask_b32_e64 v25, v25, v7, s0
	s_delay_alu instid0(VALU_DEP_3) | instskip(SKIP_1) | instid1(VALU_DEP_2)
	v_cndmask_b32_e64 v26, v26, v6, s0
	v_cmp_eq_u32_e64 s0, 4, v22
	v_dual_cndmask_b32 v25, v25, v9 :: v_dual_cndmask_b32 v26, v26, v8
	v_cmp_eq_u32_e32 vcc_lo, 5, v22
	s_delay_alu instid0(VALU_DEP_2) | instskip(NEXT) | instid1(VALU_DEP_3)
	v_cndmask_b32_e64 v27, v25, v11, s0
	v_cndmask_b32_e64 v28, v26, v10, s0
	ds_load_b64 v[25:26], v24
	v_cmp_eq_u32_e64 s0, 6, v22
	v_dual_cndmask_b32 v27, v27, v13 :: v_dual_add_nc_u32 v24, 8, v24
	v_cndmask_b32_e32 v28, v28, v12, vcc_lo
	v_cmp_eq_u32_e32 vcc_lo, 7, v22
	s_delay_alu instid0(VALU_DEP_3) | instskip(NEXT) | instid1(VALU_DEP_3)
	v_cndmask_b32_e64 v27, v27, v15, s0
	v_cndmask_b32_e64 v28, v28, v14, s0
	v_cmp_eq_u32_e64 s0, 8, v22
	s_delay_alu instid0(VALU_DEP_3) | instskip(NEXT) | instid1(VALU_DEP_3)
	v_cndmask_b32_e32 v27, v27, v17, vcc_lo
	v_cndmask_b32_e32 v29, v28, v16, vcc_lo
	v_cmp_lt_u32_e32 vcc_lo, 3, v22
	s_delay_alu instid0(VALU_DEP_3) | instskip(NEXT) | instid1(VALU_DEP_3)
	v_cndmask_b32_e64 v28, v27, v19, s0
	v_cndmask_b32_e64 v27, v29, v18, s0
	s_or_b32 s3, vcc_lo, s3
	s_waitcnt lgkmcnt(0)
	s_delay_alu instid0(VALU_DEP_1)
	v_fma_f64 v[20:21], v[27:28], v[25:26], v[20:21]
	s_and_not1_b32 exec_lo, exec_lo, s3
	s_cbranch_execnz .LBB72_157
; %bb.158:
	s_set_inst_prefetch_distance 0x2
	s_or_b32 exec_lo, exec_lo, s3
.LBB72_159:
	s_delay_alu instid0(SALU_CYCLE_1)
	s_or_b32 exec_lo, exec_lo, s2
	v_mov_b32_e32 v12, 0
	ds_load_b64 v[12:13], v12 offset:40
	s_waitcnt lgkmcnt(0)
	v_mul_f64 v[12:13], v[20:21], v[12:13]
.LBB72_160:
	s_or_b32 exec_lo, exec_lo, s1
	s_delay_alu instid0(SALU_CYCLE_1)
	s_mov_b32 s1, exec_lo
	ds_store_b64 v86, v[14:15]
	s_waitcnt lgkmcnt(0)
	s_barrier
	buffer_gl0_inv
	v_cmpx_gt_u32_e32 6, v0
	s_cbranch_execz .LBB72_170
; %bb.161:
	v_cmp_ne_u32_e32 vcc_lo, 1, v34
	s_cbranch_vccnz .LBB72_163
; %bb.162:
	v_cmp_eq_u32_e32 vcc_lo, 1, v0
	v_dual_cndmask_b32 v20, v3, v5 :: v_dual_cndmask_b32 v21, v2, v4
	v_cmp_eq_u32_e32 vcc_lo, 2, v0
	s_delay_alu instid0(VALU_DEP_2) | instskip(SKIP_1) | instid1(VALU_DEP_2)
	v_dual_cndmask_b32 v20, v20, v7 :: v_dual_cndmask_b32 v21, v21, v6
	v_cmp_eq_u32_e32 vcc_lo, 3, v0
	v_dual_cndmask_b32 v20, v20, v9 :: v_dual_cndmask_b32 v21, v21, v8
	v_cmp_eq_u32_e32 vcc_lo, 4, v0
	s_delay_alu instid0(VALU_DEP_2) | instskip(SKIP_1) | instid1(VALU_DEP_2)
	v_dual_cndmask_b32 v20, v20, v11 :: v_dual_cndmask_b32 v21, v21, v10
	v_cmp_eq_u32_e32 vcc_lo, 5, v0
	v_dual_cndmask_b32 v22, v20, v13 :: v_dual_cndmask_b32 v23, v21, v12
	v_cmp_eq_u32_e32 vcc_lo, 6, v0
	ds_load_b64 v[20:21], v86
	v_dual_cndmask_b32 v22, v22, v15 :: v_dual_cndmask_b32 v23, v23, v14
	v_cmp_eq_u32_e32 vcc_lo, 7, v0
	s_delay_alu instid0(VALU_DEP_2) | instskip(NEXT) | instid1(VALU_DEP_3)
	v_cndmask_b32_e32 v22, v22, v17, vcc_lo
	v_cndmask_b32_e32 v24, v23, v16, vcc_lo
	v_cmp_eq_u32_e32 vcc_lo, 8, v0
	s_delay_alu instid0(VALU_DEP_2) | instskip(SKIP_1) | instid1(VALU_DEP_1)
	v_dual_cndmask_b32 v23, v22, v19 :: v_dual_cndmask_b32 v22, v24, v18
	s_waitcnt lgkmcnt(0)
	v_mul_f64 v[20:21], v[22:23], v[20:21]
	s_cbranch_execz .LBB72_164
	s_branch .LBB72_165
.LBB72_163:
                                        ; implicit-def: $vgpr20_vgpr21
.LBB72_164:
	ds_load_b64 v[20:21], v86
.LBB72_165:
	s_mov_b32 s2, exec_lo
	v_cmpx_ne_u32_e32 5, v0
	s_cbranch_execz .LBB72_169
; %bb.166:
	v_lshl_add_u32 v24, v0, 3, 0x58
	v_dual_mov_b32 v23, v1 :: v_dual_mov_b32 v22, v0
	s_mov_b32 s3, 0
	s_set_inst_prefetch_distance 0x1
	.p2align	6
.LBB72_167:                             ; =>This Inner Loop Header: Depth=1
	s_delay_alu instid0(VALU_DEP_1) | instskip(NEXT) | instid1(VALU_DEP_2)
	v_add_co_u32 v22, vcc_lo, v22, 1
	v_add_co_ci_u32_e32 v23, vcc_lo, 0, v23, vcc_lo
	s_delay_alu instid0(VALU_DEP_2) | instskip(SKIP_3) | instid1(VALU_DEP_2)
	v_cmp_eq_u32_e32 vcc_lo, 1, v22
	v_cmp_eq_u32_e64 s0, 2, v22
	v_dual_cndmask_b32 v25, v3, v5 :: v_dual_cndmask_b32 v26, v2, v4
	v_cmp_eq_u32_e32 vcc_lo, 3, v22
	v_cndmask_b32_e64 v25, v25, v7, s0
	s_delay_alu instid0(VALU_DEP_3) | instskip(SKIP_1) | instid1(VALU_DEP_2)
	v_cndmask_b32_e64 v26, v26, v6, s0
	v_cmp_eq_u32_e64 s0, 4, v22
	v_dual_cndmask_b32 v25, v25, v9 :: v_dual_cndmask_b32 v26, v26, v8
	v_cmp_eq_u32_e32 vcc_lo, 5, v22
	s_delay_alu instid0(VALU_DEP_2) | instskip(NEXT) | instid1(VALU_DEP_3)
	v_cndmask_b32_e64 v27, v25, v11, s0
	v_cndmask_b32_e64 v28, v26, v10, s0
	ds_load_b64 v[25:26], v24
	v_cmp_eq_u32_e64 s0, 6, v22
	v_dual_cndmask_b32 v27, v27, v13 :: v_dual_add_nc_u32 v24, 8, v24
	v_cndmask_b32_e32 v28, v28, v12, vcc_lo
	v_cmp_eq_u32_e32 vcc_lo, 7, v22
	s_delay_alu instid0(VALU_DEP_3) | instskip(NEXT) | instid1(VALU_DEP_3)
	v_cndmask_b32_e64 v27, v27, v15, s0
	v_cndmask_b32_e64 v28, v28, v14, s0
	v_cmp_eq_u32_e64 s0, 8, v22
	s_delay_alu instid0(VALU_DEP_3) | instskip(NEXT) | instid1(VALU_DEP_3)
	v_cndmask_b32_e32 v27, v27, v17, vcc_lo
	v_cndmask_b32_e32 v29, v28, v16, vcc_lo
	v_cmp_lt_u32_e32 vcc_lo, 4, v22
	s_delay_alu instid0(VALU_DEP_3) | instskip(NEXT) | instid1(VALU_DEP_3)
	v_cndmask_b32_e64 v28, v27, v19, s0
	v_cndmask_b32_e64 v27, v29, v18, s0
	s_or_b32 s3, vcc_lo, s3
	s_waitcnt lgkmcnt(0)
	s_delay_alu instid0(VALU_DEP_1)
	v_fma_f64 v[20:21], v[27:28], v[25:26], v[20:21]
	s_and_not1_b32 exec_lo, exec_lo, s3
	s_cbranch_execnz .LBB72_167
; %bb.168:
	s_set_inst_prefetch_distance 0x2
	s_or_b32 exec_lo, exec_lo, s3
.LBB72_169:
	s_delay_alu instid0(SALU_CYCLE_1)
	s_or_b32 exec_lo, exec_lo, s2
	v_mov_b32_e32 v14, 0
	ds_load_b64 v[14:15], v14 offset:48
	s_waitcnt lgkmcnt(0)
	v_mul_f64 v[14:15], v[20:21], v[14:15]
.LBB72_170:
	s_or_b32 exec_lo, exec_lo, s1
	v_cmp_gt_u32_e64 s0, 7, v0
	ds_store_b64 v86, v[16:17]
	s_waitcnt lgkmcnt(0)
	s_barrier
	buffer_gl0_inv
	s_and_saveexec_b32 s2, s0
	s_cbranch_execz .LBB72_180
; %bb.171:
	v_cmp_ne_u32_e32 vcc_lo, 1, v34
	s_cbranch_vccnz .LBB72_173
; %bb.172:
	v_cmp_eq_u32_e32 vcc_lo, 1, v0
	v_dual_cndmask_b32 v20, v3, v5 :: v_dual_cndmask_b32 v21, v2, v4
	v_cmp_eq_u32_e32 vcc_lo, 2, v0
	s_delay_alu instid0(VALU_DEP_2) | instskip(SKIP_1) | instid1(VALU_DEP_2)
	v_dual_cndmask_b32 v20, v20, v7 :: v_dual_cndmask_b32 v21, v21, v6
	v_cmp_eq_u32_e32 vcc_lo, 3, v0
	v_dual_cndmask_b32 v20, v20, v9 :: v_dual_cndmask_b32 v21, v21, v8
	v_cmp_eq_u32_e32 vcc_lo, 4, v0
	s_delay_alu instid0(VALU_DEP_2) | instskip(SKIP_1) | instid1(VALU_DEP_2)
	v_dual_cndmask_b32 v20, v20, v11 :: v_dual_cndmask_b32 v21, v21, v10
	v_cmp_eq_u32_e32 vcc_lo, 5, v0
	v_dual_cndmask_b32 v22, v20, v13 :: v_dual_cndmask_b32 v23, v21, v12
	v_cmp_eq_u32_e32 vcc_lo, 6, v0
	ds_load_b64 v[20:21], v86
	v_dual_cndmask_b32 v22, v22, v15 :: v_dual_cndmask_b32 v23, v23, v14
	v_cmp_eq_u32_e32 vcc_lo, 7, v0
	s_delay_alu instid0(VALU_DEP_2) | instskip(NEXT) | instid1(VALU_DEP_3)
	v_cndmask_b32_e32 v22, v22, v17, vcc_lo
	v_cndmask_b32_e32 v24, v23, v16, vcc_lo
	v_cmp_eq_u32_e32 vcc_lo, 8, v0
	s_delay_alu instid0(VALU_DEP_2) | instskip(SKIP_1) | instid1(VALU_DEP_1)
	v_dual_cndmask_b32 v23, v22, v19 :: v_dual_cndmask_b32 v22, v24, v18
	s_waitcnt lgkmcnt(0)
	v_mul_f64 v[20:21], v[22:23], v[20:21]
	s_cbranch_execz .LBB72_174
	s_branch .LBB72_175
.LBB72_173:
                                        ; implicit-def: $vgpr20_vgpr21
.LBB72_174:
	ds_load_b64 v[20:21], v86
.LBB72_175:
	s_mov_b32 s3, exec_lo
	v_cmpx_ne_u32_e32 6, v0
	s_cbranch_execz .LBB72_179
; %bb.176:
	v_lshl_add_u32 v24, v0, 3, 0x58
	v_dual_mov_b32 v23, v1 :: v_dual_mov_b32 v22, v0
	s_mov_b32 s4, 0
	s_set_inst_prefetch_distance 0x1
	.p2align	6
.LBB72_177:                             ; =>This Inner Loop Header: Depth=1
	s_delay_alu instid0(VALU_DEP_1) | instskip(NEXT) | instid1(VALU_DEP_2)
	v_add_co_u32 v22, vcc_lo, v22, 1
	v_add_co_ci_u32_e32 v23, vcc_lo, 0, v23, vcc_lo
	s_delay_alu instid0(VALU_DEP_2) | instskip(SKIP_3) | instid1(VALU_DEP_2)
	v_cmp_eq_u32_e32 vcc_lo, 1, v22
	v_cmp_eq_u32_e64 s1, 2, v22
	v_dual_cndmask_b32 v25, v3, v5 :: v_dual_cndmask_b32 v26, v2, v4
	v_cmp_eq_u32_e32 vcc_lo, 3, v22
	v_cndmask_b32_e64 v25, v25, v7, s1
	s_delay_alu instid0(VALU_DEP_3) | instskip(SKIP_1) | instid1(VALU_DEP_2)
	v_cndmask_b32_e64 v26, v26, v6, s1
	v_cmp_eq_u32_e64 s1, 4, v22
	v_dual_cndmask_b32 v25, v25, v9 :: v_dual_cndmask_b32 v26, v26, v8
	v_cmp_eq_u32_e32 vcc_lo, 5, v22
	s_delay_alu instid0(VALU_DEP_2) | instskip(NEXT) | instid1(VALU_DEP_3)
	v_cndmask_b32_e64 v27, v25, v11, s1
	v_cndmask_b32_e64 v28, v26, v10, s1
	ds_load_b64 v[25:26], v24
	v_cmp_eq_u32_e64 s1, 6, v22
	v_dual_cndmask_b32 v27, v27, v13 :: v_dual_add_nc_u32 v24, 8, v24
	v_cndmask_b32_e32 v28, v28, v12, vcc_lo
	v_cmp_eq_u32_e32 vcc_lo, 7, v22
	s_delay_alu instid0(VALU_DEP_3) | instskip(NEXT) | instid1(VALU_DEP_3)
	v_cndmask_b32_e64 v27, v27, v15, s1
	v_cndmask_b32_e64 v28, v28, v14, s1
	v_cmp_eq_u32_e64 s1, 8, v22
	s_delay_alu instid0(VALU_DEP_3) | instskip(NEXT) | instid1(VALU_DEP_3)
	v_cndmask_b32_e32 v27, v27, v17, vcc_lo
	v_cndmask_b32_e32 v29, v28, v16, vcc_lo
	v_cmp_lt_u32_e32 vcc_lo, 5, v22
	s_delay_alu instid0(VALU_DEP_3) | instskip(NEXT) | instid1(VALU_DEP_3)
	v_cndmask_b32_e64 v28, v27, v19, s1
	v_cndmask_b32_e64 v27, v29, v18, s1
	s_or_b32 s4, vcc_lo, s4
	s_waitcnt lgkmcnt(0)
	s_delay_alu instid0(VALU_DEP_1)
	v_fma_f64 v[20:21], v[27:28], v[25:26], v[20:21]
	s_and_not1_b32 exec_lo, exec_lo, s4
	s_cbranch_execnz .LBB72_177
; %bb.178:
	s_set_inst_prefetch_distance 0x2
	s_or_b32 exec_lo, exec_lo, s4
.LBB72_179:
	s_delay_alu instid0(SALU_CYCLE_1)
	s_or_b32 exec_lo, exec_lo, s3
	v_mov_b32_e32 v16, 0
	ds_load_b64 v[16:17], v16 offset:56
	s_waitcnt lgkmcnt(0)
	v_mul_f64 v[16:17], v[20:21], v[16:17]
.LBB72_180:
	s_or_b32 exec_lo, exec_lo, s2
	s_delay_alu instid0(SALU_CYCLE_1)
	s_mov_b32 s1, exec_lo
	ds_store_b64 v86, v[18:19]
	s_waitcnt lgkmcnt(0)
	s_barrier
	buffer_gl0_inv
	v_cmpx_ne_u32_e32 8, v0
	s_cbranch_execz .LBB72_190
; %bb.181:
	v_cmp_ne_u32_e32 vcc_lo, 1, v34
	s_cbranch_vccnz .LBB72_183
; %bb.182:
	v_cmp_eq_u32_e32 vcc_lo, 1, v0
	v_dual_cndmask_b32 v20, v3, v5 :: v_dual_cndmask_b32 v21, v2, v4
	v_cmp_eq_u32_e32 vcc_lo, 2, v0
	s_delay_alu instid0(VALU_DEP_2) | instskip(SKIP_1) | instid1(VALU_DEP_2)
	v_dual_cndmask_b32 v20, v20, v7 :: v_dual_cndmask_b32 v21, v21, v6
	v_cmp_eq_u32_e32 vcc_lo, 3, v0
	v_dual_cndmask_b32 v20, v20, v9 :: v_dual_cndmask_b32 v21, v21, v8
	v_cmp_eq_u32_e32 vcc_lo, 4, v0
	s_delay_alu instid0(VALU_DEP_2) | instskip(SKIP_1) | instid1(VALU_DEP_2)
	v_dual_cndmask_b32 v20, v20, v11 :: v_dual_cndmask_b32 v21, v21, v10
	v_cmp_eq_u32_e32 vcc_lo, 5, v0
	v_dual_cndmask_b32 v22, v20, v13 :: v_dual_cndmask_b32 v23, v21, v12
	v_cmp_eq_u32_e32 vcc_lo, 6, v0
	ds_load_b64 v[20:21], v86
	v_dual_cndmask_b32 v22, v22, v15 :: v_dual_cndmask_b32 v23, v23, v14
	v_cmp_eq_u32_e32 vcc_lo, 7, v0
	s_delay_alu instid0(VALU_DEP_2) | instskip(NEXT) | instid1(VALU_DEP_3)
	v_cndmask_b32_e32 v22, v22, v17, vcc_lo
	v_cndmask_b32_e32 v24, v23, v16, vcc_lo
	v_cmp_eq_u32_e32 vcc_lo, 8, v0
	s_delay_alu instid0(VALU_DEP_2) | instskip(SKIP_1) | instid1(VALU_DEP_1)
	v_dual_cndmask_b32 v23, v22, v19 :: v_dual_cndmask_b32 v22, v24, v18
	s_waitcnt lgkmcnt(0)
	v_mul_f64 v[20:21], v[22:23], v[20:21]
	s_cbranch_execz .LBB72_184
	s_branch .LBB72_185
.LBB72_183:
                                        ; implicit-def: $vgpr20_vgpr21
.LBB72_184:
	ds_load_b64 v[20:21], v86
.LBB72_185:
	s_and_saveexec_b32 s2, s0
	s_cbranch_execz .LBB72_189
; %bb.186:
	v_lshl_add_u32 v22, v0, 3, 0x58
	s_mov_b32 s3, 0
	s_set_inst_prefetch_distance 0x1
	.p2align	6
.LBB72_187:                             ; =>This Inner Loop Header: Depth=1
	v_add_co_u32 v0, vcc_lo, v0, 1
	v_add_co_ci_u32_e32 v1, vcc_lo, 0, v1, vcc_lo
	s_delay_alu instid0(VALU_DEP_2) | instskip(SKIP_3) | instid1(VALU_DEP_2)
	v_cmp_eq_u32_e32 vcc_lo, 1, v0
	v_cmp_eq_u32_e64 s0, 2, v0
	v_dual_cndmask_b32 v23, v3, v5 :: v_dual_cndmask_b32 v24, v2, v4
	v_cmp_eq_u32_e32 vcc_lo, 3, v0
	v_cndmask_b32_e64 v23, v23, v7, s0
	s_delay_alu instid0(VALU_DEP_3) | instskip(SKIP_1) | instid1(VALU_DEP_2)
	v_cndmask_b32_e64 v24, v24, v6, s0
	v_cmp_eq_u32_e64 s0, 4, v0
	v_dual_cndmask_b32 v23, v23, v9 :: v_dual_cndmask_b32 v24, v24, v8
	v_cmp_eq_u32_e32 vcc_lo, 5, v0
	s_delay_alu instid0(VALU_DEP_2) | instskip(NEXT) | instid1(VALU_DEP_3)
	v_cndmask_b32_e64 v25, v23, v11, s0
	v_cndmask_b32_e64 v26, v24, v10, s0
	ds_load_b64 v[23:24], v22
	v_cmp_eq_u32_e64 s0, 6, v0
	v_dual_cndmask_b32 v25, v25, v13 :: v_dual_add_nc_u32 v22, 8, v22
	v_cndmask_b32_e32 v26, v26, v12, vcc_lo
	v_cmp_eq_u32_e32 vcc_lo, 7, v0
	s_delay_alu instid0(VALU_DEP_3) | instskip(NEXT) | instid1(VALU_DEP_3)
	v_cndmask_b32_e64 v25, v25, v15, s0
	v_cndmask_b32_e64 v26, v26, v14, s0
	v_cmp_eq_u32_e64 s0, 8, v0
	s_delay_alu instid0(VALU_DEP_3) | instskip(NEXT) | instid1(VALU_DEP_3)
	v_cndmask_b32_e32 v25, v25, v17, vcc_lo
	v_cndmask_b32_e32 v27, v26, v16, vcc_lo
	v_cmp_lt_u32_e32 vcc_lo, 6, v0
	s_delay_alu instid0(VALU_DEP_3) | instskip(NEXT) | instid1(VALU_DEP_3)
	v_cndmask_b32_e64 v26, v25, v19, s0
	v_cndmask_b32_e64 v25, v27, v18, s0
	s_or_b32 s3, vcc_lo, s3
	s_waitcnt lgkmcnt(0)
	s_delay_alu instid0(VALU_DEP_1)
	v_fma_f64 v[20:21], v[25:26], v[23:24], v[20:21]
	s_and_not1_b32 exec_lo, exec_lo, s3
	s_cbranch_execnz .LBB72_187
; %bb.188:
	s_set_inst_prefetch_distance 0x2
	s_or_b32 exec_lo, exec_lo, s3
.LBB72_189:
	s_delay_alu instid0(SALU_CYCLE_1)
	s_or_b32 exec_lo, exec_lo, s2
	v_mov_b32_e32 v0, 0
	ds_load_b64 v[0:1], v0 offset:64
	s_waitcnt lgkmcnt(0)
	v_mul_f64 v[18:19], v[20:21], v[0:1]
.LBB72_190:
	s_or_b32 exec_lo, exec_lo, s1
	v_dual_mov_b32 v65, v33 :: v_dual_mov_b32 v64, v32
	v_dual_mov_b32 v63, v31 :: v_dual_mov_b32 v62, v30
	;; [unrolled: 1-line block ×16, first 2 shown]
.LBB72_191:
	s_clause 0x8
	global_store_b64 v[78:79], v[34:35], off
	global_store_b64 v[82:83], v[36:37], off
	;; [unrolled: 1-line block ×9, first 2 shown]
.LBB72_192:
	s_nop 0
	s_sendmsg sendmsg(MSG_DEALLOC_VGPRS)
	s_endpgm
	.section	.rodata,"a",@progbits
	.p2align	6, 0x0
	.amdhsa_kernel _ZN9rocsolver6v33100L18trti2_kernel_smallILi9EdPKPdEEv13rocblas_fill_17rocblas_diagonal_T1_iil
		.amdhsa_group_segment_fixed_size 152
		.amdhsa_private_segment_fixed_size 0
		.amdhsa_kernarg_size 32
		.amdhsa_user_sgpr_count 15
		.amdhsa_user_sgpr_dispatch_ptr 0
		.amdhsa_user_sgpr_queue_ptr 0
		.amdhsa_user_sgpr_kernarg_segment_ptr 1
		.amdhsa_user_sgpr_dispatch_id 0
		.amdhsa_user_sgpr_private_segment_size 0
		.amdhsa_wavefront_size32 1
		.amdhsa_uses_dynamic_stack 0
		.amdhsa_enable_private_segment 0
		.amdhsa_system_sgpr_workgroup_id_x 1
		.amdhsa_system_sgpr_workgroup_id_y 0
		.amdhsa_system_sgpr_workgroup_id_z 0
		.amdhsa_system_sgpr_workgroup_info 0
		.amdhsa_system_vgpr_workitem_id 0
		.amdhsa_next_free_vgpr 100
		.amdhsa_next_free_sgpr 16
		.amdhsa_reserve_vcc 1
		.amdhsa_float_round_mode_32 0
		.amdhsa_float_round_mode_16_64 0
		.amdhsa_float_denorm_mode_32 3
		.amdhsa_float_denorm_mode_16_64 3
		.amdhsa_dx10_clamp 1
		.amdhsa_ieee_mode 1
		.amdhsa_fp16_overflow 0
		.amdhsa_workgroup_processor_mode 1
		.amdhsa_memory_ordered 1
		.amdhsa_forward_progress 0
		.amdhsa_shared_vgpr_count 0
		.amdhsa_exception_fp_ieee_invalid_op 0
		.amdhsa_exception_fp_denorm_src 0
		.amdhsa_exception_fp_ieee_div_zero 0
		.amdhsa_exception_fp_ieee_overflow 0
		.amdhsa_exception_fp_ieee_underflow 0
		.amdhsa_exception_fp_ieee_inexact 0
		.amdhsa_exception_int_div_zero 0
	.end_amdhsa_kernel
	.section	.text._ZN9rocsolver6v33100L18trti2_kernel_smallILi9EdPKPdEEv13rocblas_fill_17rocblas_diagonal_T1_iil,"axG",@progbits,_ZN9rocsolver6v33100L18trti2_kernel_smallILi9EdPKPdEEv13rocblas_fill_17rocblas_diagonal_T1_iil,comdat
.Lfunc_end72:
	.size	_ZN9rocsolver6v33100L18trti2_kernel_smallILi9EdPKPdEEv13rocblas_fill_17rocblas_diagonal_T1_iil, .Lfunc_end72-_ZN9rocsolver6v33100L18trti2_kernel_smallILi9EdPKPdEEv13rocblas_fill_17rocblas_diagonal_T1_iil
                                        ; -- End function
	.section	.AMDGPU.csdata,"",@progbits
; Kernel info:
; codeLenInByte = 10880
; NumSgprs: 18
; NumVgprs: 100
; ScratchSize: 0
; MemoryBound: 0
; FloatMode: 240
; IeeeMode: 1
; LDSByteSize: 152 bytes/workgroup (compile time only)
; SGPRBlocks: 2
; VGPRBlocks: 12
; NumSGPRsForWavesPerEU: 18
; NumVGPRsForWavesPerEU: 100
; Occupancy: 12
; WaveLimiterHint : 1
; COMPUTE_PGM_RSRC2:SCRATCH_EN: 0
; COMPUTE_PGM_RSRC2:USER_SGPR: 15
; COMPUTE_PGM_RSRC2:TRAP_HANDLER: 0
; COMPUTE_PGM_RSRC2:TGID_X_EN: 1
; COMPUTE_PGM_RSRC2:TGID_Y_EN: 0
; COMPUTE_PGM_RSRC2:TGID_Z_EN: 0
; COMPUTE_PGM_RSRC2:TIDIG_COMP_CNT: 0
	.section	.text._ZN9rocsolver6v33100L18trti2_kernel_smallILi10EdPKPdEEv13rocblas_fill_17rocblas_diagonal_T1_iil,"axG",@progbits,_ZN9rocsolver6v33100L18trti2_kernel_smallILi10EdPKPdEEv13rocblas_fill_17rocblas_diagonal_T1_iil,comdat
	.globl	_ZN9rocsolver6v33100L18trti2_kernel_smallILi10EdPKPdEEv13rocblas_fill_17rocblas_diagonal_T1_iil ; -- Begin function _ZN9rocsolver6v33100L18trti2_kernel_smallILi10EdPKPdEEv13rocblas_fill_17rocblas_diagonal_T1_iil
	.p2align	8
	.type	_ZN9rocsolver6v33100L18trti2_kernel_smallILi10EdPKPdEEv13rocblas_fill_17rocblas_diagonal_T1_iil,@function
_ZN9rocsolver6v33100L18trti2_kernel_smallILi10EdPKPdEEv13rocblas_fill_17rocblas_diagonal_T1_iil: ; @_ZN9rocsolver6v33100L18trti2_kernel_smallILi10EdPKPdEEv13rocblas_fill_17rocblas_diagonal_T1_iil
; %bb.0:
	s_mov_b32 s2, exec_lo
	v_cmpx_gt_u32_e32 10, v0
	s_cbranch_execz .LBB73_230
; %bb.1:
	s_mov_b32 s4, s15
	s_clause 0x1
	s_load_b64 s[2:3], s[0:1], 0x10
	s_load_b128 s[12:15], s[0:1], 0x0
	s_ashr_i32 s5, s4, 31
	v_lshlrev_b32_e32 v36, 3, v0
	s_lshl_b64 s[0:1], s[4:5], 3
	v_mov_b32_e32 v34, 0
	v_mov_b32_e32 v35, 0xbff00000
	s_waitcnt lgkmcnt(0)
	s_ashr_i32 s5, s2, 31
	s_add_u32 s0, s14, s0
	s_addc_u32 s1, s15, s1
	v_add3_u32 v1, s3, s3, v0
	s_load_b64 s[0:1], s[0:1], 0x0
	s_mov_b32 s4, s2
	s_mov_b32 s6, s3
	s_lshl_b64 s[4:5], s[4:5], 3
	v_add_nc_u32_e32 v3, s3, v1
	v_ashrrev_i32_e32 v2, 31, v1
	s_delay_alu instid0(VALU_DEP_2) | instskip(SKIP_1) | instid1(VALU_DEP_3)
	v_add_nc_u32_e32 v5, s3, v3
	v_ashrrev_i32_e32 v4, 31, v3
	v_lshlrev_b64 v[1:2], 3, v[1:2]
	s_delay_alu instid0(VALU_DEP_3) | instskip(NEXT) | instid1(VALU_DEP_3)
	v_add_nc_u32_e32 v7, s3, v5
	v_lshlrev_b64 v[3:4], 3, v[3:4]
	v_ashrrev_i32_e32 v6, 31, v5
	s_delay_alu instid0(VALU_DEP_3)
	v_add_nc_u32_e32 v9, s3, v7
	s_waitcnt lgkmcnt(0)
	s_add_u32 s0, s0, s4
	s_addc_u32 s1, s1, s5
	v_add_co_u32 v70, vcc_lo, s0, v1
	v_ashrrev_i32_e32 v8, 31, v7
	v_add_co_u32 v72, s2, s0, v36
	s_ashr_i32 s7, s3, 31
	v_add_co_ci_u32_e32 v71, vcc_lo, s1, v2, vcc_lo
	v_lshlrev_b64 v[5:6], 3, v[5:6]
	v_add_co_ci_u32_e64 v73, null, s1, 0, s2
	v_add_co_u32 v68, vcc_lo, s0, v3
	v_add_nc_u32_e32 v14, s3, v9
	s_lshl_b64 s[4:5], s[6:7], 3
	v_add_co_ci_u32_e32 v69, vcc_lo, s1, v4, vcc_lo
	v_lshlrev_b64 v[12:13], 3, v[7:8]
	v_add_co_u32 v74, vcc_lo, v72, s4
	v_ashrrev_i32_e32 v10, 31, v9
	v_add_co_ci_u32_e32 v75, vcc_lo, s5, v73, vcc_lo
	v_add_co_u32 v66, vcc_lo, s0, v5
	v_ashrrev_i32_e32 v15, 31, v14
	v_add_nc_u32_e32 v16, s3, v14
	v_add_co_ci_u32_e32 v67, vcc_lo, s1, v6, vcc_lo
	v_add_co_u32 v76, vcc_lo, s0, v12
	v_lshlrev_b64 v[1:2], 3, v[9:10]
	v_add_co_ci_u32_e32 v77, vcc_lo, s1, v13, vcc_lo
	v_lshlrev_b64 v[12:13], 3, v[14:15]
	v_add_nc_u32_e32 v14, s3, v16
	v_ashrrev_i32_e32 v17, 31, v16
	v_add_co_u32 v84, vcc_lo, s0, v1
	v_add_co_ci_u32_e32 v85, vcc_lo, s1, v2, vcc_lo
	s_delay_alu instid0(VALU_DEP_4) | instskip(NEXT) | instid1(VALU_DEP_4)
	v_ashrrev_i32_e32 v15, 31, v14
	v_lshlrev_b64 v[1:2], 3, v[16:17]
	v_add_co_u32 v80, vcc_lo, s0, v12
	v_add_co_ci_u32_e32 v81, vcc_lo, s1, v13, vcc_lo
	s_delay_alu instid0(VALU_DEP_4) | instskip(NEXT) | instid1(VALU_DEP_4)
	v_lshlrev_b64 v[12:13], 3, v[14:15]
	v_add_co_u32 v82, vcc_lo, s0, v1
	v_add_co_ci_u32_e32 v83, vcc_lo, s1, v2, vcc_lo
	s_clause 0x3
	global_load_b64 v[4:5], v[74:75], off
	global_load_b64 v[6:7], v[70:71], off
	global_load_b64 v[8:9], v[68:69], off
	global_load_b64 v[10:11], v[66:67], off
	v_add_co_u32 v78, vcc_lo, s0, v12
	v_add_co_ci_u32_e32 v79, vcc_lo, s1, v13, vcc_lo
	v_mov_b32_e32 v1, 0
	s_clause 0x5
	global_load_b64 v[12:13], v[76:77], off
	global_load_b64 v[14:15], v[84:85], off
	;; [unrolled: 1-line block ×4, first 2 shown]
	global_load_b64 v[2:3], v36, s[0:1]
	global_load_b64 v[20:21], v[78:79], off
	v_cmp_eq_u32_e64 s0, 0, v0
	s_cmpk_lg_i32 s13, 0x84
	s_cselect_b32 s10, -1, 0
	s_cmpk_eq_i32 s13, 0x84
	s_cbranch_scc1 .LBB73_3
; %bb.2:
	v_cmp_eq_u32_e64 s1, 1, v0
	v_cmp_eq_u32_e64 s2, 2, v0
	;; [unrolled: 1-line block ×5, first 2 shown]
	s_waitcnt vmcnt(1)
	v_cndmask_b32_e64 v22, v3, v5, s1
	v_cndmask_b32_e64 v23, v2, v4, s1
	v_cmp_eq_u32_e64 s6, 6, v0
	v_cmp_eq_u32_e64 s7, 7, v0
	;; [unrolled: 1-line block ×3, first 2 shown]
	v_cndmask_b32_e64 v22, v22, v7, s2
	v_cndmask_b32_e64 v23, v23, v6, s2
	v_cmp_eq_u32_e64 s9, 9, v0
	s_delay_alu instid0(VALU_DEP_3) | instskip(NEXT) | instid1(VALU_DEP_3)
	v_cndmask_b32_e64 v22, v22, v9, s3
	v_cndmask_b32_e64 v23, v23, v8, s3
	s_delay_alu instid0(VALU_DEP_2) | instskip(NEXT) | instid1(VALU_DEP_2)
	v_cndmask_b32_e64 v22, v22, v11, s4
	v_cndmask_b32_e64 v23, v23, v10, s4
	s_delay_alu instid0(VALU_DEP_2) | instskip(NEXT) | instid1(VALU_DEP_2)
	;; [unrolled: 3-line block ×5, first 2 shown]
	v_cndmask_b32_e64 v22, v22, v19, s8
	v_cndmask_b32_e64 v24, v23, v18, s8
	s_waitcnt vmcnt(0)
	s_delay_alu instid0(VALU_DEP_2) | instskip(NEXT) | instid1(VALU_DEP_2)
	v_cndmask_b32_e64 v23, v22, v21, s9
	v_cndmask_b32_e64 v22, v24, v20, s9
	s_delay_alu instid0(VALU_DEP_1) | instskip(SKIP_1) | instid1(VALU_DEP_2)
	v_div_scale_f64 v[24:25], null, v[22:23], v[22:23], 1.0
	v_div_scale_f64 v[30:31], vcc_lo, 1.0, v[22:23], 1.0
	v_rcp_f64_e32 v[26:27], v[24:25]
	s_waitcnt_depctr 0xfff
	v_fma_f64 v[28:29], -v[24:25], v[26:27], 1.0
	s_delay_alu instid0(VALU_DEP_1) | instskip(NEXT) | instid1(VALU_DEP_1)
	v_fma_f64 v[26:27], v[26:27], v[28:29], v[26:27]
	v_fma_f64 v[28:29], -v[24:25], v[26:27], 1.0
	s_delay_alu instid0(VALU_DEP_1) | instskip(NEXT) | instid1(VALU_DEP_1)
	v_fma_f64 v[26:27], v[26:27], v[28:29], v[26:27]
	v_mul_f64 v[28:29], v[30:31], v[26:27]
	s_delay_alu instid0(VALU_DEP_1) | instskip(NEXT) | instid1(VALU_DEP_1)
	v_fma_f64 v[24:25], -v[24:25], v[28:29], v[30:31]
	v_div_fmas_f64 v[24:25], v[24:25], v[26:27], v[28:29]
	s_delay_alu instid0(VALU_DEP_1) | instskip(NEXT) | instid1(VALU_DEP_1)
	v_div_fixup_f64 v[34:35], v[24:25], v[22:23], 1.0
	v_cndmask_b32_e64 v21, v21, v35, s9
	s_delay_alu instid0(VALU_DEP_2)
	v_cndmask_b32_e64 v20, v20, v34, s9
	v_cndmask_b32_e64 v19, v19, v35, s8
	;; [unrolled: 1-line block ×19, first 2 shown]
	v_xor_b32_e32 v35, 0x80000000, v35
.LBB73_3:
	v_add_nc_u32_e32 v88, 0x50, v36
	s_cmpk_eq_i32 s12, 0x79
	ds_store_b64 v36, v[34:35]
	s_cbranch_scc1 .LBB73_7
; %bb.4:
	s_waitcnt vmcnt(0)
	v_dual_mov_b32 v65, v33 :: v_dual_mov_b32 v64, v32
	v_dual_mov_b32 v63, v31 :: v_dual_mov_b32 v62, v30
	;; [unrolled: 1-line block ×16, first 2 shown]
	v_cmp_eq_u32_e64 s0, 9, v0
	ds_store_b64 v88, v[18:19]
	s_waitcnt lgkmcnt(0)
	s_barrier
	buffer_gl0_inv
	s_and_saveexec_b32 s1, s0
	s_cbranch_execz .LBB73_11
; %bb.5:
	s_and_b32 vcc_lo, exec_lo, s10
	s_cbranch_vccz .LBB73_8
; %bb.6:
	v_cmp_eq_u32_e32 vcc_lo, 1, v0
	v_dual_cndmask_b32 v34, v3, v5 :: v_dual_cndmask_b32 v35, v2, v4
	v_cmp_eq_u32_e32 vcc_lo, 2, v0
	s_delay_alu instid0(VALU_DEP_2) | instskip(SKIP_1) | instid1(VALU_DEP_2)
	v_dual_cndmask_b32 v34, v34, v7 :: v_dual_cndmask_b32 v35, v35, v6
	v_cmp_eq_u32_e32 vcc_lo, 3, v0
	v_dual_cndmask_b32 v34, v34, v9 :: v_dual_cndmask_b32 v35, v35, v8
	v_cmp_eq_u32_e32 vcc_lo, 4, v0
	s_delay_alu instid0(VALU_DEP_2) | instskip(SKIP_1) | instid1(VALU_DEP_2)
	v_dual_cndmask_b32 v34, v34, v11 :: v_dual_cndmask_b32 v35, v35, v10
	v_cmp_eq_u32_e32 vcc_lo, 5, v0
	v_dual_cndmask_b32 v34, v34, v13 :: v_dual_cndmask_b32 v35, v35, v12
	v_cmp_eq_u32_e32 vcc_lo, 6, v0
	s_delay_alu instid0(VALU_DEP_2) | instskip(SKIP_4) | instid1(VALU_DEP_2)
	v_dual_cndmask_b32 v36, v34, v15 :: v_dual_cndmask_b32 v37, v35, v14
	v_cmp_eq_u32_e32 vcc_lo, 7, v0
	ds_load_b64 v[34:35], v88
	v_dual_cndmask_b32 v36, v36, v17 :: v_dual_cndmask_b32 v37, v37, v16
	v_cmp_eq_u32_e32 vcc_lo, 8, v0
	v_cndmask_b32_e32 v36, v36, v19, vcc_lo
	s_delay_alu instid0(VALU_DEP_3) | instskip(SKIP_1) | instid1(VALU_DEP_2)
	v_cndmask_b32_e32 v38, v37, v18, vcc_lo
	v_cmp_eq_u32_e32 vcc_lo, 9, v0
	v_dual_cndmask_b32 v37, v36, v21 :: v_dual_cndmask_b32 v36, v38, v20
	s_waitcnt lgkmcnt(0)
	s_delay_alu instid0(VALU_DEP_1)
	v_mul_f64 v[34:35], v[36:37], v[34:35]
	s_cbranch_execz .LBB73_9
	s_branch .LBB73_10
.LBB73_7:
                                        ; implicit-def: $vgpr34_vgpr35_vgpr36_vgpr37_vgpr38_vgpr39_vgpr40_vgpr41_vgpr42_vgpr43_vgpr44_vgpr45_vgpr46_vgpr47_vgpr48_vgpr49_vgpr50_vgpr51_vgpr52_vgpr53_vgpr54_vgpr55_vgpr56_vgpr57_vgpr58_vgpr59_vgpr60_vgpr61_vgpr62_vgpr63_vgpr64_vgpr65
	s_cbranch_execnz .LBB73_132
	s_branch .LBB73_229
.LBB73_8:
                                        ; implicit-def: $vgpr34_vgpr35
.LBB73_9:
	ds_load_b64 v[34:35], v88
.LBB73_10:
	v_mov_b32_e32 v36, 0
	v_dual_mov_b32 v38, v6 :: v_dual_mov_b32 v41, v9
	v_dual_mov_b32 v40, v8 :: v_dual_mov_b32 v43, v11
	ds_load_b64 v[36:37], v36 offset:64
	v_dual_mov_b32 v42, v10 :: v_dual_mov_b32 v45, v13
	v_dual_mov_b32 v44, v12 :: v_dual_mov_b32 v47, v15
	;; [unrolled: 1-line block ×5, first 2 shown]
	s_waitcnt lgkmcnt(0)
	v_mul_f64 v[50:51], v[34:35], v[36:37]
	v_dual_mov_b32 v34, v2 :: v_dual_mov_b32 v37, v5
	v_dual_mov_b32 v35, v3 :: v_dual_mov_b32 v36, v4
.LBB73_11:
	s_or_b32 exec_lo, exec_lo, s1
	v_cmp_lt_u32_e64 s1, 7, v0
	ds_store_b64 v88, v[48:49]
	s_waitcnt lgkmcnt(0)
	s_barrier
	buffer_gl0_inv
	s_and_saveexec_b32 s2, s1
	s_cbranch_execz .LBB73_19
; %bb.12:
	s_and_not1_b32 vcc_lo, exec_lo, s10
	s_cbranch_vccnz .LBB73_14
; %bb.13:
	v_cmp_eq_u32_e32 vcc_lo, 1, v0
	v_dual_cndmask_b32 v54, v35, v37 :: v_dual_cndmask_b32 v55, v34, v36
	v_cmp_eq_u32_e32 vcc_lo, 2, v0
	s_delay_alu instid0(VALU_DEP_2) | instskip(SKIP_1) | instid1(VALU_DEP_2)
	v_dual_cndmask_b32 v54, v54, v39 :: v_dual_cndmask_b32 v55, v55, v38
	v_cmp_eq_u32_e32 vcc_lo, 3, v0
	v_dual_cndmask_b32 v54, v54, v41 :: v_dual_cndmask_b32 v55, v55, v40
	v_cmp_eq_u32_e32 vcc_lo, 4, v0
	s_delay_alu instid0(VALU_DEP_2) | instskip(SKIP_1) | instid1(VALU_DEP_2)
	v_dual_cndmask_b32 v54, v54, v43 :: v_dual_cndmask_b32 v55, v55, v42
	v_cmp_eq_u32_e32 vcc_lo, 5, v0
	v_dual_cndmask_b32 v54, v54, v45 :: v_dual_cndmask_b32 v55, v55, v44
	v_cmp_eq_u32_e32 vcc_lo, 6, v0
	s_delay_alu instid0(VALU_DEP_2) | instskip(SKIP_4) | instid1(VALU_DEP_2)
	v_dual_cndmask_b32 v56, v54, v47 :: v_dual_cndmask_b32 v57, v55, v46
	v_cmp_eq_u32_e32 vcc_lo, 7, v0
	ds_load_b64 v[54:55], v88
	v_dual_cndmask_b32 v49, v56, v49 :: v_dual_cndmask_b32 v48, v57, v48
	v_cmp_eq_u32_e32 vcc_lo, 8, v0
	v_dual_cndmask_b32 v49, v49, v51 :: v_dual_cndmask_b32 v48, v48, v50
	v_cmp_eq_u32_e32 vcc_lo, 9, v0
	s_delay_alu instid0(VALU_DEP_2) | instskip(SKIP_1) | instid1(VALU_DEP_1)
	v_dual_cndmask_b32 v49, v49, v53 :: v_dual_cndmask_b32 v48, v48, v52
	s_waitcnt lgkmcnt(0)
	v_mul_f64 v[48:49], v[48:49], v[54:55]
	s_cbranch_execz .LBB73_15
	s_branch .LBB73_16
.LBB73_14:
                                        ; implicit-def: $vgpr48_vgpr49
.LBB73_15:
	ds_load_b64 v[48:49], v88
.LBB73_16:
	s_and_saveexec_b32 s3, s0
	s_cbranch_execz .LBB73_18
; %bb.17:
	v_mov_b32_e32 v54, 0
	ds_load_b64 v[54:55], v54 offset:144
	s_waitcnt lgkmcnt(0)
	v_fma_f64 v[48:49], v[50:51], v[54:55], v[48:49]
.LBB73_18:
	s_or_b32 exec_lo, exec_lo, s3
	v_mov_b32_e32 v54, 0
	ds_load_b64 v[54:55], v54 offset:56
	s_waitcnt lgkmcnt(0)
	v_mul_f64 v[48:49], v[48:49], v[54:55]
.LBB73_19:
	s_or_b32 exec_lo, exec_lo, s2
	v_cmp_lt_u32_e64 s0, 6, v0
	ds_store_b64 v88, v[46:47]
	s_waitcnt lgkmcnt(0)
	s_barrier
	buffer_gl0_inv
	s_and_saveexec_b32 s4, s0
	s_cbranch_execz .LBB73_35
; %bb.20:
	s_and_not1_b32 vcc_lo, exec_lo, s10
	s_cbranch_vccnz .LBB73_22
; %bb.21:
	v_cmp_eq_u32_e32 vcc_lo, 1, v0
	v_dual_cndmask_b32 v86, v35, v37 :: v_dual_cndmask_b32 v87, v34, v36
	v_cmp_eq_u32_e32 vcc_lo, 2, v0
	s_delay_alu instid0(VALU_DEP_2) | instskip(SKIP_1) | instid1(VALU_DEP_2)
	v_dual_cndmask_b32 v86, v86, v39 :: v_dual_cndmask_b32 v87, v87, v38
	v_cmp_eq_u32_e32 vcc_lo, 3, v0
	v_dual_cndmask_b32 v86, v86, v41 :: v_dual_cndmask_b32 v87, v87, v40
	v_cmp_eq_u32_e32 vcc_lo, 4, v0
	s_delay_alu instid0(VALU_DEP_2) | instskip(SKIP_1) | instid1(VALU_DEP_2)
	v_dual_cndmask_b32 v86, v86, v43 :: v_dual_cndmask_b32 v87, v87, v42
	v_cmp_eq_u32_e32 vcc_lo, 5, v0
	v_dual_cndmask_b32 v86, v86, v45 :: v_dual_cndmask_b32 v87, v87, v44
	v_cmp_eq_u32_e32 vcc_lo, 6, v0
	s_delay_alu instid0(VALU_DEP_2) | instskip(SKIP_4) | instid1(VALU_DEP_2)
	v_dual_cndmask_b32 v89, v86, v47 :: v_dual_cndmask_b32 v90, v87, v46
	v_cmp_eq_u32_e32 vcc_lo, 7, v0
	ds_load_b64 v[86:87], v88
	v_dual_cndmask_b32 v89, v89, v49 :: v_dual_cndmask_b32 v90, v90, v48
	v_cmp_eq_u32_e32 vcc_lo, 8, v0
	v_cndmask_b32_e32 v89, v89, v51, vcc_lo
	s_delay_alu instid0(VALU_DEP_3) | instskip(SKIP_1) | instid1(VALU_DEP_2)
	v_cndmask_b32_e32 v91, v90, v50, vcc_lo
	v_cmp_eq_u32_e32 vcc_lo, 9, v0
	v_dual_cndmask_b32 v90, v89, v53 :: v_dual_cndmask_b32 v89, v91, v52
	s_waitcnt lgkmcnt(0)
	s_delay_alu instid0(VALU_DEP_1)
	v_mul_f64 v[86:87], v[89:90], v[86:87]
	s_cbranch_execz .LBB73_23
	s_branch .LBB73_24
.LBB73_22:
                                        ; implicit-def: $vgpr86_vgpr87
.LBB73_23:
	ds_load_b64 v[86:87], v88
.LBB73_24:
	s_and_saveexec_b32 s5, s1
	s_cbranch_execz .LBB73_34
; %bb.25:
	v_dual_mov_b32 v91, 7 :: v_dual_add_nc_u32 v90, -8, v0
	v_add_nc_u32_e32 v89, -7, v0
	s_mov_b32 s1, exec_lo
	s_delay_alu instid0(VALU_DEP_2)
	v_cmpx_lt_u32_e32 6, v90
	s_cbranch_execz .LBB73_29
; %bb.26:
	s_delay_alu instid0(VALU_DEP_2) | instskip(SKIP_3) | instid1(VALU_DEP_1)
	v_and_b32_e32 v90, -8, v89
	s_mov_b32 s6, 0
	s_mov_b64 s[2:3], 14
	s_movk_i32 s7, 0x88
	v_sub_nc_u32_e32 v90, 0, v90
.LBB73_27:                              ; =>This Inner Loop Header: Depth=1
	v_mov_b32_e32 v101, s7
	s_lshl_b32 s8, s2, 1
	s_delay_alu instid0(SALU_CYCLE_1)
	s_add_i32 m0, s8, -13
	v_movrels_b32_e32 v100, v34
	ds_load_2addr_b64 v[91:94], v101 offset1:1
	ds_load_2addr_b64 v[95:98], v101 offset0:2 offset1:3
	s_add_i32 m0, s8, -14
	v_movrels_b32_e32 v99, v34
	s_add_i32 m0, s8, -11
	s_waitcnt lgkmcnt(1)
	s_delay_alu instid0(VALU_DEP_1) | instskip(SKIP_4) | instid1(VALU_DEP_1)
	v_fma_f64 v[86:87], v[99:100], v[91:92], v[86:87]
	v_movrels_b32_e32 v92, v34
	s_add_i32 m0, s8, -12
	v_movrels_b32_e32 v91, v34
	s_add_i32 m0, s8, -9
	v_fma_f64 v[86:87], v[91:92], v[93:94], v[86:87]
	v_movrels_b32_e32 v92, v34
	s_add_i32 m0, s8, -10
	v_movrels_b32_e32 v91, v34
	s_add_i32 m0, s8, -7
	s_waitcnt lgkmcnt(0)
	s_delay_alu instid0(VALU_DEP_1)
	v_fma_f64 v[86:87], v[91:92], v[95:96], v[86:87]
	v_movrels_b32_e32 v92, v34
	s_add_i32 m0, s8, -8
	v_movrels_b32_e32 v91, v34
	s_add_i32 m0, s8, -5
	;; [unrolled: 2-line block ×4, first 2 shown]
	v_fma_f64 v[86:87], v[91:92], v[97:98], v[86:87]
	ds_load_2addr_b64 v[91:94], v101 offset0:4 offset1:5
	ds_load_2addr_b64 v[95:98], v101 offset0:6 offset1:7
	s_waitcnt lgkmcnt(1)
	v_fma_f64 v[86:87], v[99:100], v[91:92], v[86:87]
	v_movrels_b32_e32 v92, v34
	s_add_i32 m0, s8, -4
	v_movrels_b32_e32 v91, v34
	s_add_i32 m0, s8, -1
	s_delay_alu instid0(VALU_DEP_1)
	v_fma_f64 v[86:87], v[91:92], v[93:94], v[86:87]
	v_movrels_b32_e32 v92, v34
	s_add_i32 m0, s8, -2
	s_add_u32 s2, s2, 8
	v_movrels_b32_e32 v91, v34
	s_mov_b32 m0, s8
	s_addc_u32 s3, s3, 0
	s_add_i32 s8, s2, -7
	s_add_i32 s7, s7, 64
	s_waitcnt lgkmcnt(0)
	s_delay_alu instid0(VALU_DEP_3) | instskip(SKIP_2) | instid1(VALU_DEP_1)
	v_fma_f64 v[86:87], v[91:92], v[95:96], v[86:87]
	v_movrels_b32_e32 v92, v35
	v_movrels_b32_e32 v91, v34
	v_fma_f64 v[86:87], v[91:92], v[97:98], v[86:87]
	v_add_nc_u32_e32 v91, s2, v90
	s_delay_alu instid0(VALU_DEP_1) | instskip(SKIP_2) | instid1(SALU_CYCLE_1)
	v_cmp_eq_u32_e32 vcc_lo, 14, v91
	v_mov_b32_e32 v91, s8
	s_or_b32 s6, vcc_lo, s6
	s_and_not1_b32 exec_lo, exec_lo, s6
	s_cbranch_execnz .LBB73_27
; %bb.28:
	s_or_b32 exec_lo, exec_lo, s6
.LBB73_29:
	s_delay_alu instid0(SALU_CYCLE_1) | instskip(SKIP_3) | instid1(VALU_DEP_1)
	s_or_b32 exec_lo, exec_lo, s1
	v_and_b32_e32 v54, 7, v89
	s_mov_b32 s3, 0
	s_mov_b32 s2, exec_lo
	v_cmpx_ne_u32_e32 0, v54
	s_cbranch_execz .LBB73_33
; %bb.30:
	v_lshl_add_u32 v55, v91, 3, 0x50
	v_mov_b32_e32 v56, 0
.LBB73_31:                              ; =>This Inner Loop Header: Depth=1
	v_cmp_eq_u32_e32 vcc_lo, 1, v91
	v_cmp_eq_u32_e64 s1, 2, v91
	v_dual_cndmask_b32 v57, v35, v37 :: v_dual_add_nc_u32 v54, -1, v54
	v_cndmask_b32_e32 v58, v34, v36, vcc_lo
	v_cmp_eq_u32_e32 vcc_lo, 3, v91
	s_delay_alu instid0(VALU_DEP_3) | instskip(NEXT) | instid1(VALU_DEP_3)
	v_cndmask_b32_e64 v57, v57, v39, s1
	v_cndmask_b32_e64 v58, v58, v38, s1
	v_cmp_eq_u32_e64 s1, 4, v91
	s_delay_alu instid0(VALU_DEP_2) | instskip(SKIP_1) | instid1(VALU_DEP_2)
	v_dual_cndmask_b32 v57, v57, v41 :: v_dual_cndmask_b32 v58, v58, v40
	v_cmp_eq_u32_e32 vcc_lo, 5, v91
	v_cndmask_b32_e64 v57, v57, v43, s1
	s_delay_alu instid0(VALU_DEP_3) | instskip(SKIP_1) | instid1(VALU_DEP_2)
	v_cndmask_b32_e64 v58, v58, v42, s1
	v_cmp_eq_u32_e64 s1, 6, v91
	v_dual_cndmask_b32 v59, v57, v45 :: v_dual_cndmask_b32 v60, v58, v44
	ds_load_b64 v[57:58], v55
	v_cmp_eq_u32_e32 vcc_lo, 7, v91
	v_add_nc_u32_e32 v55, 8, v55
	v_cndmask_b32_e64 v59, v59, v47, s1
	v_cndmask_b32_e64 v60, v60, v46, s1
	v_cmp_eq_u32_e64 s1, 8, v91
	s_delay_alu instid0(VALU_DEP_2) | instskip(SKIP_1) | instid1(VALU_DEP_2)
	v_dual_cndmask_b32 v59, v59, v49 :: v_dual_cndmask_b32 v60, v60, v48
	v_cmp_eq_u32_e32 vcc_lo, 9, v91
	v_cndmask_b32_e64 v59, v59, v51, s1
	s_delay_alu instid0(VALU_DEP_3) | instskip(SKIP_1) | instid1(VALU_DEP_1)
	v_cndmask_b32_e64 v61, v60, v50, s1
	v_add_co_u32 v91, s1, v91, 1
	v_add_co_ci_u32_e64 v56, s1, 0, v56, s1
	s_delay_alu instid0(VALU_DEP_3) | instskip(SKIP_2) | instid1(VALU_DEP_2)
	v_dual_cndmask_b32 v60, v59, v53 :: v_dual_cndmask_b32 v59, v61, v52
	v_cmp_eq_u32_e32 vcc_lo, 0, v54
	s_waitcnt lgkmcnt(0)
	v_fma_f64 v[86:87], v[59:60], v[57:58], v[86:87]
	s_or_b32 s3, vcc_lo, s3
	s_delay_alu instid0(SALU_CYCLE_1)
	s_and_not1_b32 exec_lo, exec_lo, s3
	s_cbranch_execnz .LBB73_31
; %bb.32:
	s_or_b32 exec_lo, exec_lo, s3
.LBB73_33:
	s_delay_alu instid0(SALU_CYCLE_1)
	s_or_b32 exec_lo, exec_lo, s2
.LBB73_34:
	s_delay_alu instid0(SALU_CYCLE_1)
	s_or_b32 exec_lo, exec_lo, s5
	v_mov_b32_e32 v46, 0
	ds_load_b64 v[46:47], v46 offset:48
	s_waitcnt lgkmcnt(0)
	v_mul_f64 v[46:47], v[86:87], v[46:47]
.LBB73_35:
	s_or_b32 exec_lo, exec_lo, s4
	v_cmp_lt_u32_e64 s2, 5, v0
	ds_store_b64 v88, v[44:45]
	s_waitcnt lgkmcnt(0)
	s_barrier
	buffer_gl0_inv
	s_and_saveexec_b32 s3, s2
	s_cbranch_execz .LBB73_51
; %bb.36:
	s_and_not1_b32 vcc_lo, exec_lo, s10
	s_cbranch_vccnz .LBB73_38
; %bb.37:
	v_cmp_eq_u32_e32 vcc_lo, 1, v0
	v_dual_cndmask_b32 v86, v35, v37 :: v_dual_cndmask_b32 v87, v34, v36
	v_cmp_eq_u32_e32 vcc_lo, 2, v0
	s_delay_alu instid0(VALU_DEP_2) | instskip(SKIP_1) | instid1(VALU_DEP_2)
	v_dual_cndmask_b32 v86, v86, v39 :: v_dual_cndmask_b32 v87, v87, v38
	v_cmp_eq_u32_e32 vcc_lo, 3, v0
	v_dual_cndmask_b32 v86, v86, v41 :: v_dual_cndmask_b32 v87, v87, v40
	v_cmp_eq_u32_e32 vcc_lo, 4, v0
	s_delay_alu instid0(VALU_DEP_2) | instskip(SKIP_1) | instid1(VALU_DEP_2)
	v_dual_cndmask_b32 v86, v86, v43 :: v_dual_cndmask_b32 v87, v87, v42
	v_cmp_eq_u32_e32 vcc_lo, 5, v0
	v_dual_cndmask_b32 v86, v86, v45 :: v_dual_cndmask_b32 v87, v87, v44
	v_cmp_eq_u32_e32 vcc_lo, 6, v0
	s_delay_alu instid0(VALU_DEP_2) | instskip(SKIP_4) | instid1(VALU_DEP_2)
	v_dual_cndmask_b32 v89, v86, v47 :: v_dual_cndmask_b32 v90, v87, v46
	v_cmp_eq_u32_e32 vcc_lo, 7, v0
	ds_load_b64 v[86:87], v88
	v_dual_cndmask_b32 v89, v89, v49 :: v_dual_cndmask_b32 v90, v90, v48
	v_cmp_eq_u32_e32 vcc_lo, 8, v0
	v_cndmask_b32_e32 v89, v89, v51, vcc_lo
	s_delay_alu instid0(VALU_DEP_3) | instskip(SKIP_1) | instid1(VALU_DEP_2)
	v_cndmask_b32_e32 v91, v90, v50, vcc_lo
	v_cmp_eq_u32_e32 vcc_lo, 9, v0
	v_dual_cndmask_b32 v90, v89, v53 :: v_dual_cndmask_b32 v89, v91, v52
	s_waitcnt lgkmcnt(0)
	s_delay_alu instid0(VALU_DEP_1)
	v_mul_f64 v[86:87], v[89:90], v[86:87]
	s_cbranch_execz .LBB73_39
	s_branch .LBB73_40
.LBB73_38:
                                        ; implicit-def: $vgpr86_vgpr87
.LBB73_39:
	ds_load_b64 v[86:87], v88
.LBB73_40:
	s_and_saveexec_b32 s4, s0
	s_cbranch_execz .LBB73_50
; %bb.41:
	v_dual_mov_b32 v91, 6 :: v_dual_add_nc_u32 v90, -7, v0
	v_add_nc_u32_e32 v89, -6, v0
	s_mov_b32 s5, exec_lo
	s_delay_alu instid0(VALU_DEP_2)
	v_cmpx_lt_u32_e32 6, v90
	s_cbranch_execz .LBB73_45
; %bb.42:
	s_delay_alu instid0(VALU_DEP_2) | instskip(SKIP_3) | instid1(VALU_DEP_1)
	v_and_b32_e32 v90, -8, v89
	s_mov_b32 s6, 0
	s_mov_b64 s[0:1], 13
	s_movk_i32 s7, 0x80
	v_sub_nc_u32_e32 v90, 0, v90
.LBB73_43:                              ; =>This Inner Loop Header: Depth=1
	v_mov_b32_e32 v101, s7
	s_lshl_b32 s8, s0, 1
	s_delay_alu instid0(SALU_CYCLE_1)
	s_add_i32 m0, s8, -13
	v_movrels_b32_e32 v100, v34
	ds_load_b128 v[91:94], v101
	ds_load_b128 v[95:98], v101 offset:16
	s_add_i32 m0, s8, -14
	v_movrels_b32_e32 v99, v34
	s_add_i32 m0, s8, -11
	s_waitcnt lgkmcnt(1)
	s_delay_alu instid0(VALU_DEP_1) | instskip(SKIP_4) | instid1(VALU_DEP_1)
	v_fma_f64 v[86:87], v[99:100], v[91:92], v[86:87]
	v_movrels_b32_e32 v92, v34
	s_add_i32 m0, s8, -12
	v_movrels_b32_e32 v91, v34
	s_add_i32 m0, s8, -9
	v_fma_f64 v[86:87], v[91:92], v[93:94], v[86:87]
	v_movrels_b32_e32 v92, v34
	s_add_i32 m0, s8, -10
	v_movrels_b32_e32 v91, v34
	s_add_i32 m0, s8, -7
	s_waitcnt lgkmcnt(0)
	s_delay_alu instid0(VALU_DEP_1)
	v_fma_f64 v[86:87], v[91:92], v[95:96], v[86:87]
	v_movrels_b32_e32 v92, v34
	s_add_i32 m0, s8, -8
	v_movrels_b32_e32 v91, v34
	s_add_i32 m0, s8, -5
	;; [unrolled: 2-line block ×4, first 2 shown]
	v_fma_f64 v[86:87], v[91:92], v[97:98], v[86:87]
	ds_load_b128 v[91:94], v101 offset:32
	ds_load_b128 v[95:98], v101 offset:48
	s_waitcnt lgkmcnt(1)
	v_fma_f64 v[86:87], v[99:100], v[91:92], v[86:87]
	v_movrels_b32_e32 v92, v34
	s_add_i32 m0, s8, -4
	v_movrels_b32_e32 v91, v34
	s_add_i32 m0, s8, -1
	s_delay_alu instid0(VALU_DEP_1)
	v_fma_f64 v[86:87], v[91:92], v[93:94], v[86:87]
	v_movrels_b32_e32 v92, v34
	s_add_i32 m0, s8, -2
	s_add_u32 s0, s0, 8
	v_movrels_b32_e32 v91, v34
	s_mov_b32 m0, s8
	s_addc_u32 s1, s1, 0
	s_add_i32 s8, s0, -7
	s_add_i32 s7, s7, 64
	s_waitcnt lgkmcnt(0)
	s_delay_alu instid0(VALU_DEP_3) | instskip(SKIP_2) | instid1(VALU_DEP_1)
	v_fma_f64 v[86:87], v[91:92], v[95:96], v[86:87]
	v_movrels_b32_e32 v92, v35
	v_movrels_b32_e32 v91, v34
	v_fma_f64 v[86:87], v[91:92], v[97:98], v[86:87]
	v_add_nc_u32_e32 v91, s0, v90
	s_delay_alu instid0(VALU_DEP_1) | instskip(SKIP_2) | instid1(SALU_CYCLE_1)
	v_cmp_eq_u32_e32 vcc_lo, 13, v91
	v_mov_b32_e32 v91, s8
	s_or_b32 s6, vcc_lo, s6
	s_and_not1_b32 exec_lo, exec_lo, s6
	s_cbranch_execnz .LBB73_43
; %bb.44:
	s_or_b32 exec_lo, exec_lo, s6
.LBB73_45:
	s_delay_alu instid0(SALU_CYCLE_1) | instskip(SKIP_3) | instid1(VALU_DEP_1)
	s_or_b32 exec_lo, exec_lo, s5
	v_and_b32_e32 v54, 7, v89
	s_mov_b32 s5, 0
	s_mov_b32 s1, exec_lo
	v_cmpx_ne_u32_e32 0, v54
	s_cbranch_execz .LBB73_49
; %bb.46:
	v_lshl_add_u32 v55, v91, 3, 0x50
	v_mov_b32_e32 v56, 0
.LBB73_47:                              ; =>This Inner Loop Header: Depth=1
	v_cmp_eq_u32_e32 vcc_lo, 1, v91
	v_cmp_eq_u32_e64 s0, 2, v91
	v_dual_cndmask_b32 v57, v35, v37 :: v_dual_add_nc_u32 v54, -1, v54
	v_cndmask_b32_e32 v58, v34, v36, vcc_lo
	v_cmp_eq_u32_e32 vcc_lo, 3, v91
	s_delay_alu instid0(VALU_DEP_3) | instskip(NEXT) | instid1(VALU_DEP_3)
	v_cndmask_b32_e64 v57, v57, v39, s0
	v_cndmask_b32_e64 v58, v58, v38, s0
	v_cmp_eq_u32_e64 s0, 4, v91
	s_delay_alu instid0(VALU_DEP_2) | instskip(SKIP_1) | instid1(VALU_DEP_2)
	v_dual_cndmask_b32 v57, v57, v41 :: v_dual_cndmask_b32 v58, v58, v40
	v_cmp_eq_u32_e32 vcc_lo, 5, v91
	v_cndmask_b32_e64 v57, v57, v43, s0
	s_delay_alu instid0(VALU_DEP_3) | instskip(SKIP_1) | instid1(VALU_DEP_2)
	v_cndmask_b32_e64 v58, v58, v42, s0
	v_cmp_eq_u32_e64 s0, 6, v91
	v_dual_cndmask_b32 v59, v57, v45 :: v_dual_cndmask_b32 v60, v58, v44
	ds_load_b64 v[57:58], v55
	v_cmp_eq_u32_e32 vcc_lo, 7, v91
	v_add_nc_u32_e32 v55, 8, v55
	v_cndmask_b32_e64 v59, v59, v47, s0
	v_cndmask_b32_e64 v60, v60, v46, s0
	v_cmp_eq_u32_e64 s0, 8, v91
	s_delay_alu instid0(VALU_DEP_2) | instskip(SKIP_1) | instid1(VALU_DEP_2)
	v_dual_cndmask_b32 v59, v59, v49 :: v_dual_cndmask_b32 v60, v60, v48
	v_cmp_eq_u32_e32 vcc_lo, 9, v91
	v_cndmask_b32_e64 v59, v59, v51, s0
	s_delay_alu instid0(VALU_DEP_3) | instskip(SKIP_1) | instid1(VALU_DEP_1)
	v_cndmask_b32_e64 v61, v60, v50, s0
	v_add_co_u32 v91, s0, v91, 1
	v_add_co_ci_u32_e64 v56, s0, 0, v56, s0
	s_delay_alu instid0(VALU_DEP_3) | instskip(SKIP_2) | instid1(VALU_DEP_2)
	v_dual_cndmask_b32 v60, v59, v53 :: v_dual_cndmask_b32 v59, v61, v52
	v_cmp_eq_u32_e32 vcc_lo, 0, v54
	s_waitcnt lgkmcnt(0)
	v_fma_f64 v[86:87], v[59:60], v[57:58], v[86:87]
	s_or_b32 s5, vcc_lo, s5
	s_delay_alu instid0(SALU_CYCLE_1)
	s_and_not1_b32 exec_lo, exec_lo, s5
	s_cbranch_execnz .LBB73_47
; %bb.48:
	s_or_b32 exec_lo, exec_lo, s5
.LBB73_49:
	s_delay_alu instid0(SALU_CYCLE_1)
	s_or_b32 exec_lo, exec_lo, s1
.LBB73_50:
	s_delay_alu instid0(SALU_CYCLE_1)
	s_or_b32 exec_lo, exec_lo, s4
	v_mov_b32_e32 v44, 0
	ds_load_b64 v[44:45], v44 offset:40
	s_waitcnt lgkmcnt(0)
	v_mul_f64 v[44:45], v[86:87], v[44:45]
.LBB73_51:
	s_or_b32 exec_lo, exec_lo, s3
	v_cmp_lt_u32_e64 s1, 4, v0
	ds_store_b64 v88, v[42:43]
	s_waitcnt lgkmcnt(0)
	s_barrier
	buffer_gl0_inv
	s_and_saveexec_b32 s4, s1
	s_cbranch_execz .LBB73_67
; %bb.52:
	s_and_not1_b32 vcc_lo, exec_lo, s10
	s_cbranch_vccnz .LBB73_54
; %bb.53:
	v_cmp_eq_u32_e32 vcc_lo, 1, v0
	v_dual_cndmask_b32 v86, v35, v37 :: v_dual_cndmask_b32 v87, v34, v36
	v_cmp_eq_u32_e32 vcc_lo, 2, v0
	s_delay_alu instid0(VALU_DEP_2) | instskip(SKIP_1) | instid1(VALU_DEP_2)
	v_dual_cndmask_b32 v86, v86, v39 :: v_dual_cndmask_b32 v87, v87, v38
	v_cmp_eq_u32_e32 vcc_lo, 3, v0
	v_dual_cndmask_b32 v86, v86, v41 :: v_dual_cndmask_b32 v87, v87, v40
	v_cmp_eq_u32_e32 vcc_lo, 4, v0
	s_delay_alu instid0(VALU_DEP_2) | instskip(SKIP_1) | instid1(VALU_DEP_2)
	v_dual_cndmask_b32 v86, v86, v43 :: v_dual_cndmask_b32 v87, v87, v42
	v_cmp_eq_u32_e32 vcc_lo, 5, v0
	v_dual_cndmask_b32 v86, v86, v45 :: v_dual_cndmask_b32 v87, v87, v44
	v_cmp_eq_u32_e32 vcc_lo, 6, v0
	s_delay_alu instid0(VALU_DEP_2) | instskip(SKIP_4) | instid1(VALU_DEP_2)
	v_dual_cndmask_b32 v89, v86, v47 :: v_dual_cndmask_b32 v90, v87, v46
	v_cmp_eq_u32_e32 vcc_lo, 7, v0
	ds_load_b64 v[86:87], v88
	v_dual_cndmask_b32 v89, v89, v49 :: v_dual_cndmask_b32 v90, v90, v48
	v_cmp_eq_u32_e32 vcc_lo, 8, v0
	v_cndmask_b32_e32 v89, v89, v51, vcc_lo
	s_delay_alu instid0(VALU_DEP_3) | instskip(SKIP_1) | instid1(VALU_DEP_2)
	v_cndmask_b32_e32 v91, v90, v50, vcc_lo
	v_cmp_eq_u32_e32 vcc_lo, 9, v0
	v_dual_cndmask_b32 v90, v89, v53 :: v_dual_cndmask_b32 v89, v91, v52
	s_waitcnt lgkmcnt(0)
	s_delay_alu instid0(VALU_DEP_1)
	v_mul_f64 v[86:87], v[89:90], v[86:87]
	s_cbranch_execz .LBB73_55
	s_branch .LBB73_56
.LBB73_54:
                                        ; implicit-def: $vgpr86_vgpr87
.LBB73_55:
	ds_load_b64 v[86:87], v88
.LBB73_56:
	s_and_saveexec_b32 s5, s2
	s_cbranch_execz .LBB73_66
; %bb.57:
	v_dual_mov_b32 v91, 5 :: v_dual_add_nc_u32 v90, -6, v0
	v_add_nc_u32_e32 v89, -5, v0
	s_mov_b32 s0, exec_lo
	s_delay_alu instid0(VALU_DEP_2)
	v_cmpx_lt_u32_e32 6, v90
	s_cbranch_execz .LBB73_61
; %bb.58:
	s_delay_alu instid0(VALU_DEP_2) | instskip(SKIP_3) | instid1(VALU_DEP_1)
	v_and_b32_e32 v90, -8, v89
	s_mov_b32 s6, 0
	s_mov_b64 s[2:3], 12
	s_movk_i32 s7, 0x78
	v_sub_nc_u32_e32 v90, 0, v90
.LBB73_59:                              ; =>This Inner Loop Header: Depth=1
	v_mov_b32_e32 v101, s7
	s_lshl_b32 s8, s2, 1
	s_delay_alu instid0(SALU_CYCLE_1)
	s_add_i32 m0, s8, -13
	v_movrels_b32_e32 v100, v34
	ds_load_2addr_b64 v[91:94], v101 offset1:1
	ds_load_2addr_b64 v[95:98], v101 offset0:2 offset1:3
	s_add_i32 m0, s8, -14
	v_movrels_b32_e32 v99, v34
	s_add_i32 m0, s8, -11
	s_waitcnt lgkmcnt(1)
	s_delay_alu instid0(VALU_DEP_1) | instskip(SKIP_4) | instid1(VALU_DEP_1)
	v_fma_f64 v[86:87], v[99:100], v[91:92], v[86:87]
	v_movrels_b32_e32 v92, v34
	s_add_i32 m0, s8, -12
	v_movrels_b32_e32 v91, v34
	s_add_i32 m0, s8, -9
	v_fma_f64 v[86:87], v[91:92], v[93:94], v[86:87]
	v_movrels_b32_e32 v92, v34
	s_add_i32 m0, s8, -10
	v_movrels_b32_e32 v91, v34
	s_add_i32 m0, s8, -7
	s_waitcnt lgkmcnt(0)
	s_delay_alu instid0(VALU_DEP_1)
	v_fma_f64 v[86:87], v[91:92], v[95:96], v[86:87]
	v_movrels_b32_e32 v92, v34
	s_add_i32 m0, s8, -8
	v_movrels_b32_e32 v91, v34
	s_add_i32 m0, s8, -5
	;; [unrolled: 2-line block ×4, first 2 shown]
	v_fma_f64 v[86:87], v[91:92], v[97:98], v[86:87]
	ds_load_2addr_b64 v[91:94], v101 offset0:4 offset1:5
	ds_load_2addr_b64 v[95:98], v101 offset0:6 offset1:7
	s_waitcnt lgkmcnt(1)
	v_fma_f64 v[86:87], v[99:100], v[91:92], v[86:87]
	v_movrels_b32_e32 v92, v34
	s_add_i32 m0, s8, -4
	v_movrels_b32_e32 v91, v34
	s_add_i32 m0, s8, -1
	s_delay_alu instid0(VALU_DEP_1)
	v_fma_f64 v[86:87], v[91:92], v[93:94], v[86:87]
	v_movrels_b32_e32 v92, v34
	s_add_i32 m0, s8, -2
	s_add_u32 s2, s2, 8
	v_movrels_b32_e32 v91, v34
	s_mov_b32 m0, s8
	s_addc_u32 s3, s3, 0
	s_add_i32 s8, s2, -7
	s_add_i32 s7, s7, 64
	s_waitcnt lgkmcnt(0)
	s_delay_alu instid0(VALU_DEP_3) | instskip(SKIP_2) | instid1(VALU_DEP_1)
	v_fma_f64 v[86:87], v[91:92], v[95:96], v[86:87]
	v_movrels_b32_e32 v92, v35
	v_movrels_b32_e32 v91, v34
	v_fma_f64 v[86:87], v[91:92], v[97:98], v[86:87]
	v_add_nc_u32_e32 v91, s2, v90
	s_delay_alu instid0(VALU_DEP_1) | instskip(SKIP_2) | instid1(SALU_CYCLE_1)
	v_cmp_eq_u32_e32 vcc_lo, 12, v91
	v_mov_b32_e32 v91, s8
	s_or_b32 s6, vcc_lo, s6
	s_and_not1_b32 exec_lo, exec_lo, s6
	s_cbranch_execnz .LBB73_59
; %bb.60:
	s_or_b32 exec_lo, exec_lo, s6
.LBB73_61:
	s_delay_alu instid0(SALU_CYCLE_1) | instskip(SKIP_3) | instid1(VALU_DEP_1)
	s_or_b32 exec_lo, exec_lo, s0
	v_and_b32_e32 v54, 7, v89
	s_mov_b32 s3, 0
	s_mov_b32 s2, exec_lo
	v_cmpx_ne_u32_e32 0, v54
	s_cbranch_execz .LBB73_65
; %bb.62:
	v_lshl_add_u32 v55, v91, 3, 0x50
	v_mov_b32_e32 v56, 0
.LBB73_63:                              ; =>This Inner Loop Header: Depth=1
	v_cmp_eq_u32_e32 vcc_lo, 1, v91
	v_cmp_eq_u32_e64 s0, 2, v91
	v_dual_cndmask_b32 v57, v35, v37 :: v_dual_add_nc_u32 v54, -1, v54
	v_cndmask_b32_e32 v58, v34, v36, vcc_lo
	v_cmp_eq_u32_e32 vcc_lo, 3, v91
	s_delay_alu instid0(VALU_DEP_3) | instskip(NEXT) | instid1(VALU_DEP_3)
	v_cndmask_b32_e64 v57, v57, v39, s0
	v_cndmask_b32_e64 v58, v58, v38, s0
	v_cmp_eq_u32_e64 s0, 4, v91
	s_delay_alu instid0(VALU_DEP_2) | instskip(SKIP_1) | instid1(VALU_DEP_2)
	v_dual_cndmask_b32 v57, v57, v41 :: v_dual_cndmask_b32 v58, v58, v40
	v_cmp_eq_u32_e32 vcc_lo, 5, v91
	v_cndmask_b32_e64 v57, v57, v43, s0
	s_delay_alu instid0(VALU_DEP_3) | instskip(SKIP_1) | instid1(VALU_DEP_2)
	v_cndmask_b32_e64 v58, v58, v42, s0
	v_cmp_eq_u32_e64 s0, 6, v91
	v_dual_cndmask_b32 v59, v57, v45 :: v_dual_cndmask_b32 v60, v58, v44
	ds_load_b64 v[57:58], v55
	v_cmp_eq_u32_e32 vcc_lo, 7, v91
	v_add_nc_u32_e32 v55, 8, v55
	v_cndmask_b32_e64 v59, v59, v47, s0
	v_cndmask_b32_e64 v60, v60, v46, s0
	v_cmp_eq_u32_e64 s0, 8, v91
	s_delay_alu instid0(VALU_DEP_2) | instskip(SKIP_1) | instid1(VALU_DEP_2)
	v_dual_cndmask_b32 v59, v59, v49 :: v_dual_cndmask_b32 v60, v60, v48
	v_cmp_eq_u32_e32 vcc_lo, 9, v91
	v_cndmask_b32_e64 v59, v59, v51, s0
	s_delay_alu instid0(VALU_DEP_3) | instskip(SKIP_1) | instid1(VALU_DEP_1)
	v_cndmask_b32_e64 v61, v60, v50, s0
	v_add_co_u32 v91, s0, v91, 1
	v_add_co_ci_u32_e64 v56, s0, 0, v56, s0
	s_delay_alu instid0(VALU_DEP_3) | instskip(SKIP_2) | instid1(VALU_DEP_2)
	v_dual_cndmask_b32 v60, v59, v53 :: v_dual_cndmask_b32 v59, v61, v52
	v_cmp_eq_u32_e32 vcc_lo, 0, v54
	s_waitcnt lgkmcnt(0)
	v_fma_f64 v[86:87], v[59:60], v[57:58], v[86:87]
	s_or_b32 s3, vcc_lo, s3
	s_delay_alu instid0(SALU_CYCLE_1)
	s_and_not1_b32 exec_lo, exec_lo, s3
	s_cbranch_execnz .LBB73_63
; %bb.64:
	s_or_b32 exec_lo, exec_lo, s3
.LBB73_65:
	s_delay_alu instid0(SALU_CYCLE_1)
	s_or_b32 exec_lo, exec_lo, s2
.LBB73_66:
	s_delay_alu instid0(SALU_CYCLE_1)
	s_or_b32 exec_lo, exec_lo, s5
	v_mov_b32_e32 v42, 0
	ds_load_b64 v[42:43], v42 offset:32
	s_waitcnt lgkmcnt(0)
	v_mul_f64 v[42:43], v[86:87], v[42:43]
.LBB73_67:
	s_or_b32 exec_lo, exec_lo, s4
	v_cmp_lt_u32_e64 s0, 3, v0
	ds_store_b64 v88, v[40:41]
	s_waitcnt lgkmcnt(0)
	s_barrier
	buffer_gl0_inv
	s_and_saveexec_b32 s4, s0
	s_cbranch_execz .LBB73_83
; %bb.68:
	s_and_not1_b32 vcc_lo, exec_lo, s10
	s_cbranch_vccnz .LBB73_70
; %bb.69:
	v_cmp_eq_u32_e32 vcc_lo, 1, v0
	v_dual_cndmask_b32 v86, v35, v37 :: v_dual_cndmask_b32 v87, v34, v36
	v_cmp_eq_u32_e32 vcc_lo, 2, v0
	s_delay_alu instid0(VALU_DEP_2) | instskip(SKIP_1) | instid1(VALU_DEP_2)
	v_dual_cndmask_b32 v86, v86, v39 :: v_dual_cndmask_b32 v87, v87, v38
	v_cmp_eq_u32_e32 vcc_lo, 3, v0
	v_dual_cndmask_b32 v86, v86, v41 :: v_dual_cndmask_b32 v87, v87, v40
	v_cmp_eq_u32_e32 vcc_lo, 4, v0
	s_delay_alu instid0(VALU_DEP_2) | instskip(SKIP_1) | instid1(VALU_DEP_2)
	v_dual_cndmask_b32 v86, v86, v43 :: v_dual_cndmask_b32 v87, v87, v42
	v_cmp_eq_u32_e32 vcc_lo, 5, v0
	v_dual_cndmask_b32 v86, v86, v45 :: v_dual_cndmask_b32 v87, v87, v44
	v_cmp_eq_u32_e32 vcc_lo, 6, v0
	s_delay_alu instid0(VALU_DEP_2) | instskip(SKIP_4) | instid1(VALU_DEP_2)
	v_dual_cndmask_b32 v89, v86, v47 :: v_dual_cndmask_b32 v90, v87, v46
	v_cmp_eq_u32_e32 vcc_lo, 7, v0
	ds_load_b64 v[86:87], v88
	v_dual_cndmask_b32 v89, v89, v49 :: v_dual_cndmask_b32 v90, v90, v48
	v_cmp_eq_u32_e32 vcc_lo, 8, v0
	v_cndmask_b32_e32 v89, v89, v51, vcc_lo
	s_delay_alu instid0(VALU_DEP_3) | instskip(SKIP_1) | instid1(VALU_DEP_2)
	v_cndmask_b32_e32 v91, v90, v50, vcc_lo
	v_cmp_eq_u32_e32 vcc_lo, 9, v0
	v_dual_cndmask_b32 v90, v89, v53 :: v_dual_cndmask_b32 v89, v91, v52
	s_waitcnt lgkmcnt(0)
	s_delay_alu instid0(VALU_DEP_1)
	v_mul_f64 v[86:87], v[89:90], v[86:87]
	s_cbranch_execz .LBB73_71
	s_branch .LBB73_72
.LBB73_70:
                                        ; implicit-def: $vgpr86_vgpr87
.LBB73_71:
	ds_load_b64 v[86:87], v88
.LBB73_72:
	s_and_saveexec_b32 s5, s1
	s_cbranch_execz .LBB73_82
; %bb.73:
	v_dual_mov_b32 v91, 4 :: v_dual_add_nc_u32 v90, -5, v0
	v_add_nc_u32_e32 v89, -4, v0
	s_mov_b32 s1, exec_lo
	s_delay_alu instid0(VALU_DEP_2)
	v_cmpx_lt_u32_e32 6, v90
	s_cbranch_execz .LBB73_77
; %bb.74:
	s_delay_alu instid0(VALU_DEP_2) | instskip(SKIP_3) | instid1(VALU_DEP_1)
	v_and_b32_e32 v90, -8, v89
	s_mov_b32 s6, 0
	s_mov_b64 s[2:3], 5
	s_movk_i32 s7, 0x70
	v_sub_nc_u32_e32 v90, 0, v90
.LBB73_75:                              ; =>This Inner Loop Header: Depth=1
	v_mov_b32_e32 v101, s7
	s_lshl_b32 s8, s2, 1
	s_delay_alu instid0(SALU_CYCLE_1)
	s_add_i32 m0, s8, -1
	s_add_i32 s9, s8, 3
	ds_load_b128 v[91:94], v101
	ds_load_b128 v[95:98], v101 offset:16
	v_movrels_b32_e32 v100, v34
	s_add_i32 m0, s8, -2
	s_add_i32 s11, s8, 2
	v_movrels_b32_e32 v99, v34
	s_mov_b32 m0, s8
	s_waitcnt lgkmcnt(1)
	s_delay_alu instid0(VALU_DEP_1) | instskip(SKIP_4) | instid1(VALU_DEP_1)
	v_fma_f64 v[86:87], v[99:100], v[91:92], v[86:87]
	v_movrels_b32_e32 v92, v35
	v_movrels_b32_e32 v91, v34
	s_mov_b32 m0, s9
	s_add_i32 s9, s8, 5
	v_fma_f64 v[86:87], v[91:92], v[93:94], v[86:87]
	v_movrels_b32_e32 v92, v34
	s_mov_b32 m0, s11
	s_add_i32 s11, s8, 4
	v_movrels_b32_e32 v91, v34
	s_mov_b32 m0, s9
	s_add_i32 s9, s8, 7
	s_waitcnt lgkmcnt(0)
	s_delay_alu instid0(VALU_DEP_1)
	v_fma_f64 v[86:87], v[91:92], v[95:96], v[86:87]
	v_movrels_b32_e32 v92, v34
	s_mov_b32 m0, s11
	s_add_i32 s11, s8, 6
	v_movrels_b32_e32 v91, v34
	s_mov_b32 m0, s9
	s_add_i32 s9, s8, 9
	;; [unrolled: 3-line block ×4, first 2 shown]
	v_fma_f64 v[86:87], v[91:92], v[97:98], v[86:87]
	ds_load_b128 v[91:94], v101 offset:32
	ds_load_b128 v[95:98], v101 offset:48
	s_waitcnt lgkmcnt(1)
	v_fma_f64 v[86:87], v[99:100], v[91:92], v[86:87]
	v_movrels_b32_e32 v92, v34
	s_mov_b32 m0, s11
	s_add_i32 s11, s8, 10
	v_movrels_b32_e32 v91, v34
	s_mov_b32 m0, s9
	s_add_i32 s9, s8, 13
	s_add_i32 s8, s8, 12
	s_add_u32 s2, s2, 8
	s_addc_u32 s3, s3, 0
	s_add_i32 s7, s7, 64
	s_delay_alu instid0(VALU_DEP_3)
	v_fma_f64 v[86:87], v[91:92], v[93:94], v[86:87]
	v_movrels_b32_e32 v92, v34
	s_mov_b32 m0, s11
	v_movrels_b32_e32 v91, v34
	s_mov_b32 m0, s9
	s_waitcnt lgkmcnt(0)
	s_delay_alu instid0(VALU_DEP_1) | instskip(SKIP_4) | instid1(VALU_DEP_1)
	v_fma_f64 v[86:87], v[91:92], v[95:96], v[86:87]
	v_movrels_b32_e32 v92, v34
	s_mov_b32 m0, s8
	s_add_i32 s8, s2, -1
	v_movrels_b32_e32 v91, v34
	v_fma_f64 v[86:87], v[91:92], v[97:98], v[86:87]
	v_add_nc_u32_e32 v91, s2, v90
	s_delay_alu instid0(VALU_DEP_1) | instskip(SKIP_2) | instid1(SALU_CYCLE_1)
	v_cmp_eq_u32_e32 vcc_lo, 5, v91
	v_mov_b32_e32 v91, s8
	s_or_b32 s6, vcc_lo, s6
	s_and_not1_b32 exec_lo, exec_lo, s6
	s_cbranch_execnz .LBB73_75
; %bb.76:
	s_or_b32 exec_lo, exec_lo, s6
.LBB73_77:
	s_delay_alu instid0(SALU_CYCLE_1) | instskip(SKIP_3) | instid1(VALU_DEP_1)
	s_or_b32 exec_lo, exec_lo, s1
	v_and_b32_e32 v54, 7, v89
	s_mov_b32 s3, 0
	s_mov_b32 s2, exec_lo
	v_cmpx_ne_u32_e32 0, v54
	s_cbranch_execz .LBB73_81
; %bb.78:
	v_lshl_add_u32 v55, v91, 3, 0x50
	v_mov_b32_e32 v56, 0
.LBB73_79:                              ; =>This Inner Loop Header: Depth=1
	v_cmp_eq_u32_e32 vcc_lo, 1, v91
	v_cmp_eq_u32_e64 s1, 2, v91
	v_dual_cndmask_b32 v57, v35, v37 :: v_dual_add_nc_u32 v54, -1, v54
	v_cndmask_b32_e32 v58, v34, v36, vcc_lo
	v_cmp_eq_u32_e32 vcc_lo, 3, v91
	s_delay_alu instid0(VALU_DEP_3) | instskip(NEXT) | instid1(VALU_DEP_3)
	v_cndmask_b32_e64 v57, v57, v39, s1
	v_cndmask_b32_e64 v58, v58, v38, s1
	v_cmp_eq_u32_e64 s1, 4, v91
	s_delay_alu instid0(VALU_DEP_2) | instskip(SKIP_1) | instid1(VALU_DEP_2)
	v_dual_cndmask_b32 v57, v57, v41 :: v_dual_cndmask_b32 v58, v58, v40
	v_cmp_eq_u32_e32 vcc_lo, 5, v91
	v_cndmask_b32_e64 v57, v57, v43, s1
	s_delay_alu instid0(VALU_DEP_3) | instskip(SKIP_1) | instid1(VALU_DEP_2)
	v_cndmask_b32_e64 v58, v58, v42, s1
	v_cmp_eq_u32_e64 s1, 6, v91
	v_dual_cndmask_b32 v59, v57, v45 :: v_dual_cndmask_b32 v60, v58, v44
	ds_load_b64 v[57:58], v55
	v_cmp_eq_u32_e32 vcc_lo, 7, v91
	v_add_nc_u32_e32 v55, 8, v55
	v_cndmask_b32_e64 v59, v59, v47, s1
	v_cndmask_b32_e64 v60, v60, v46, s1
	v_cmp_eq_u32_e64 s1, 8, v91
	s_delay_alu instid0(VALU_DEP_2) | instskip(SKIP_1) | instid1(VALU_DEP_2)
	v_dual_cndmask_b32 v59, v59, v49 :: v_dual_cndmask_b32 v60, v60, v48
	v_cmp_eq_u32_e32 vcc_lo, 9, v91
	v_cndmask_b32_e64 v59, v59, v51, s1
	s_delay_alu instid0(VALU_DEP_3) | instskip(SKIP_1) | instid1(VALU_DEP_1)
	v_cndmask_b32_e64 v61, v60, v50, s1
	v_add_co_u32 v91, s1, v91, 1
	v_add_co_ci_u32_e64 v56, s1, 0, v56, s1
	s_delay_alu instid0(VALU_DEP_3) | instskip(SKIP_2) | instid1(VALU_DEP_2)
	v_dual_cndmask_b32 v60, v59, v53 :: v_dual_cndmask_b32 v59, v61, v52
	v_cmp_eq_u32_e32 vcc_lo, 0, v54
	s_waitcnt lgkmcnt(0)
	v_fma_f64 v[86:87], v[59:60], v[57:58], v[86:87]
	s_or_b32 s3, vcc_lo, s3
	s_delay_alu instid0(SALU_CYCLE_1)
	s_and_not1_b32 exec_lo, exec_lo, s3
	s_cbranch_execnz .LBB73_79
; %bb.80:
	s_or_b32 exec_lo, exec_lo, s3
.LBB73_81:
	s_delay_alu instid0(SALU_CYCLE_1)
	s_or_b32 exec_lo, exec_lo, s2
.LBB73_82:
	s_delay_alu instid0(SALU_CYCLE_1)
	s_or_b32 exec_lo, exec_lo, s5
	v_mov_b32_e32 v40, 0
	ds_load_b64 v[40:41], v40 offset:24
	s_waitcnt lgkmcnt(0)
	v_mul_f64 v[40:41], v[86:87], v[40:41]
.LBB73_83:
	s_or_b32 exec_lo, exec_lo, s4
	v_cmp_lt_u32_e64 s1, 2, v0
	ds_store_b64 v88, v[38:39]
	s_waitcnt lgkmcnt(0)
	s_barrier
	buffer_gl0_inv
	s_and_saveexec_b32 s4, s1
	s_cbranch_execz .LBB73_99
; %bb.84:
	s_and_not1_b32 vcc_lo, exec_lo, s10
	s_cbranch_vccnz .LBB73_86
; %bb.85:
	v_cmp_eq_u32_e32 vcc_lo, 1, v0
	v_dual_cndmask_b32 v86, v35, v37 :: v_dual_cndmask_b32 v87, v34, v36
	v_cmp_eq_u32_e32 vcc_lo, 2, v0
	s_delay_alu instid0(VALU_DEP_2) | instskip(SKIP_1) | instid1(VALU_DEP_2)
	v_dual_cndmask_b32 v86, v86, v39 :: v_dual_cndmask_b32 v87, v87, v38
	v_cmp_eq_u32_e32 vcc_lo, 3, v0
	v_dual_cndmask_b32 v86, v86, v41 :: v_dual_cndmask_b32 v87, v87, v40
	v_cmp_eq_u32_e32 vcc_lo, 4, v0
	s_delay_alu instid0(VALU_DEP_2) | instskip(SKIP_1) | instid1(VALU_DEP_2)
	v_dual_cndmask_b32 v86, v86, v43 :: v_dual_cndmask_b32 v87, v87, v42
	v_cmp_eq_u32_e32 vcc_lo, 5, v0
	v_dual_cndmask_b32 v86, v86, v45 :: v_dual_cndmask_b32 v87, v87, v44
	v_cmp_eq_u32_e32 vcc_lo, 6, v0
	s_delay_alu instid0(VALU_DEP_2) | instskip(SKIP_4) | instid1(VALU_DEP_2)
	v_dual_cndmask_b32 v89, v86, v47 :: v_dual_cndmask_b32 v90, v87, v46
	v_cmp_eq_u32_e32 vcc_lo, 7, v0
	ds_load_b64 v[86:87], v88
	v_dual_cndmask_b32 v89, v89, v49 :: v_dual_cndmask_b32 v90, v90, v48
	v_cmp_eq_u32_e32 vcc_lo, 8, v0
	v_cndmask_b32_e32 v89, v89, v51, vcc_lo
	s_delay_alu instid0(VALU_DEP_3) | instskip(SKIP_1) | instid1(VALU_DEP_2)
	v_cndmask_b32_e32 v91, v90, v50, vcc_lo
	v_cmp_eq_u32_e32 vcc_lo, 9, v0
	v_dual_cndmask_b32 v90, v89, v53 :: v_dual_cndmask_b32 v89, v91, v52
	s_waitcnt lgkmcnt(0)
	s_delay_alu instid0(VALU_DEP_1)
	v_mul_f64 v[86:87], v[89:90], v[86:87]
	s_cbranch_execz .LBB73_87
	s_branch .LBB73_88
.LBB73_86:
                                        ; implicit-def: $vgpr86_vgpr87
.LBB73_87:
	ds_load_b64 v[86:87], v88
.LBB73_88:
	s_and_saveexec_b32 s5, s0
	s_cbranch_execz .LBB73_98
; %bb.89:
	v_dual_mov_b32 v91, 3 :: v_dual_add_nc_u32 v90, -4, v0
	v_add_nc_u32_e32 v89, -3, v0
	s_mov_b32 s0, exec_lo
	s_delay_alu instid0(VALU_DEP_2)
	v_cmpx_lt_u32_e32 6, v90
	s_cbranch_execz .LBB73_93
; %bb.90:
	s_delay_alu instid0(VALU_DEP_2) | instskip(SKIP_3) | instid1(VALU_DEP_1)
	v_and_b32_e32 v90, -8, v89
	s_mov_b32 s6, 0
	s_mov_b64 s[2:3], 10
	s_movk_i32 s7, 0x68
	v_sub_nc_u32_e32 v90, 0, v90
.LBB73_91:                              ; =>This Inner Loop Header: Depth=1
	v_mov_b32_e32 v101, s7
	s_lshl_b32 s8, s2, 1
	s_delay_alu instid0(SALU_CYCLE_1)
	s_add_i32 m0, s8, -13
	v_movrels_b32_e32 v100, v34
	ds_load_2addr_b64 v[91:94], v101 offset1:1
	ds_load_2addr_b64 v[95:98], v101 offset0:2 offset1:3
	s_add_i32 m0, s8, -14
	v_movrels_b32_e32 v99, v34
	s_add_i32 m0, s8, -11
	s_waitcnt lgkmcnt(1)
	s_delay_alu instid0(VALU_DEP_1) | instskip(SKIP_4) | instid1(VALU_DEP_1)
	v_fma_f64 v[86:87], v[99:100], v[91:92], v[86:87]
	v_movrels_b32_e32 v92, v34
	s_add_i32 m0, s8, -12
	v_movrels_b32_e32 v91, v34
	s_add_i32 m0, s8, -9
	v_fma_f64 v[86:87], v[91:92], v[93:94], v[86:87]
	v_movrels_b32_e32 v92, v34
	s_add_i32 m0, s8, -10
	v_movrels_b32_e32 v91, v34
	s_add_i32 m0, s8, -7
	s_waitcnt lgkmcnt(0)
	s_delay_alu instid0(VALU_DEP_1)
	v_fma_f64 v[86:87], v[91:92], v[95:96], v[86:87]
	v_movrels_b32_e32 v92, v34
	s_add_i32 m0, s8, -8
	v_movrels_b32_e32 v91, v34
	s_add_i32 m0, s8, -5
	;; [unrolled: 2-line block ×4, first 2 shown]
	v_fma_f64 v[86:87], v[91:92], v[97:98], v[86:87]
	ds_load_2addr_b64 v[91:94], v101 offset0:4 offset1:5
	ds_load_2addr_b64 v[95:98], v101 offset0:6 offset1:7
	s_waitcnt lgkmcnt(1)
	v_fma_f64 v[86:87], v[99:100], v[91:92], v[86:87]
	v_movrels_b32_e32 v92, v34
	s_add_i32 m0, s8, -4
	v_movrels_b32_e32 v91, v34
	s_add_i32 m0, s8, -1
	s_delay_alu instid0(VALU_DEP_1)
	v_fma_f64 v[86:87], v[91:92], v[93:94], v[86:87]
	v_movrels_b32_e32 v92, v34
	s_add_i32 m0, s8, -2
	s_add_u32 s2, s2, 8
	v_movrels_b32_e32 v91, v34
	s_mov_b32 m0, s8
	s_addc_u32 s3, s3, 0
	s_add_i32 s8, s2, -7
	s_add_i32 s7, s7, 64
	s_waitcnt lgkmcnt(0)
	s_delay_alu instid0(VALU_DEP_3) | instskip(SKIP_2) | instid1(VALU_DEP_1)
	v_fma_f64 v[86:87], v[91:92], v[95:96], v[86:87]
	v_movrels_b32_e32 v92, v35
	v_movrels_b32_e32 v91, v34
	v_fma_f64 v[86:87], v[91:92], v[97:98], v[86:87]
	v_add_nc_u32_e32 v91, s2, v90
	s_delay_alu instid0(VALU_DEP_1) | instskip(SKIP_2) | instid1(SALU_CYCLE_1)
	v_cmp_eq_u32_e32 vcc_lo, 10, v91
	v_mov_b32_e32 v91, s8
	s_or_b32 s6, vcc_lo, s6
	s_and_not1_b32 exec_lo, exec_lo, s6
	s_cbranch_execnz .LBB73_91
; %bb.92:
	s_or_b32 exec_lo, exec_lo, s6
.LBB73_93:
	s_delay_alu instid0(SALU_CYCLE_1) | instskip(SKIP_3) | instid1(VALU_DEP_1)
	s_or_b32 exec_lo, exec_lo, s0
	v_and_b32_e32 v54, 7, v89
	s_mov_b32 s3, 0
	s_mov_b32 s2, exec_lo
	v_cmpx_ne_u32_e32 0, v54
	s_cbranch_execz .LBB73_97
; %bb.94:
	v_lshl_add_u32 v55, v91, 3, 0x50
	v_mov_b32_e32 v56, 0
.LBB73_95:                              ; =>This Inner Loop Header: Depth=1
	v_cmp_eq_u32_e32 vcc_lo, 1, v91
	v_cmp_eq_u32_e64 s0, 2, v91
	v_dual_cndmask_b32 v57, v35, v37 :: v_dual_add_nc_u32 v54, -1, v54
	v_cndmask_b32_e32 v58, v34, v36, vcc_lo
	v_cmp_eq_u32_e32 vcc_lo, 3, v91
	s_delay_alu instid0(VALU_DEP_3) | instskip(NEXT) | instid1(VALU_DEP_3)
	v_cndmask_b32_e64 v57, v57, v39, s0
	v_cndmask_b32_e64 v58, v58, v38, s0
	v_cmp_eq_u32_e64 s0, 4, v91
	s_delay_alu instid0(VALU_DEP_2) | instskip(SKIP_1) | instid1(VALU_DEP_2)
	v_dual_cndmask_b32 v57, v57, v41 :: v_dual_cndmask_b32 v58, v58, v40
	v_cmp_eq_u32_e32 vcc_lo, 5, v91
	v_cndmask_b32_e64 v57, v57, v43, s0
	s_delay_alu instid0(VALU_DEP_3) | instskip(SKIP_1) | instid1(VALU_DEP_2)
	v_cndmask_b32_e64 v58, v58, v42, s0
	v_cmp_eq_u32_e64 s0, 6, v91
	v_dual_cndmask_b32 v59, v57, v45 :: v_dual_cndmask_b32 v60, v58, v44
	ds_load_b64 v[57:58], v55
	v_cmp_eq_u32_e32 vcc_lo, 7, v91
	v_add_nc_u32_e32 v55, 8, v55
	v_cndmask_b32_e64 v59, v59, v47, s0
	v_cndmask_b32_e64 v60, v60, v46, s0
	v_cmp_eq_u32_e64 s0, 8, v91
	s_delay_alu instid0(VALU_DEP_2) | instskip(SKIP_1) | instid1(VALU_DEP_2)
	v_dual_cndmask_b32 v59, v59, v49 :: v_dual_cndmask_b32 v60, v60, v48
	v_cmp_eq_u32_e32 vcc_lo, 9, v91
	v_cndmask_b32_e64 v59, v59, v51, s0
	s_delay_alu instid0(VALU_DEP_3) | instskip(SKIP_1) | instid1(VALU_DEP_1)
	v_cndmask_b32_e64 v61, v60, v50, s0
	v_add_co_u32 v91, s0, v91, 1
	v_add_co_ci_u32_e64 v56, s0, 0, v56, s0
	s_delay_alu instid0(VALU_DEP_3) | instskip(SKIP_2) | instid1(VALU_DEP_2)
	v_dual_cndmask_b32 v60, v59, v53 :: v_dual_cndmask_b32 v59, v61, v52
	v_cmp_eq_u32_e32 vcc_lo, 0, v54
	s_waitcnt lgkmcnt(0)
	v_fma_f64 v[86:87], v[59:60], v[57:58], v[86:87]
	s_or_b32 s3, vcc_lo, s3
	s_delay_alu instid0(SALU_CYCLE_1)
	s_and_not1_b32 exec_lo, exec_lo, s3
	s_cbranch_execnz .LBB73_95
; %bb.96:
	s_or_b32 exec_lo, exec_lo, s3
.LBB73_97:
	s_delay_alu instid0(SALU_CYCLE_1)
	s_or_b32 exec_lo, exec_lo, s2
.LBB73_98:
	s_delay_alu instid0(SALU_CYCLE_1)
	s_or_b32 exec_lo, exec_lo, s5
	v_mov_b32_e32 v38, 0
	ds_load_b64 v[38:39], v38 offset:16
	s_waitcnt lgkmcnt(0)
	v_mul_f64 v[38:39], v[86:87], v[38:39]
.LBB73_99:
	s_or_b32 exec_lo, exec_lo, s4
	v_cmp_lt_u32_e64 s0, 1, v0
	ds_store_b64 v88, v[36:37]
	s_waitcnt lgkmcnt(0)
	s_barrier
	buffer_gl0_inv
	s_and_saveexec_b32 s4, s0
	s_cbranch_execz .LBB73_115
; %bb.100:
	s_and_not1_b32 vcc_lo, exec_lo, s10
	s_cbranch_vccnz .LBB73_102
; %bb.101:
	v_cmp_eq_u32_e32 vcc_lo, 1, v0
	v_dual_cndmask_b32 v86, v35, v37 :: v_dual_cndmask_b32 v87, v34, v36
	v_cmp_eq_u32_e32 vcc_lo, 2, v0
	s_delay_alu instid0(VALU_DEP_2) | instskip(SKIP_1) | instid1(VALU_DEP_2)
	v_dual_cndmask_b32 v86, v86, v39 :: v_dual_cndmask_b32 v87, v87, v38
	v_cmp_eq_u32_e32 vcc_lo, 3, v0
	v_dual_cndmask_b32 v86, v86, v41 :: v_dual_cndmask_b32 v87, v87, v40
	v_cmp_eq_u32_e32 vcc_lo, 4, v0
	s_delay_alu instid0(VALU_DEP_2) | instskip(SKIP_1) | instid1(VALU_DEP_2)
	v_dual_cndmask_b32 v86, v86, v43 :: v_dual_cndmask_b32 v87, v87, v42
	v_cmp_eq_u32_e32 vcc_lo, 5, v0
	v_dual_cndmask_b32 v86, v86, v45 :: v_dual_cndmask_b32 v87, v87, v44
	v_cmp_eq_u32_e32 vcc_lo, 6, v0
	s_delay_alu instid0(VALU_DEP_2) | instskip(SKIP_4) | instid1(VALU_DEP_2)
	v_dual_cndmask_b32 v89, v86, v47 :: v_dual_cndmask_b32 v90, v87, v46
	v_cmp_eq_u32_e32 vcc_lo, 7, v0
	ds_load_b64 v[86:87], v88
	v_dual_cndmask_b32 v89, v89, v49 :: v_dual_cndmask_b32 v90, v90, v48
	v_cmp_eq_u32_e32 vcc_lo, 8, v0
	v_cndmask_b32_e32 v89, v89, v51, vcc_lo
	s_delay_alu instid0(VALU_DEP_3) | instskip(SKIP_1) | instid1(VALU_DEP_2)
	v_cndmask_b32_e32 v91, v90, v50, vcc_lo
	v_cmp_eq_u32_e32 vcc_lo, 9, v0
	v_dual_cndmask_b32 v90, v89, v53 :: v_dual_cndmask_b32 v89, v91, v52
	s_waitcnt lgkmcnt(0)
	s_delay_alu instid0(VALU_DEP_1)
	v_mul_f64 v[86:87], v[89:90], v[86:87]
	s_cbranch_execz .LBB73_103
	s_branch .LBB73_104
.LBB73_102:
                                        ; implicit-def: $vgpr86_vgpr87
.LBB73_103:
	ds_load_b64 v[86:87], v88
.LBB73_104:
	s_and_saveexec_b32 s5, s1
	s_cbranch_execz .LBB73_114
; %bb.105:
	v_dual_mov_b32 v91, 2 :: v_dual_add_nc_u32 v90, -3, v0
	v_add_nc_u32_e32 v89, -2, v0
	s_mov_b32 s1, exec_lo
	s_delay_alu instid0(VALU_DEP_2)
	v_cmpx_lt_u32_e32 6, v90
	s_cbranch_execz .LBB73_109
; %bb.106:
	s_delay_alu instid0(VALU_DEP_2) | instskip(SKIP_3) | instid1(VALU_DEP_1)
	v_and_b32_e32 v90, -8, v89
	s_mov_b32 s6, 0
	s_mov_b64 s[2:3], 9
	s_movk_i32 s7, 0x60
	v_sub_nc_u32_e32 v90, 0, v90
.LBB73_107:                             ; =>This Inner Loop Header: Depth=1
	v_mov_b32_e32 v101, s7
	s_lshl_b32 s8, s2, 1
	s_delay_alu instid0(SALU_CYCLE_1)
	s_add_i32 m0, s8, -13
	v_movrels_b32_e32 v100, v34
	ds_load_b128 v[91:94], v101
	ds_load_b128 v[95:98], v101 offset:16
	s_add_i32 m0, s8, -14
	v_movrels_b32_e32 v99, v34
	s_add_i32 m0, s8, -11
	s_waitcnt lgkmcnt(1)
	s_delay_alu instid0(VALU_DEP_1) | instskip(SKIP_4) | instid1(VALU_DEP_1)
	v_fma_f64 v[86:87], v[99:100], v[91:92], v[86:87]
	v_movrels_b32_e32 v92, v34
	s_add_i32 m0, s8, -12
	v_movrels_b32_e32 v91, v34
	s_add_i32 m0, s8, -9
	v_fma_f64 v[86:87], v[91:92], v[93:94], v[86:87]
	v_movrels_b32_e32 v92, v34
	s_add_i32 m0, s8, -10
	v_movrels_b32_e32 v91, v34
	s_add_i32 m0, s8, -7
	s_waitcnt lgkmcnt(0)
	s_delay_alu instid0(VALU_DEP_1)
	v_fma_f64 v[86:87], v[91:92], v[95:96], v[86:87]
	v_movrels_b32_e32 v92, v34
	s_add_i32 m0, s8, -8
	v_movrels_b32_e32 v91, v34
	s_add_i32 m0, s8, -5
	;; [unrolled: 2-line block ×4, first 2 shown]
	v_fma_f64 v[86:87], v[91:92], v[97:98], v[86:87]
	ds_load_b128 v[91:94], v101 offset:32
	ds_load_b128 v[95:98], v101 offset:48
	s_waitcnt lgkmcnt(1)
	v_fma_f64 v[86:87], v[99:100], v[91:92], v[86:87]
	v_movrels_b32_e32 v92, v34
	s_add_i32 m0, s8, -4
	v_movrels_b32_e32 v91, v34
	s_add_i32 m0, s8, -1
	s_delay_alu instid0(VALU_DEP_1)
	v_fma_f64 v[86:87], v[91:92], v[93:94], v[86:87]
	v_movrels_b32_e32 v92, v34
	s_add_i32 m0, s8, -2
	s_add_u32 s2, s2, 8
	v_movrels_b32_e32 v91, v34
	s_mov_b32 m0, s8
	s_addc_u32 s3, s3, 0
	s_add_i32 s8, s2, -7
	s_add_i32 s7, s7, 64
	s_waitcnt lgkmcnt(0)
	s_delay_alu instid0(VALU_DEP_3) | instskip(SKIP_2) | instid1(VALU_DEP_1)
	v_fma_f64 v[86:87], v[91:92], v[95:96], v[86:87]
	v_movrels_b32_e32 v92, v35
	v_movrels_b32_e32 v91, v34
	v_fma_f64 v[86:87], v[91:92], v[97:98], v[86:87]
	v_add_nc_u32_e32 v91, s2, v90
	s_delay_alu instid0(VALU_DEP_1) | instskip(SKIP_2) | instid1(SALU_CYCLE_1)
	v_cmp_eq_u32_e32 vcc_lo, 9, v91
	v_mov_b32_e32 v91, s8
	s_or_b32 s6, vcc_lo, s6
	s_and_not1_b32 exec_lo, exec_lo, s6
	s_cbranch_execnz .LBB73_107
; %bb.108:
	s_or_b32 exec_lo, exec_lo, s6
.LBB73_109:
	s_delay_alu instid0(SALU_CYCLE_1) | instskip(SKIP_3) | instid1(VALU_DEP_1)
	s_or_b32 exec_lo, exec_lo, s1
	v_and_b32_e32 v54, 7, v89
	s_mov_b32 s3, 0
	s_mov_b32 s2, exec_lo
	v_cmpx_ne_u32_e32 0, v54
	s_cbranch_execz .LBB73_113
; %bb.110:
	v_lshl_add_u32 v55, v91, 3, 0x50
	v_mov_b32_e32 v56, 0
.LBB73_111:                             ; =>This Inner Loop Header: Depth=1
	v_cmp_eq_u32_e32 vcc_lo, 1, v91
	v_cmp_eq_u32_e64 s1, 2, v91
	v_dual_cndmask_b32 v57, v35, v37 :: v_dual_add_nc_u32 v54, -1, v54
	v_cndmask_b32_e32 v58, v34, v36, vcc_lo
	v_cmp_eq_u32_e32 vcc_lo, 3, v91
	s_delay_alu instid0(VALU_DEP_3) | instskip(NEXT) | instid1(VALU_DEP_3)
	v_cndmask_b32_e64 v57, v57, v39, s1
	v_cndmask_b32_e64 v58, v58, v38, s1
	v_cmp_eq_u32_e64 s1, 4, v91
	s_delay_alu instid0(VALU_DEP_2) | instskip(SKIP_1) | instid1(VALU_DEP_2)
	v_dual_cndmask_b32 v57, v57, v41 :: v_dual_cndmask_b32 v58, v58, v40
	v_cmp_eq_u32_e32 vcc_lo, 5, v91
	v_cndmask_b32_e64 v57, v57, v43, s1
	s_delay_alu instid0(VALU_DEP_3) | instskip(SKIP_1) | instid1(VALU_DEP_2)
	v_cndmask_b32_e64 v58, v58, v42, s1
	v_cmp_eq_u32_e64 s1, 6, v91
	v_dual_cndmask_b32 v59, v57, v45 :: v_dual_cndmask_b32 v60, v58, v44
	ds_load_b64 v[57:58], v55
	v_cmp_eq_u32_e32 vcc_lo, 7, v91
	v_add_nc_u32_e32 v55, 8, v55
	v_cndmask_b32_e64 v59, v59, v47, s1
	v_cndmask_b32_e64 v60, v60, v46, s1
	v_cmp_eq_u32_e64 s1, 8, v91
	s_delay_alu instid0(VALU_DEP_2) | instskip(SKIP_1) | instid1(VALU_DEP_2)
	v_dual_cndmask_b32 v59, v59, v49 :: v_dual_cndmask_b32 v60, v60, v48
	v_cmp_eq_u32_e32 vcc_lo, 9, v91
	v_cndmask_b32_e64 v59, v59, v51, s1
	s_delay_alu instid0(VALU_DEP_3) | instskip(SKIP_1) | instid1(VALU_DEP_1)
	v_cndmask_b32_e64 v61, v60, v50, s1
	v_add_co_u32 v91, s1, v91, 1
	v_add_co_ci_u32_e64 v56, s1, 0, v56, s1
	s_delay_alu instid0(VALU_DEP_3) | instskip(SKIP_2) | instid1(VALU_DEP_2)
	v_dual_cndmask_b32 v60, v59, v53 :: v_dual_cndmask_b32 v59, v61, v52
	v_cmp_eq_u32_e32 vcc_lo, 0, v54
	s_waitcnt lgkmcnt(0)
	v_fma_f64 v[86:87], v[59:60], v[57:58], v[86:87]
	s_or_b32 s3, vcc_lo, s3
	s_delay_alu instid0(SALU_CYCLE_1)
	s_and_not1_b32 exec_lo, exec_lo, s3
	s_cbranch_execnz .LBB73_111
; %bb.112:
	s_or_b32 exec_lo, exec_lo, s3
.LBB73_113:
	s_delay_alu instid0(SALU_CYCLE_1)
	s_or_b32 exec_lo, exec_lo, s2
.LBB73_114:
	s_delay_alu instid0(SALU_CYCLE_1)
	s_or_b32 exec_lo, exec_lo, s5
	v_mov_b32_e32 v36, 0
	ds_load_b64 v[36:37], v36 offset:8
	s_waitcnt lgkmcnt(0)
	v_mul_f64 v[36:37], v[86:87], v[36:37]
.LBB73_115:
	s_or_b32 exec_lo, exec_lo, s4
	s_mov_b32 s2, 0
	s_mov_b32 s3, exec_lo
	ds_store_b64 v88, v[34:35]
	s_waitcnt lgkmcnt(0)
	s_barrier
	buffer_gl0_inv
	v_cmpx_ne_u32_e32 0, v0
	s_cbranch_execz .LBB73_131
; %bb.116:
	s_and_not1_b32 vcc_lo, exec_lo, s10
	s_cbranch_vccnz .LBB73_118
; %bb.117:
	v_cmp_eq_u32_e32 vcc_lo, 1, v0
	v_dual_cndmask_b32 v86, v35, v37 :: v_dual_cndmask_b32 v87, v34, v36
	v_cmp_eq_u32_e32 vcc_lo, 2, v0
	s_delay_alu instid0(VALU_DEP_2) | instskip(SKIP_1) | instid1(VALU_DEP_2)
	v_dual_cndmask_b32 v86, v86, v39 :: v_dual_cndmask_b32 v87, v87, v38
	v_cmp_eq_u32_e32 vcc_lo, 3, v0
	v_dual_cndmask_b32 v86, v86, v41 :: v_dual_cndmask_b32 v87, v87, v40
	v_cmp_eq_u32_e32 vcc_lo, 4, v0
	s_delay_alu instid0(VALU_DEP_2) | instskip(SKIP_1) | instid1(VALU_DEP_2)
	v_dual_cndmask_b32 v86, v86, v43 :: v_dual_cndmask_b32 v87, v87, v42
	v_cmp_eq_u32_e32 vcc_lo, 5, v0
	v_dual_cndmask_b32 v86, v86, v45 :: v_dual_cndmask_b32 v87, v87, v44
	v_cmp_eq_u32_e32 vcc_lo, 6, v0
	s_delay_alu instid0(VALU_DEP_2) | instskip(SKIP_4) | instid1(VALU_DEP_2)
	v_dual_cndmask_b32 v89, v86, v47 :: v_dual_cndmask_b32 v90, v87, v46
	v_cmp_eq_u32_e32 vcc_lo, 7, v0
	ds_load_b64 v[86:87], v88
	v_dual_cndmask_b32 v89, v89, v49 :: v_dual_cndmask_b32 v90, v90, v48
	v_cmp_eq_u32_e32 vcc_lo, 8, v0
	v_cndmask_b32_e32 v89, v89, v51, vcc_lo
	s_delay_alu instid0(VALU_DEP_3) | instskip(SKIP_1) | instid1(VALU_DEP_2)
	v_cndmask_b32_e32 v91, v90, v50, vcc_lo
	v_cmp_eq_u32_e32 vcc_lo, 9, v0
	v_dual_cndmask_b32 v90, v89, v53 :: v_dual_cndmask_b32 v89, v91, v52
	s_waitcnt lgkmcnt(0)
	s_delay_alu instid0(VALU_DEP_1)
	v_mul_f64 v[86:87], v[89:90], v[86:87]
	s_cbranch_execz .LBB73_119
	s_branch .LBB73_120
.LBB73_118:
                                        ; implicit-def: $vgpr86_vgpr87
.LBB73_119:
	ds_load_b64 v[86:87], v88
.LBB73_120:
	s_and_saveexec_b32 s4, s0
	s_cbranch_execz .LBB73_130
; %bb.121:
	v_dual_mov_b32 v91, 1 :: v_dual_add_nc_u32 v90, -2, v0
	v_add_nc_u32_e32 v89, -1, v0
	s_mov_b32 s5, exec_lo
	s_delay_alu instid0(VALU_DEP_2)
	v_cmpx_lt_u32_e32 6, v90
	s_cbranch_execz .LBB73_125
; %bb.122:
	s_delay_alu instid0(VALU_DEP_2) | instskip(SKIP_3) | instid1(VALU_DEP_1)
	v_and_b32_e32 v90, -8, v89
	s_mov_b32 s6, 0
	s_mov_b64 s[0:1], 8
	s_movk_i32 s7, 0x58
	v_sub_nc_u32_e32 v90, 0, v90
.LBB73_123:                             ; =>This Inner Loop Header: Depth=1
	v_mov_b32_e32 v101, s7
	s_lshl_b32 s8, s0, 1
	s_delay_alu instid0(SALU_CYCLE_1)
	s_add_i32 m0, s8, -13
	v_movrels_b32_e32 v100, v34
	ds_load_2addr_b64 v[91:94], v101 offset1:1
	ds_load_2addr_b64 v[95:98], v101 offset0:2 offset1:3
	s_add_i32 m0, s8, -14
	v_movrels_b32_e32 v99, v34
	s_add_i32 m0, s8, -11
	s_waitcnt lgkmcnt(1)
	s_delay_alu instid0(VALU_DEP_1) | instskip(SKIP_4) | instid1(VALU_DEP_1)
	v_fma_f64 v[86:87], v[99:100], v[91:92], v[86:87]
	v_movrels_b32_e32 v92, v34
	s_add_i32 m0, s8, -12
	v_movrels_b32_e32 v91, v34
	s_add_i32 m0, s8, -9
	v_fma_f64 v[86:87], v[91:92], v[93:94], v[86:87]
	v_movrels_b32_e32 v92, v34
	s_add_i32 m0, s8, -10
	v_movrels_b32_e32 v91, v34
	s_add_i32 m0, s8, -7
	s_waitcnt lgkmcnt(0)
	s_delay_alu instid0(VALU_DEP_1)
	v_fma_f64 v[86:87], v[91:92], v[95:96], v[86:87]
	v_movrels_b32_e32 v92, v34
	s_add_i32 m0, s8, -8
	v_movrels_b32_e32 v91, v34
	s_add_i32 m0, s8, -5
	;; [unrolled: 2-line block ×4, first 2 shown]
	v_fma_f64 v[86:87], v[91:92], v[97:98], v[86:87]
	ds_load_2addr_b64 v[91:94], v101 offset0:4 offset1:5
	ds_load_2addr_b64 v[95:98], v101 offset0:6 offset1:7
	s_waitcnt lgkmcnt(1)
	v_fma_f64 v[86:87], v[99:100], v[91:92], v[86:87]
	v_movrels_b32_e32 v92, v34
	s_add_i32 m0, s8, -4
	v_movrels_b32_e32 v91, v34
	s_add_i32 m0, s8, -1
	s_delay_alu instid0(VALU_DEP_1)
	v_fma_f64 v[86:87], v[91:92], v[93:94], v[86:87]
	v_movrels_b32_e32 v92, v34
	s_add_i32 m0, s8, -2
	s_add_u32 s0, s0, 8
	v_movrels_b32_e32 v91, v34
	s_mov_b32 m0, s8
	s_addc_u32 s1, s1, 0
	s_add_i32 s8, s0, -7
	s_add_i32 s7, s7, 64
	s_waitcnt lgkmcnt(0)
	s_delay_alu instid0(VALU_DEP_3) | instskip(SKIP_2) | instid1(VALU_DEP_1)
	v_fma_f64 v[86:87], v[91:92], v[95:96], v[86:87]
	v_movrels_b32_e32 v92, v35
	v_movrels_b32_e32 v91, v34
	v_fma_f64 v[86:87], v[91:92], v[97:98], v[86:87]
	v_add_nc_u32_e32 v91, s0, v90
	s_delay_alu instid0(VALU_DEP_1) | instskip(SKIP_2) | instid1(SALU_CYCLE_1)
	v_cmp_eq_u32_e32 vcc_lo, 8, v91
	v_mov_b32_e32 v91, s8
	s_or_b32 s6, vcc_lo, s6
	s_and_not1_b32 exec_lo, exec_lo, s6
	s_cbranch_execnz .LBB73_123
; %bb.124:
	s_or_b32 exec_lo, exec_lo, s6
.LBB73_125:
	s_delay_alu instid0(SALU_CYCLE_1) | instskip(SKIP_3) | instid1(VALU_DEP_1)
	s_or_b32 exec_lo, exec_lo, s5
	v_and_b32_e32 v54, 7, v89
	s_mov_b32 s5, 0
	s_mov_b32 s1, exec_lo
	v_cmpx_ne_u32_e32 0, v54
	s_cbranch_execz .LBB73_129
; %bb.126:
	v_lshl_add_u32 v55, v91, 3, 0x50
	v_mov_b32_e32 v56, 0
.LBB73_127:                             ; =>This Inner Loop Header: Depth=1
	v_cmp_eq_u32_e32 vcc_lo, 1, v91
	v_cmp_eq_u32_e64 s0, 2, v91
	v_dual_cndmask_b32 v57, v35, v37 :: v_dual_add_nc_u32 v54, -1, v54
	v_cndmask_b32_e32 v58, v34, v36, vcc_lo
	v_cmp_eq_u32_e32 vcc_lo, 3, v91
	s_delay_alu instid0(VALU_DEP_3) | instskip(NEXT) | instid1(VALU_DEP_3)
	v_cndmask_b32_e64 v57, v57, v39, s0
	v_cndmask_b32_e64 v58, v58, v38, s0
	v_cmp_eq_u32_e64 s0, 4, v91
	s_delay_alu instid0(VALU_DEP_2) | instskip(SKIP_1) | instid1(VALU_DEP_2)
	v_dual_cndmask_b32 v57, v57, v41 :: v_dual_cndmask_b32 v58, v58, v40
	v_cmp_eq_u32_e32 vcc_lo, 5, v91
	v_cndmask_b32_e64 v57, v57, v43, s0
	s_delay_alu instid0(VALU_DEP_3) | instskip(SKIP_1) | instid1(VALU_DEP_2)
	v_cndmask_b32_e64 v58, v58, v42, s0
	v_cmp_eq_u32_e64 s0, 6, v91
	v_dual_cndmask_b32 v59, v57, v45 :: v_dual_cndmask_b32 v60, v58, v44
	ds_load_b64 v[57:58], v55
	v_cmp_eq_u32_e32 vcc_lo, 7, v91
	v_add_nc_u32_e32 v55, 8, v55
	v_cndmask_b32_e64 v59, v59, v47, s0
	v_cndmask_b32_e64 v60, v60, v46, s0
	v_cmp_eq_u32_e64 s0, 8, v91
	s_delay_alu instid0(VALU_DEP_2) | instskip(SKIP_1) | instid1(VALU_DEP_2)
	v_dual_cndmask_b32 v59, v59, v49 :: v_dual_cndmask_b32 v60, v60, v48
	v_cmp_eq_u32_e32 vcc_lo, 9, v91
	v_cndmask_b32_e64 v59, v59, v51, s0
	s_delay_alu instid0(VALU_DEP_3) | instskip(SKIP_1) | instid1(VALU_DEP_1)
	v_cndmask_b32_e64 v61, v60, v50, s0
	v_add_co_u32 v91, s0, v91, 1
	v_add_co_ci_u32_e64 v56, s0, 0, v56, s0
	s_delay_alu instid0(VALU_DEP_3) | instskip(SKIP_2) | instid1(VALU_DEP_2)
	v_dual_cndmask_b32 v60, v59, v53 :: v_dual_cndmask_b32 v59, v61, v52
	v_cmp_eq_u32_e32 vcc_lo, 0, v54
	s_waitcnt lgkmcnt(0)
	v_fma_f64 v[86:87], v[59:60], v[57:58], v[86:87]
	s_or_b32 s5, vcc_lo, s5
	s_delay_alu instid0(SALU_CYCLE_1)
	s_and_not1_b32 exec_lo, exec_lo, s5
	s_cbranch_execnz .LBB73_127
; %bb.128:
	s_or_b32 exec_lo, exec_lo, s5
.LBB73_129:
	s_delay_alu instid0(SALU_CYCLE_1)
	s_or_b32 exec_lo, exec_lo, s1
.LBB73_130:
	s_delay_alu instid0(SALU_CYCLE_1)
	s_or_b32 exec_lo, exec_lo, s4
	v_mov_b32_e32 v34, 0
	ds_load_b64 v[34:35], v34
	s_waitcnt lgkmcnt(0)
	v_mul_f64 v[34:35], v[86:87], v[34:35]
.LBB73_131:
	s_or_b32 exec_lo, exec_lo, s3
	s_delay_alu instid0(SALU_CYCLE_1)
	s_and_b32 vcc_lo, exec_lo, s2
	s_cbranch_vccz .LBB73_229
.LBB73_132:
	v_cmp_eq_u32_e64 s0, 0, v0
	s_waitcnt vmcnt(9)
	ds_store_b64 v88, v[4:5]
	s_waitcnt vmcnt(0) lgkmcnt(0)
	s_barrier
	buffer_gl0_inv
	s_and_saveexec_b32 s1, s0
	s_cbranch_execz .LBB73_138
; %bb.133:
	s_and_b32 vcc_lo, exec_lo, s10
	s_cbranch_vccz .LBB73_135
; %bb.134:
	v_cmp_eq_u32_e32 vcc_lo, 1, v0
	v_dual_cndmask_b32 v5, v3, v5 :: v_dual_cndmask_b32 v4, v2, v4
	v_cmp_eq_u32_e32 vcc_lo, 2, v0
	s_delay_alu instid0(VALU_DEP_2) | instskip(SKIP_1) | instid1(VALU_DEP_2)
	v_dual_cndmask_b32 v5, v5, v7 :: v_dual_cndmask_b32 v4, v4, v6
	v_cmp_eq_u32_e32 vcc_lo, 3, v0
	v_dual_cndmask_b32 v5, v5, v9 :: v_dual_cndmask_b32 v4, v4, v8
	v_cmp_eq_u32_e32 vcc_lo, 4, v0
	s_delay_alu instid0(VALU_DEP_2) | instskip(SKIP_1) | instid1(VALU_DEP_2)
	v_dual_cndmask_b32 v5, v5, v11 :: v_dual_cndmask_b32 v4, v4, v10
	v_cmp_eq_u32_e32 vcc_lo, 5, v0
	v_dual_cndmask_b32 v5, v5, v13 :: v_dual_cndmask_b32 v4, v4, v12
	v_cmp_eq_u32_e32 vcc_lo, 6, v0
	s_delay_alu instid0(VALU_DEP_2) | instskip(SKIP_4) | instid1(VALU_DEP_2)
	v_dual_cndmask_b32 v22, v5, v15 :: v_dual_cndmask_b32 v23, v4, v14
	v_cmp_eq_u32_e32 vcc_lo, 7, v0
	ds_load_b64 v[4:5], v88
	v_dual_cndmask_b32 v22, v22, v17 :: v_dual_cndmask_b32 v23, v23, v16
	v_cmp_eq_u32_e32 vcc_lo, 8, v0
	v_cndmask_b32_e32 v22, v22, v19, vcc_lo
	s_delay_alu instid0(VALU_DEP_3) | instskip(SKIP_1) | instid1(VALU_DEP_2)
	v_cndmask_b32_e32 v24, v23, v18, vcc_lo
	v_cmp_eq_u32_e32 vcc_lo, 9, v0
	v_dual_cndmask_b32 v23, v22, v21 :: v_dual_cndmask_b32 v22, v24, v20
	s_waitcnt lgkmcnt(0)
	s_delay_alu instid0(VALU_DEP_1)
	v_mul_f64 v[4:5], v[22:23], v[4:5]
	s_cbranch_execz .LBB73_136
	s_branch .LBB73_137
.LBB73_135:
                                        ; implicit-def: $vgpr4_vgpr5
.LBB73_136:
	ds_load_b64 v[4:5], v88
.LBB73_137:
	v_mov_b32_e32 v22, 0
	ds_load_b64 v[22:23], v22 offset:8
	s_waitcnt lgkmcnt(0)
	v_mul_f64 v[4:5], v[4:5], v[22:23]
.LBB73_138:
	s_or_b32 exec_lo, exec_lo, s1
	v_add_nc_u32_e32 v34, 1, v0
	v_cmp_gt_u32_e64 s1, 2, v0
	v_cndmask_b32_e64 v35, 0, 1, s10
	ds_store_b64 v88, v[6:7]
	s_waitcnt lgkmcnt(0)
	s_barrier
	buffer_gl0_inv
	s_and_saveexec_b32 s2, s1
	s_cbranch_execz .LBB73_146
; %bb.139:
	s_and_not1_b32 vcc_lo, exec_lo, s10
	s_cbranch_vccnz .LBB73_141
; %bb.140:
	v_cmp_eq_u32_e32 vcc_lo, 1, v0
	v_dual_cndmask_b32 v22, v3, v5 :: v_dual_cndmask_b32 v23, v2, v4
	v_cmp_eq_u32_e32 vcc_lo, 2, v0
	s_delay_alu instid0(VALU_DEP_2) | instskip(SKIP_1) | instid1(VALU_DEP_2)
	v_dual_cndmask_b32 v22, v22, v7 :: v_dual_cndmask_b32 v23, v23, v6
	v_cmp_eq_u32_e32 vcc_lo, 3, v0
	v_dual_cndmask_b32 v22, v22, v9 :: v_dual_cndmask_b32 v23, v23, v8
	v_cmp_eq_u32_e32 vcc_lo, 4, v0
	s_delay_alu instid0(VALU_DEP_2) | instskip(SKIP_1) | instid1(VALU_DEP_2)
	v_dual_cndmask_b32 v22, v22, v11 :: v_dual_cndmask_b32 v23, v23, v10
	v_cmp_eq_u32_e32 vcc_lo, 5, v0
	v_dual_cndmask_b32 v22, v22, v13 :: v_dual_cndmask_b32 v23, v23, v12
	v_cmp_eq_u32_e32 vcc_lo, 6, v0
	s_delay_alu instid0(VALU_DEP_2) | instskip(SKIP_4) | instid1(VALU_DEP_2)
	v_dual_cndmask_b32 v24, v22, v15 :: v_dual_cndmask_b32 v25, v23, v14
	v_cmp_eq_u32_e32 vcc_lo, 7, v0
	ds_load_b64 v[22:23], v88
	v_dual_cndmask_b32 v24, v24, v17 :: v_dual_cndmask_b32 v25, v25, v16
	v_cmp_eq_u32_e32 vcc_lo, 8, v0
	v_cndmask_b32_e32 v24, v24, v19, vcc_lo
	s_delay_alu instid0(VALU_DEP_3) | instskip(SKIP_1) | instid1(VALU_DEP_2)
	v_cndmask_b32_e32 v26, v25, v18, vcc_lo
	v_cmp_eq_u32_e32 vcc_lo, 9, v0
	v_dual_cndmask_b32 v25, v24, v21 :: v_dual_cndmask_b32 v24, v26, v20
	s_waitcnt lgkmcnt(0)
	s_delay_alu instid0(VALU_DEP_1)
	v_mul_f64 v[22:23], v[24:25], v[22:23]
	s_cbranch_execz .LBB73_142
	s_branch .LBB73_143
.LBB73_141:
                                        ; implicit-def: $vgpr22_vgpr23
.LBB73_142:
	ds_load_b64 v[22:23], v88
.LBB73_143:
	s_and_saveexec_b32 s3, s0
	s_cbranch_execz .LBB73_145
; %bb.144:
	v_cmp_eq_u32_e32 vcc_lo, 1, v34
	v_dual_cndmask_b32 v24, v3, v5 :: v_dual_cndmask_b32 v25, v2, v4
	v_cmp_eq_u32_e32 vcc_lo, 2, v34
	s_delay_alu instid0(VALU_DEP_2) | instskip(SKIP_1) | instid1(VALU_DEP_2)
	v_dual_cndmask_b32 v7, v24, v7 :: v_dual_cndmask_b32 v6, v25, v6
	v_cmp_eq_u32_e32 vcc_lo, 3, v34
	v_dual_cndmask_b32 v7, v7, v9 :: v_dual_cndmask_b32 v6, v6, v8
	v_cmp_eq_u32_e32 vcc_lo, 4, v34
	s_delay_alu instid0(VALU_DEP_2) | instskip(SKIP_1) | instid1(VALU_DEP_2)
	v_dual_cndmask_b32 v7, v7, v11 :: v_dual_cndmask_b32 v6, v6, v10
	v_cmp_eq_u32_e32 vcc_lo, 5, v34
	v_dual_cndmask_b32 v7, v7, v13 :: v_dual_cndmask_b32 v6, v6, v12
	v_cmp_eq_u32_e32 vcc_lo, 6, v34
	s_delay_alu instid0(VALU_DEP_2) | instskip(SKIP_4) | instid1(VALU_DEP_2)
	v_dual_cndmask_b32 v24, v7, v15 :: v_dual_cndmask_b32 v25, v6, v14
	v_cmp_eq_u32_e32 vcc_lo, 7, v34
	ds_load_b64 v[6:7], v88 offset:8
	v_dual_cndmask_b32 v24, v24, v17 :: v_dual_cndmask_b32 v25, v25, v16
	v_cmp_eq_u32_e32 vcc_lo, 8, v34
	v_cndmask_b32_e32 v24, v24, v19, vcc_lo
	s_delay_alu instid0(VALU_DEP_3) | instskip(SKIP_1) | instid1(VALU_DEP_2)
	v_cndmask_b32_e32 v26, v25, v18, vcc_lo
	v_cmp_eq_u32_e32 vcc_lo, 9, v34
	v_dual_cndmask_b32 v25, v24, v21 :: v_dual_cndmask_b32 v24, v26, v20
	s_waitcnt lgkmcnt(0)
	s_delay_alu instid0(VALU_DEP_1)
	v_fma_f64 v[22:23], v[24:25], v[6:7], v[22:23]
.LBB73_145:
	s_or_b32 exec_lo, exec_lo, s3
	v_mov_b32_e32 v6, 0
	ds_load_b64 v[6:7], v6 offset:16
	s_waitcnt lgkmcnt(0)
	v_mul_f64 v[6:7], v[22:23], v[6:7]
.LBB73_146:
	s_or_b32 exec_lo, exec_lo, s2
	s_delay_alu instid0(SALU_CYCLE_1)
	s_mov_b32 s2, exec_lo
	ds_store_b64 v88, v[8:9]
	s_waitcnt lgkmcnt(0)
	s_barrier
	buffer_gl0_inv
	v_cmpx_gt_u32_e32 3, v0
	s_cbranch_execz .LBB73_156
; %bb.147:
	v_cmp_ne_u32_e32 vcc_lo, 1, v35
	s_cbranch_vccnz .LBB73_149
; %bb.148:
	v_cmp_eq_u32_e32 vcc_lo, 1, v0
	v_dual_cndmask_b32 v22, v3, v5 :: v_dual_cndmask_b32 v23, v2, v4
	v_cmp_eq_u32_e32 vcc_lo, 2, v0
	s_delay_alu instid0(VALU_DEP_2) | instskip(SKIP_1) | instid1(VALU_DEP_2)
	v_dual_cndmask_b32 v22, v22, v7 :: v_dual_cndmask_b32 v23, v23, v6
	v_cmp_eq_u32_e32 vcc_lo, 3, v0
	v_dual_cndmask_b32 v22, v22, v9 :: v_dual_cndmask_b32 v23, v23, v8
	v_cmp_eq_u32_e32 vcc_lo, 4, v0
	s_delay_alu instid0(VALU_DEP_2) | instskip(SKIP_1) | instid1(VALU_DEP_2)
	v_dual_cndmask_b32 v22, v22, v11 :: v_dual_cndmask_b32 v23, v23, v10
	v_cmp_eq_u32_e32 vcc_lo, 5, v0
	v_dual_cndmask_b32 v22, v22, v13 :: v_dual_cndmask_b32 v23, v23, v12
	v_cmp_eq_u32_e32 vcc_lo, 6, v0
	s_delay_alu instid0(VALU_DEP_2) | instskip(SKIP_4) | instid1(VALU_DEP_2)
	v_dual_cndmask_b32 v24, v22, v15 :: v_dual_cndmask_b32 v25, v23, v14
	v_cmp_eq_u32_e32 vcc_lo, 7, v0
	ds_load_b64 v[22:23], v88
	v_dual_cndmask_b32 v24, v24, v17 :: v_dual_cndmask_b32 v25, v25, v16
	v_cmp_eq_u32_e32 vcc_lo, 8, v0
	v_cndmask_b32_e32 v24, v24, v19, vcc_lo
	s_delay_alu instid0(VALU_DEP_3) | instskip(SKIP_1) | instid1(VALU_DEP_2)
	v_cndmask_b32_e32 v26, v25, v18, vcc_lo
	v_cmp_eq_u32_e32 vcc_lo, 9, v0
	v_dual_cndmask_b32 v25, v24, v21 :: v_dual_cndmask_b32 v24, v26, v20
	s_waitcnt lgkmcnt(0)
	s_delay_alu instid0(VALU_DEP_1)
	v_mul_f64 v[22:23], v[24:25], v[22:23]
	s_cbranch_execz .LBB73_150
	s_branch .LBB73_151
.LBB73_149:
                                        ; implicit-def: $vgpr22_vgpr23
.LBB73_150:
	ds_load_b64 v[22:23], v88
.LBB73_151:
	s_mov_b32 s3, exec_lo
	v_cmpx_ne_u32_e32 2, v0
	s_cbranch_execz .LBB73_155
; %bb.152:
	v_cmp_eq_u32_e32 vcc_lo, 1, v34
	v_dual_cndmask_b32 v24, v3, v5 :: v_dual_cndmask_b32 v25, v2, v4
	v_cmp_eq_u32_e32 vcc_lo, 2, v34
	s_delay_alu instid0(VALU_DEP_2) | instskip(SKIP_1) | instid1(VALU_DEP_2)
	v_dual_cndmask_b32 v24, v24, v7 :: v_dual_cndmask_b32 v25, v25, v6
	v_cmp_eq_u32_e32 vcc_lo, 3, v34
	v_dual_cndmask_b32 v9, v24, v9 :: v_dual_cndmask_b32 v8, v25, v8
	v_cmp_eq_u32_e32 vcc_lo, 4, v34
	s_delay_alu instid0(VALU_DEP_2) | instskip(SKIP_1) | instid1(VALU_DEP_2)
	v_dual_cndmask_b32 v9, v9, v11 :: v_dual_cndmask_b32 v8, v8, v10
	v_cmp_eq_u32_e32 vcc_lo, 5, v34
	v_dual_cndmask_b32 v9, v9, v13 :: v_dual_cndmask_b32 v8, v8, v12
	v_cmp_eq_u32_e32 vcc_lo, 6, v34
	s_delay_alu instid0(VALU_DEP_2) | instskip(SKIP_4) | instid1(VALU_DEP_2)
	v_dual_cndmask_b32 v24, v9, v15 :: v_dual_cndmask_b32 v25, v8, v14
	v_cmp_eq_u32_e32 vcc_lo, 7, v34
	ds_load_b64 v[8:9], v88 offset:8
	v_dual_cndmask_b32 v24, v24, v17 :: v_dual_cndmask_b32 v25, v25, v16
	v_cmp_eq_u32_e32 vcc_lo, 8, v34
	v_cndmask_b32_e32 v24, v24, v19, vcc_lo
	s_delay_alu instid0(VALU_DEP_3) | instskip(SKIP_1) | instid1(VALU_DEP_2)
	v_cndmask_b32_e32 v26, v25, v18, vcc_lo
	v_cmp_eq_u32_e32 vcc_lo, 9, v34
	v_dual_cndmask_b32 v25, v24, v21 :: v_dual_cndmask_b32 v24, v26, v20
	s_waitcnt lgkmcnt(0)
	s_delay_alu instid0(VALU_DEP_1)
	v_fma_f64 v[22:23], v[24:25], v[8:9], v[22:23]
	s_and_saveexec_b32 s4, s0
	s_cbranch_execz .LBB73_154
; %bb.153:
	v_mov_b32_e32 v8, 0
	ds_load_b64 v[8:9], v8 offset:96
	s_waitcnt lgkmcnt(0)
	v_fma_f64 v[22:23], v[6:7], v[8:9], v[22:23]
.LBB73_154:
	s_or_b32 exec_lo, exec_lo, s4
.LBB73_155:
	s_delay_alu instid0(SALU_CYCLE_1)
	s_or_b32 exec_lo, exec_lo, s3
	v_mov_b32_e32 v8, 0
	ds_load_b64 v[8:9], v8 offset:24
	s_waitcnt lgkmcnt(0)
	v_mul_f64 v[8:9], v[22:23], v[8:9]
.LBB73_156:
	s_or_b32 exec_lo, exec_lo, s2
	v_cmp_gt_u32_e64 s2, 4, v0
	ds_store_b64 v88, v[10:11]
	s_waitcnt lgkmcnt(0)
	s_barrier
	buffer_gl0_inv
	s_and_saveexec_b32 s4, s2
	s_cbranch_execz .LBB73_166
; %bb.157:
	v_cmp_ne_u32_e32 vcc_lo, 1, v35
	s_cbranch_vccnz .LBB73_159
; %bb.158:
	v_cmp_eq_u32_e32 vcc_lo, 1, v0
	v_dual_cndmask_b32 v22, v3, v5 :: v_dual_cndmask_b32 v23, v2, v4
	v_cmp_eq_u32_e32 vcc_lo, 2, v0
	s_delay_alu instid0(VALU_DEP_2) | instskip(SKIP_1) | instid1(VALU_DEP_2)
	v_dual_cndmask_b32 v22, v22, v7 :: v_dual_cndmask_b32 v23, v23, v6
	v_cmp_eq_u32_e32 vcc_lo, 3, v0
	v_dual_cndmask_b32 v22, v22, v9 :: v_dual_cndmask_b32 v23, v23, v8
	v_cmp_eq_u32_e32 vcc_lo, 4, v0
	s_delay_alu instid0(VALU_DEP_2) | instskip(SKIP_1) | instid1(VALU_DEP_2)
	v_dual_cndmask_b32 v22, v22, v11 :: v_dual_cndmask_b32 v23, v23, v10
	v_cmp_eq_u32_e32 vcc_lo, 5, v0
	v_dual_cndmask_b32 v22, v22, v13 :: v_dual_cndmask_b32 v23, v23, v12
	v_cmp_eq_u32_e32 vcc_lo, 6, v0
	s_delay_alu instid0(VALU_DEP_2) | instskip(SKIP_4) | instid1(VALU_DEP_2)
	v_dual_cndmask_b32 v24, v22, v15 :: v_dual_cndmask_b32 v25, v23, v14
	v_cmp_eq_u32_e32 vcc_lo, 7, v0
	ds_load_b64 v[22:23], v88
	v_dual_cndmask_b32 v24, v24, v17 :: v_dual_cndmask_b32 v25, v25, v16
	v_cmp_eq_u32_e32 vcc_lo, 8, v0
	v_cndmask_b32_e32 v24, v24, v19, vcc_lo
	s_delay_alu instid0(VALU_DEP_3) | instskip(SKIP_1) | instid1(VALU_DEP_2)
	v_cndmask_b32_e32 v26, v25, v18, vcc_lo
	v_cmp_eq_u32_e32 vcc_lo, 9, v0
	v_dual_cndmask_b32 v25, v24, v21 :: v_dual_cndmask_b32 v24, v26, v20
	s_waitcnt lgkmcnt(0)
	s_delay_alu instid0(VALU_DEP_1)
	v_mul_f64 v[22:23], v[24:25], v[22:23]
	s_cbranch_execz .LBB73_160
	s_branch .LBB73_161
.LBB73_159:
                                        ; implicit-def: $vgpr22_vgpr23
.LBB73_160:
	ds_load_b64 v[22:23], v88
.LBB73_161:
	s_mov_b32 s5, exec_lo
	v_cmpx_ne_u32_e32 3, v0
	s_cbranch_execz .LBB73_165
; %bb.162:
	v_lshl_add_u32 v26, v0, 3, 0x58
	v_dual_mov_b32 v25, v1 :: v_dual_mov_b32 v24, v0
	s_mov_b32 s6, 0
.LBB73_163:                             ; =>This Inner Loop Header: Depth=1
	s_delay_alu instid0(VALU_DEP_1) | instskip(NEXT) | instid1(VALU_DEP_2)
	v_add_co_u32 v24, vcc_lo, v24, 1
	v_add_co_ci_u32_e32 v25, vcc_lo, 0, v25, vcc_lo
	s_delay_alu instid0(VALU_DEP_2) | instskip(SKIP_3) | instid1(VALU_DEP_2)
	v_cmp_eq_u32_e32 vcc_lo, 1, v24
	v_cmp_eq_u32_e64 s3, 2, v24
	v_dual_cndmask_b32 v27, v3, v5 :: v_dual_cndmask_b32 v28, v2, v4
	v_cmp_eq_u32_e32 vcc_lo, 3, v24
	v_cndmask_b32_e64 v27, v27, v7, s3
	s_delay_alu instid0(VALU_DEP_3) | instskip(SKIP_1) | instid1(VALU_DEP_2)
	v_cndmask_b32_e64 v28, v28, v6, s3
	v_cmp_eq_u32_e64 s3, 4, v24
	v_dual_cndmask_b32 v27, v27, v9 :: v_dual_cndmask_b32 v28, v28, v8
	v_cmp_eq_u32_e32 vcc_lo, 5, v24
	s_delay_alu instid0(VALU_DEP_2) | instskip(NEXT) | instid1(VALU_DEP_3)
	v_cndmask_b32_e64 v27, v27, v11, s3
	v_cndmask_b32_e64 v28, v28, v10, s3
	v_cmp_eq_u32_e64 s3, 6, v24
	s_delay_alu instid0(VALU_DEP_2)
	v_dual_cndmask_b32 v29, v27, v13 :: v_dual_cndmask_b32 v30, v28, v12
	ds_load_b64 v[27:28], v26
	v_cmp_eq_u32_e32 vcc_lo, 7, v24
	v_add_nc_u32_e32 v26, 8, v26
	v_cndmask_b32_e64 v29, v29, v15, s3
	v_cndmask_b32_e64 v30, v30, v14, s3
	v_cmp_eq_u32_e64 s3, 8, v24
	s_delay_alu instid0(VALU_DEP_2) | instskip(SKIP_1) | instid1(VALU_DEP_2)
	v_dual_cndmask_b32 v29, v29, v17 :: v_dual_cndmask_b32 v30, v30, v16
	v_cmp_eq_u32_e32 vcc_lo, 9, v24
	v_cndmask_b32_e64 v29, v29, v19, s3
	s_delay_alu instid0(VALU_DEP_3) | instskip(NEXT) | instid1(VALU_DEP_1)
	v_cndmask_b32_e64 v31, v30, v18, s3
	v_dual_cndmask_b32 v30, v29, v21 :: v_dual_cndmask_b32 v29, v31, v20
	v_cmp_lt_u32_e32 vcc_lo, 2, v24
	s_waitcnt lgkmcnt(0)
	s_delay_alu instid0(VALU_DEP_2) | instskip(SKIP_1) | instid1(SALU_CYCLE_1)
	v_fma_f64 v[22:23], v[29:30], v[27:28], v[22:23]
	s_or_b32 s6, vcc_lo, s6
	s_and_not1_b32 exec_lo, exec_lo, s6
	s_cbranch_execnz .LBB73_163
; %bb.164:
	s_or_b32 exec_lo, exec_lo, s6
.LBB73_165:
	s_delay_alu instid0(SALU_CYCLE_1)
	s_or_b32 exec_lo, exec_lo, s5
	v_mov_b32_e32 v10, 0
	ds_load_b64 v[10:11], v10 offset:32
	s_waitcnt lgkmcnt(0)
	v_mul_f64 v[10:11], v[22:23], v[10:11]
.LBB73_166:
	s_or_b32 exec_lo, exec_lo, s4
	s_delay_alu instid0(SALU_CYCLE_1)
	s_mov_b32 s4, exec_lo
	ds_store_b64 v88, v[12:13]
	s_waitcnt lgkmcnt(0)
	s_barrier
	buffer_gl0_inv
	v_cmpx_gt_u32_e32 5, v0
	s_cbranch_execz .LBB73_176
; %bb.167:
	v_cmp_ne_u32_e32 vcc_lo, 1, v35
	s_cbranch_vccnz .LBB73_169
; %bb.168:
	v_cmp_eq_u32_e32 vcc_lo, 1, v0
	v_dual_cndmask_b32 v22, v3, v5 :: v_dual_cndmask_b32 v23, v2, v4
	v_cmp_eq_u32_e32 vcc_lo, 2, v0
	s_delay_alu instid0(VALU_DEP_2) | instskip(SKIP_1) | instid1(VALU_DEP_2)
	v_dual_cndmask_b32 v22, v22, v7 :: v_dual_cndmask_b32 v23, v23, v6
	v_cmp_eq_u32_e32 vcc_lo, 3, v0
	v_dual_cndmask_b32 v22, v22, v9 :: v_dual_cndmask_b32 v23, v23, v8
	v_cmp_eq_u32_e32 vcc_lo, 4, v0
	s_delay_alu instid0(VALU_DEP_2) | instskip(SKIP_1) | instid1(VALU_DEP_2)
	v_dual_cndmask_b32 v22, v22, v11 :: v_dual_cndmask_b32 v23, v23, v10
	v_cmp_eq_u32_e32 vcc_lo, 5, v0
	v_dual_cndmask_b32 v22, v22, v13 :: v_dual_cndmask_b32 v23, v23, v12
	v_cmp_eq_u32_e32 vcc_lo, 6, v0
	s_delay_alu instid0(VALU_DEP_2) | instskip(SKIP_4) | instid1(VALU_DEP_2)
	v_dual_cndmask_b32 v24, v22, v15 :: v_dual_cndmask_b32 v25, v23, v14
	v_cmp_eq_u32_e32 vcc_lo, 7, v0
	ds_load_b64 v[22:23], v88
	v_dual_cndmask_b32 v24, v24, v17 :: v_dual_cndmask_b32 v25, v25, v16
	v_cmp_eq_u32_e32 vcc_lo, 8, v0
	v_cndmask_b32_e32 v24, v24, v19, vcc_lo
	s_delay_alu instid0(VALU_DEP_3) | instskip(SKIP_1) | instid1(VALU_DEP_2)
	v_cndmask_b32_e32 v26, v25, v18, vcc_lo
	v_cmp_eq_u32_e32 vcc_lo, 9, v0
	v_dual_cndmask_b32 v25, v24, v21 :: v_dual_cndmask_b32 v24, v26, v20
	s_waitcnt lgkmcnt(0)
	s_delay_alu instid0(VALU_DEP_1)
	v_mul_f64 v[22:23], v[24:25], v[22:23]
	s_cbranch_execz .LBB73_170
	s_branch .LBB73_171
.LBB73_169:
                                        ; implicit-def: $vgpr22_vgpr23
.LBB73_170:
	ds_load_b64 v[22:23], v88
.LBB73_171:
	s_mov_b32 s5, exec_lo
	v_cmpx_ne_u32_e32 4, v0
	s_cbranch_execz .LBB73_175
; %bb.172:
	v_lshl_add_u32 v26, v0, 3, 0x58
	v_dual_mov_b32 v25, v1 :: v_dual_mov_b32 v24, v0
	s_mov_b32 s6, 0
.LBB73_173:                             ; =>This Inner Loop Header: Depth=1
	s_delay_alu instid0(VALU_DEP_1) | instskip(NEXT) | instid1(VALU_DEP_2)
	v_add_co_u32 v24, vcc_lo, v24, 1
	v_add_co_ci_u32_e32 v25, vcc_lo, 0, v25, vcc_lo
	s_delay_alu instid0(VALU_DEP_2) | instskip(SKIP_3) | instid1(VALU_DEP_2)
	v_cmp_eq_u32_e32 vcc_lo, 1, v24
	v_cmp_eq_u32_e64 s3, 2, v24
	v_dual_cndmask_b32 v27, v3, v5 :: v_dual_cndmask_b32 v28, v2, v4
	v_cmp_eq_u32_e32 vcc_lo, 3, v24
	v_cndmask_b32_e64 v27, v27, v7, s3
	s_delay_alu instid0(VALU_DEP_3) | instskip(SKIP_1) | instid1(VALU_DEP_2)
	v_cndmask_b32_e64 v28, v28, v6, s3
	v_cmp_eq_u32_e64 s3, 4, v24
	v_dual_cndmask_b32 v27, v27, v9 :: v_dual_cndmask_b32 v28, v28, v8
	v_cmp_eq_u32_e32 vcc_lo, 5, v24
	s_delay_alu instid0(VALU_DEP_2) | instskip(NEXT) | instid1(VALU_DEP_3)
	v_cndmask_b32_e64 v27, v27, v11, s3
	v_cndmask_b32_e64 v28, v28, v10, s3
	v_cmp_eq_u32_e64 s3, 6, v24
	s_delay_alu instid0(VALU_DEP_2)
	v_dual_cndmask_b32 v29, v27, v13 :: v_dual_cndmask_b32 v30, v28, v12
	ds_load_b64 v[27:28], v26
	v_cmp_eq_u32_e32 vcc_lo, 7, v24
	v_add_nc_u32_e32 v26, 8, v26
	v_cndmask_b32_e64 v29, v29, v15, s3
	v_cndmask_b32_e64 v30, v30, v14, s3
	v_cmp_eq_u32_e64 s3, 8, v24
	s_delay_alu instid0(VALU_DEP_2) | instskip(SKIP_1) | instid1(VALU_DEP_2)
	v_dual_cndmask_b32 v29, v29, v17 :: v_dual_cndmask_b32 v30, v30, v16
	v_cmp_eq_u32_e32 vcc_lo, 9, v24
	v_cndmask_b32_e64 v29, v29, v19, s3
	s_delay_alu instid0(VALU_DEP_3) | instskip(NEXT) | instid1(VALU_DEP_1)
	v_cndmask_b32_e64 v31, v30, v18, s3
	v_dual_cndmask_b32 v30, v29, v21 :: v_dual_cndmask_b32 v29, v31, v20
	v_cmp_lt_u32_e32 vcc_lo, 3, v24
	s_waitcnt lgkmcnt(0)
	s_delay_alu instid0(VALU_DEP_2) | instskip(SKIP_1) | instid1(SALU_CYCLE_1)
	v_fma_f64 v[22:23], v[29:30], v[27:28], v[22:23]
	s_or_b32 s6, vcc_lo, s6
	s_and_not1_b32 exec_lo, exec_lo, s6
	s_cbranch_execnz .LBB73_173
; %bb.174:
	s_or_b32 exec_lo, exec_lo, s6
.LBB73_175:
	s_delay_alu instid0(SALU_CYCLE_1)
	s_or_b32 exec_lo, exec_lo, s5
	v_mov_b32_e32 v12, 0
	ds_load_b64 v[12:13], v12 offset:40
	s_waitcnt lgkmcnt(0)
	v_mul_f64 v[12:13], v[22:23], v[12:13]
.LBB73_176:
	s_or_b32 exec_lo, exec_lo, s4
	v_cmp_gt_u32_e64 s3, 6, v0
	ds_store_b64 v88, v[14:15]
	s_waitcnt lgkmcnt(0)
	s_barrier
	buffer_gl0_inv
	s_and_saveexec_b32 s5, s3
	s_cbranch_execz .LBB73_186
; %bb.177:
	v_cmp_ne_u32_e32 vcc_lo, 1, v35
	s_cbranch_vccnz .LBB73_179
; %bb.178:
	v_cmp_eq_u32_e32 vcc_lo, 1, v0
	v_dual_cndmask_b32 v22, v3, v5 :: v_dual_cndmask_b32 v23, v2, v4
	v_cmp_eq_u32_e32 vcc_lo, 2, v0
	s_delay_alu instid0(VALU_DEP_2) | instskip(SKIP_1) | instid1(VALU_DEP_2)
	v_dual_cndmask_b32 v22, v22, v7 :: v_dual_cndmask_b32 v23, v23, v6
	v_cmp_eq_u32_e32 vcc_lo, 3, v0
	v_dual_cndmask_b32 v22, v22, v9 :: v_dual_cndmask_b32 v23, v23, v8
	v_cmp_eq_u32_e32 vcc_lo, 4, v0
	s_delay_alu instid0(VALU_DEP_2) | instskip(SKIP_1) | instid1(VALU_DEP_2)
	v_dual_cndmask_b32 v22, v22, v11 :: v_dual_cndmask_b32 v23, v23, v10
	v_cmp_eq_u32_e32 vcc_lo, 5, v0
	v_dual_cndmask_b32 v22, v22, v13 :: v_dual_cndmask_b32 v23, v23, v12
	v_cmp_eq_u32_e32 vcc_lo, 6, v0
	s_delay_alu instid0(VALU_DEP_2) | instskip(SKIP_4) | instid1(VALU_DEP_2)
	v_dual_cndmask_b32 v24, v22, v15 :: v_dual_cndmask_b32 v25, v23, v14
	v_cmp_eq_u32_e32 vcc_lo, 7, v0
	ds_load_b64 v[22:23], v88
	v_dual_cndmask_b32 v24, v24, v17 :: v_dual_cndmask_b32 v25, v25, v16
	v_cmp_eq_u32_e32 vcc_lo, 8, v0
	v_cndmask_b32_e32 v24, v24, v19, vcc_lo
	s_delay_alu instid0(VALU_DEP_3) | instskip(SKIP_1) | instid1(VALU_DEP_2)
	v_cndmask_b32_e32 v26, v25, v18, vcc_lo
	v_cmp_eq_u32_e32 vcc_lo, 9, v0
	v_dual_cndmask_b32 v25, v24, v21 :: v_dual_cndmask_b32 v24, v26, v20
	s_waitcnt lgkmcnt(0)
	s_delay_alu instid0(VALU_DEP_1)
	v_mul_f64 v[22:23], v[24:25], v[22:23]
	s_cbranch_execz .LBB73_180
	s_branch .LBB73_181
.LBB73_179:
                                        ; implicit-def: $vgpr22_vgpr23
.LBB73_180:
	ds_load_b64 v[22:23], v88
.LBB73_181:
	s_mov_b32 s6, exec_lo
	v_cmpx_ne_u32_e32 5, v0
	s_cbranch_execz .LBB73_185
; %bb.182:
	v_lshl_add_u32 v26, v0, 3, 0x58
	v_dual_mov_b32 v25, v1 :: v_dual_mov_b32 v24, v0
	s_mov_b32 s7, 0
.LBB73_183:                             ; =>This Inner Loop Header: Depth=1
	s_delay_alu instid0(VALU_DEP_1) | instskip(NEXT) | instid1(VALU_DEP_2)
	v_add_co_u32 v24, vcc_lo, v24, 1
	v_add_co_ci_u32_e32 v25, vcc_lo, 0, v25, vcc_lo
	s_delay_alu instid0(VALU_DEP_2) | instskip(SKIP_3) | instid1(VALU_DEP_2)
	v_cmp_eq_u32_e32 vcc_lo, 1, v24
	v_cmp_eq_u32_e64 s4, 2, v24
	v_dual_cndmask_b32 v27, v3, v5 :: v_dual_cndmask_b32 v28, v2, v4
	v_cmp_eq_u32_e32 vcc_lo, 3, v24
	v_cndmask_b32_e64 v27, v27, v7, s4
	s_delay_alu instid0(VALU_DEP_3) | instskip(SKIP_1) | instid1(VALU_DEP_2)
	v_cndmask_b32_e64 v28, v28, v6, s4
	v_cmp_eq_u32_e64 s4, 4, v24
	v_dual_cndmask_b32 v27, v27, v9 :: v_dual_cndmask_b32 v28, v28, v8
	v_cmp_eq_u32_e32 vcc_lo, 5, v24
	s_delay_alu instid0(VALU_DEP_2) | instskip(NEXT) | instid1(VALU_DEP_3)
	v_cndmask_b32_e64 v27, v27, v11, s4
	v_cndmask_b32_e64 v28, v28, v10, s4
	v_cmp_eq_u32_e64 s4, 6, v24
	s_delay_alu instid0(VALU_DEP_2)
	v_dual_cndmask_b32 v29, v27, v13 :: v_dual_cndmask_b32 v30, v28, v12
	ds_load_b64 v[27:28], v26
	v_cmp_eq_u32_e32 vcc_lo, 7, v24
	v_add_nc_u32_e32 v26, 8, v26
	v_cndmask_b32_e64 v29, v29, v15, s4
	v_cndmask_b32_e64 v30, v30, v14, s4
	v_cmp_eq_u32_e64 s4, 8, v24
	s_delay_alu instid0(VALU_DEP_2) | instskip(SKIP_1) | instid1(VALU_DEP_2)
	v_dual_cndmask_b32 v29, v29, v17 :: v_dual_cndmask_b32 v30, v30, v16
	v_cmp_eq_u32_e32 vcc_lo, 9, v24
	v_cndmask_b32_e64 v29, v29, v19, s4
	s_delay_alu instid0(VALU_DEP_3) | instskip(NEXT) | instid1(VALU_DEP_1)
	v_cndmask_b32_e64 v31, v30, v18, s4
	v_dual_cndmask_b32 v30, v29, v21 :: v_dual_cndmask_b32 v29, v31, v20
	v_cmp_lt_u32_e32 vcc_lo, 4, v24
	s_waitcnt lgkmcnt(0)
	s_delay_alu instid0(VALU_DEP_2) | instskip(SKIP_1) | instid1(SALU_CYCLE_1)
	v_fma_f64 v[22:23], v[29:30], v[27:28], v[22:23]
	s_or_b32 s7, vcc_lo, s7
	s_and_not1_b32 exec_lo, exec_lo, s7
	s_cbranch_execnz .LBB73_183
; %bb.184:
	s_or_b32 exec_lo, exec_lo, s7
.LBB73_185:
	s_delay_alu instid0(SALU_CYCLE_1)
	s_or_b32 exec_lo, exec_lo, s6
	v_mov_b32_e32 v14, 0
	ds_load_b64 v[14:15], v14 offset:48
	s_waitcnt lgkmcnt(0)
	v_mul_f64 v[14:15], v[22:23], v[14:15]
.LBB73_186:
	s_or_b32 exec_lo, exec_lo, s5
	s_delay_alu instid0(SALU_CYCLE_1)
	s_mov_b32 s5, exec_lo
	ds_store_b64 v88, v[16:17]
	s_waitcnt lgkmcnt(0)
	s_barrier
	buffer_gl0_inv
	v_cmpx_gt_u32_e32 7, v0
	s_cbranch_execz .LBB73_196
; %bb.187:
	v_cmp_ne_u32_e32 vcc_lo, 1, v35
	s_cbranch_vccnz .LBB73_189
; %bb.188:
	v_cmp_eq_u32_e32 vcc_lo, 1, v0
	v_dual_cndmask_b32 v22, v3, v5 :: v_dual_cndmask_b32 v23, v2, v4
	v_cmp_eq_u32_e32 vcc_lo, 2, v0
	s_delay_alu instid0(VALU_DEP_2) | instskip(SKIP_1) | instid1(VALU_DEP_2)
	v_dual_cndmask_b32 v22, v22, v7 :: v_dual_cndmask_b32 v23, v23, v6
	v_cmp_eq_u32_e32 vcc_lo, 3, v0
	v_dual_cndmask_b32 v22, v22, v9 :: v_dual_cndmask_b32 v23, v23, v8
	v_cmp_eq_u32_e32 vcc_lo, 4, v0
	s_delay_alu instid0(VALU_DEP_2) | instskip(SKIP_1) | instid1(VALU_DEP_2)
	v_dual_cndmask_b32 v22, v22, v11 :: v_dual_cndmask_b32 v23, v23, v10
	v_cmp_eq_u32_e32 vcc_lo, 5, v0
	v_dual_cndmask_b32 v22, v22, v13 :: v_dual_cndmask_b32 v23, v23, v12
	v_cmp_eq_u32_e32 vcc_lo, 6, v0
	s_delay_alu instid0(VALU_DEP_2) | instskip(SKIP_4) | instid1(VALU_DEP_2)
	v_dual_cndmask_b32 v24, v22, v15 :: v_dual_cndmask_b32 v25, v23, v14
	v_cmp_eq_u32_e32 vcc_lo, 7, v0
	ds_load_b64 v[22:23], v88
	v_dual_cndmask_b32 v24, v24, v17 :: v_dual_cndmask_b32 v25, v25, v16
	v_cmp_eq_u32_e32 vcc_lo, 8, v0
	v_cndmask_b32_e32 v24, v24, v19, vcc_lo
	s_delay_alu instid0(VALU_DEP_3) | instskip(SKIP_1) | instid1(VALU_DEP_2)
	v_cndmask_b32_e32 v26, v25, v18, vcc_lo
	v_cmp_eq_u32_e32 vcc_lo, 9, v0
	v_dual_cndmask_b32 v25, v24, v21 :: v_dual_cndmask_b32 v24, v26, v20
	s_waitcnt lgkmcnt(0)
	s_delay_alu instid0(VALU_DEP_1)
	v_mul_f64 v[22:23], v[24:25], v[22:23]
	s_cbranch_execz .LBB73_190
	s_branch .LBB73_191
.LBB73_189:
                                        ; implicit-def: $vgpr22_vgpr23
.LBB73_190:
	ds_load_b64 v[22:23], v88
.LBB73_191:
	s_mov_b32 s6, exec_lo
	v_cmpx_ne_u32_e32 6, v0
	s_cbranch_execz .LBB73_195
; %bb.192:
	v_lshl_add_u32 v26, v0, 3, 0x58
	v_dual_mov_b32 v25, v1 :: v_dual_mov_b32 v24, v0
	s_mov_b32 s7, 0
.LBB73_193:                             ; =>This Inner Loop Header: Depth=1
	s_delay_alu instid0(VALU_DEP_1) | instskip(NEXT) | instid1(VALU_DEP_2)
	v_add_co_u32 v24, vcc_lo, v24, 1
	v_add_co_ci_u32_e32 v25, vcc_lo, 0, v25, vcc_lo
	s_delay_alu instid0(VALU_DEP_2) | instskip(SKIP_3) | instid1(VALU_DEP_2)
	v_cmp_eq_u32_e32 vcc_lo, 1, v24
	v_cmp_eq_u32_e64 s4, 2, v24
	v_dual_cndmask_b32 v27, v3, v5 :: v_dual_cndmask_b32 v28, v2, v4
	v_cmp_eq_u32_e32 vcc_lo, 3, v24
	v_cndmask_b32_e64 v27, v27, v7, s4
	s_delay_alu instid0(VALU_DEP_3) | instskip(SKIP_1) | instid1(VALU_DEP_2)
	v_cndmask_b32_e64 v28, v28, v6, s4
	v_cmp_eq_u32_e64 s4, 4, v24
	v_dual_cndmask_b32 v27, v27, v9 :: v_dual_cndmask_b32 v28, v28, v8
	v_cmp_eq_u32_e32 vcc_lo, 5, v24
	s_delay_alu instid0(VALU_DEP_2) | instskip(NEXT) | instid1(VALU_DEP_3)
	v_cndmask_b32_e64 v27, v27, v11, s4
	v_cndmask_b32_e64 v28, v28, v10, s4
	v_cmp_eq_u32_e64 s4, 6, v24
	s_delay_alu instid0(VALU_DEP_2)
	v_dual_cndmask_b32 v29, v27, v13 :: v_dual_cndmask_b32 v30, v28, v12
	ds_load_b64 v[27:28], v26
	v_cmp_eq_u32_e32 vcc_lo, 7, v24
	v_add_nc_u32_e32 v26, 8, v26
	v_cndmask_b32_e64 v29, v29, v15, s4
	v_cndmask_b32_e64 v30, v30, v14, s4
	v_cmp_eq_u32_e64 s4, 8, v24
	s_delay_alu instid0(VALU_DEP_2) | instskip(SKIP_1) | instid1(VALU_DEP_2)
	v_dual_cndmask_b32 v29, v29, v17 :: v_dual_cndmask_b32 v30, v30, v16
	v_cmp_eq_u32_e32 vcc_lo, 9, v24
	v_cndmask_b32_e64 v29, v29, v19, s4
	s_delay_alu instid0(VALU_DEP_3) | instskip(NEXT) | instid1(VALU_DEP_1)
	v_cndmask_b32_e64 v31, v30, v18, s4
	v_dual_cndmask_b32 v30, v29, v21 :: v_dual_cndmask_b32 v29, v31, v20
	v_cmp_lt_u32_e32 vcc_lo, 5, v24
	s_waitcnt lgkmcnt(0)
	s_delay_alu instid0(VALU_DEP_2) | instskip(SKIP_1) | instid1(SALU_CYCLE_1)
	v_fma_f64 v[22:23], v[29:30], v[27:28], v[22:23]
	s_or_b32 s7, vcc_lo, s7
	s_and_not1_b32 exec_lo, exec_lo, s7
	s_cbranch_execnz .LBB73_193
; %bb.194:
	s_or_b32 exec_lo, exec_lo, s7
.LBB73_195:
	s_delay_alu instid0(SALU_CYCLE_1)
	s_or_b32 exec_lo, exec_lo, s6
	v_mov_b32_e32 v16, 0
	ds_load_b64 v[16:17], v16 offset:56
	s_waitcnt lgkmcnt(0)
	v_mul_f64 v[16:17], v[22:23], v[16:17]
.LBB73_196:
	s_or_b32 exec_lo, exec_lo, s5
	v_cmp_gt_u32_e64 s4, 8, v0
	ds_store_b64 v88, v[18:19]
	s_waitcnt lgkmcnt(0)
	s_barrier
	buffer_gl0_inv
	s_and_saveexec_b32 s6, s4
	s_cbranch_execz .LBB73_206
; %bb.197:
	v_cmp_ne_u32_e32 vcc_lo, 1, v35
	s_cbranch_vccnz .LBB73_199
; %bb.198:
	v_cmp_eq_u32_e32 vcc_lo, 1, v0
	v_dual_cndmask_b32 v22, v3, v5 :: v_dual_cndmask_b32 v23, v2, v4
	v_cmp_eq_u32_e32 vcc_lo, 2, v0
	s_delay_alu instid0(VALU_DEP_2) | instskip(SKIP_1) | instid1(VALU_DEP_2)
	v_dual_cndmask_b32 v22, v22, v7 :: v_dual_cndmask_b32 v23, v23, v6
	v_cmp_eq_u32_e32 vcc_lo, 3, v0
	v_dual_cndmask_b32 v22, v22, v9 :: v_dual_cndmask_b32 v23, v23, v8
	v_cmp_eq_u32_e32 vcc_lo, 4, v0
	s_delay_alu instid0(VALU_DEP_2) | instskip(SKIP_1) | instid1(VALU_DEP_2)
	v_dual_cndmask_b32 v22, v22, v11 :: v_dual_cndmask_b32 v23, v23, v10
	v_cmp_eq_u32_e32 vcc_lo, 5, v0
	v_dual_cndmask_b32 v22, v22, v13 :: v_dual_cndmask_b32 v23, v23, v12
	v_cmp_eq_u32_e32 vcc_lo, 6, v0
	s_delay_alu instid0(VALU_DEP_2) | instskip(SKIP_4) | instid1(VALU_DEP_2)
	v_dual_cndmask_b32 v24, v22, v15 :: v_dual_cndmask_b32 v25, v23, v14
	v_cmp_eq_u32_e32 vcc_lo, 7, v0
	ds_load_b64 v[22:23], v88
	v_dual_cndmask_b32 v24, v24, v17 :: v_dual_cndmask_b32 v25, v25, v16
	v_cmp_eq_u32_e32 vcc_lo, 8, v0
	v_cndmask_b32_e32 v24, v24, v19, vcc_lo
	s_delay_alu instid0(VALU_DEP_3) | instskip(SKIP_1) | instid1(VALU_DEP_2)
	v_cndmask_b32_e32 v26, v25, v18, vcc_lo
	v_cmp_eq_u32_e32 vcc_lo, 9, v0
	v_dual_cndmask_b32 v25, v24, v21 :: v_dual_cndmask_b32 v24, v26, v20
	s_waitcnt lgkmcnt(0)
	s_delay_alu instid0(VALU_DEP_1)
	v_mul_f64 v[22:23], v[24:25], v[22:23]
	s_cbranch_execz .LBB73_200
	s_branch .LBB73_201
.LBB73_199:
                                        ; implicit-def: $vgpr22_vgpr23
.LBB73_200:
	ds_load_b64 v[22:23], v88
.LBB73_201:
	s_mov_b32 s7, exec_lo
	v_cmpx_ne_u32_e32 7, v0
	s_cbranch_execz .LBB73_205
; %bb.202:
	v_lshl_add_u32 v26, v0, 3, 0x58
	v_dual_mov_b32 v25, v1 :: v_dual_mov_b32 v24, v0
	s_mov_b32 s8, 0
.LBB73_203:                             ; =>This Inner Loop Header: Depth=1
	s_delay_alu instid0(VALU_DEP_1) | instskip(NEXT) | instid1(VALU_DEP_2)
	v_add_co_u32 v24, vcc_lo, v24, 1
	v_add_co_ci_u32_e32 v25, vcc_lo, 0, v25, vcc_lo
	s_delay_alu instid0(VALU_DEP_2) | instskip(SKIP_4) | instid1(VALU_DEP_3)
	v_cmp_eq_u32_e32 vcc_lo, 1, v24
	v_cmp_eq_u32_e64 s5, 2, v24
	v_cndmask_b32_e32 v1, v3, v5, vcc_lo
	v_cndmask_b32_e32 v27, v2, v4, vcc_lo
	v_cmp_eq_u32_e32 vcc_lo, 3, v24
	v_cndmask_b32_e64 v1, v1, v7, s5
	s_delay_alu instid0(VALU_DEP_3) | instskip(SKIP_1) | instid1(VALU_DEP_3)
	v_cndmask_b32_e64 v27, v27, v6, s5
	v_cmp_eq_u32_e64 s5, 4, v24
	v_cndmask_b32_e32 v1, v1, v9, vcc_lo
	s_delay_alu instid0(VALU_DEP_3) | instskip(SKIP_1) | instid1(VALU_DEP_3)
	v_cndmask_b32_e32 v27, v27, v8, vcc_lo
	v_cmp_eq_u32_e32 vcc_lo, 5, v24
	v_cndmask_b32_e64 v1, v1, v11, s5
	s_delay_alu instid0(VALU_DEP_3) | instskip(SKIP_1) | instid1(VALU_DEP_3)
	v_cndmask_b32_e64 v27, v27, v10, s5
	v_cmp_eq_u32_e64 s5, 6, v24
	v_cndmask_b32_e32 v1, v1, v13, vcc_lo
	s_delay_alu instid0(VALU_DEP_3)
	v_cndmask_b32_e32 v29, v27, v12, vcc_lo
	ds_load_b64 v[27:28], v26
	v_cmp_eq_u32_e32 vcc_lo, 7, v24
	v_add_nc_u32_e32 v26, 8, v26
	v_cndmask_b32_e64 v1, v1, v15, s5
	v_cndmask_b32_e64 v29, v29, v14, s5
	v_cmp_eq_u32_e64 s5, 8, v24
	s_delay_alu instid0(VALU_DEP_3) | instskip(NEXT) | instid1(VALU_DEP_3)
	v_cndmask_b32_e32 v1, v1, v17, vcc_lo
	v_cndmask_b32_e32 v29, v29, v16, vcc_lo
	v_cmp_eq_u32_e32 vcc_lo, 9, v24
	s_delay_alu instid0(VALU_DEP_3) | instskip(NEXT) | instid1(VALU_DEP_3)
	v_cndmask_b32_e64 v1, v1, v19, s5
	v_cndmask_b32_e64 v29, v29, v18, s5
	s_delay_alu instid0(VALU_DEP_2) | instskip(NEXT) | instid1(VALU_DEP_2)
	v_cndmask_b32_e32 v30, v1, v21, vcc_lo
	v_cndmask_b32_e32 v29, v29, v20, vcc_lo
	v_cmp_lt_u32_e32 vcc_lo, 6, v24
	s_waitcnt lgkmcnt(0)
	s_delay_alu instid0(VALU_DEP_2) | instskip(SKIP_1) | instid1(SALU_CYCLE_1)
	v_fma_f64 v[22:23], v[29:30], v[27:28], v[22:23]
	s_or_b32 s8, vcc_lo, s8
	s_and_not1_b32 exec_lo, exec_lo, s8
	s_cbranch_execnz .LBB73_203
; %bb.204:
	s_or_b32 exec_lo, exec_lo, s8
.LBB73_205:
	s_delay_alu instid0(SALU_CYCLE_1)
	s_or_b32 exec_lo, exec_lo, s7
	v_mov_b32_e32 v1, 0
	ds_load_b64 v[18:19], v1 offset:64
	s_waitcnt lgkmcnt(0)
	v_mul_f64 v[18:19], v[22:23], v[18:19]
.LBB73_206:
	s_or_b32 exec_lo, exec_lo, s6
	s_delay_alu instid0(SALU_CYCLE_1)
	s_mov_b32 s5, exec_lo
	ds_store_b64 v88, v[20:21]
	s_waitcnt lgkmcnt(0)
	s_barrier
	buffer_gl0_inv
	v_cmpx_ne_u32_e32 9, v0
	s_cbranch_execz .LBB73_228
; %bb.207:
	v_cmp_ne_u32_e32 vcc_lo, 1, v35
	s_cbranch_vccnz .LBB73_209
; %bb.208:
	v_cmp_eq_u32_e32 vcc_lo, 1, v0
	v_dual_cndmask_b32 v1, v3, v5 :: v_dual_cndmask_b32 v22, v2, v4
	v_cmp_eq_u32_e32 vcc_lo, 2, v0
	s_delay_alu instid0(VALU_DEP_2) | instskip(SKIP_1) | instid1(VALU_DEP_2)
	v_dual_cndmask_b32 v1, v1, v7 :: v_dual_cndmask_b32 v22, v22, v6
	v_cmp_eq_u32_e32 vcc_lo, 3, v0
	v_dual_cndmask_b32 v1, v1, v9 :: v_dual_cndmask_b32 v22, v22, v8
	v_cmp_eq_u32_e32 vcc_lo, 4, v0
	s_delay_alu instid0(VALU_DEP_2) | instskip(SKIP_1) | instid1(VALU_DEP_2)
	v_dual_cndmask_b32 v1, v1, v11 :: v_dual_cndmask_b32 v22, v22, v10
	v_cmp_eq_u32_e32 vcc_lo, 5, v0
	v_dual_cndmask_b32 v1, v1, v13 :: v_dual_cndmask_b32 v22, v22, v12
	v_cmp_eq_u32_e32 vcc_lo, 6, v0
	s_delay_alu instid0(VALU_DEP_2) | instskip(SKIP_4) | instid1(VALU_DEP_2)
	v_dual_cndmask_b32 v1, v1, v15 :: v_dual_cndmask_b32 v24, v22, v14
	v_cmp_eq_u32_e32 vcc_lo, 7, v0
	ds_load_b64 v[22:23], v88
	v_dual_cndmask_b32 v1, v1, v17 :: v_dual_cndmask_b32 v24, v24, v16
	v_cmp_eq_u32_e32 vcc_lo, 8, v0
	v_dual_cndmask_b32 v1, v1, v19 :: v_dual_cndmask_b32 v24, v24, v18
	v_cmp_eq_u32_e32 vcc_lo, 9, v0
	s_delay_alu instid0(VALU_DEP_2) | instskip(SKIP_1) | instid1(VALU_DEP_1)
	v_dual_cndmask_b32 v25, v1, v21 :: v_dual_cndmask_b32 v24, v24, v20
	s_waitcnt lgkmcnt(0)
	v_mul_f64 v[22:23], v[24:25], v[22:23]
	s_cbranch_execz .LBB73_210
	s_branch .LBB73_211
.LBB73_209:
                                        ; implicit-def: $vgpr22_vgpr23
.LBB73_210:
	ds_load_b64 v[22:23], v88
.LBB73_211:
	s_and_saveexec_b32 s6, s4
	s_cbranch_execz .LBB73_227
; %bb.212:
	v_cmp_eq_u32_e32 vcc_lo, 1, v34
	s_mov_b32 s4, exec_lo
	v_dual_cndmask_b32 v1, v3, v5 :: v_dual_cndmask_b32 v24, v2, v4
	v_cmp_eq_u32_e32 vcc_lo, 2, v34
	s_delay_alu instid0(VALU_DEP_2) | instskip(SKIP_1) | instid1(VALU_DEP_2)
	v_dual_cndmask_b32 v1, v1, v7 :: v_dual_cndmask_b32 v24, v24, v6
	v_cmp_eq_u32_e32 vcc_lo, 3, v34
	v_dual_cndmask_b32 v1, v1, v9 :: v_dual_cndmask_b32 v24, v24, v8
	v_cmp_eq_u32_e32 vcc_lo, 4, v34
	s_delay_alu instid0(VALU_DEP_2) | instskip(SKIP_1) | instid1(VALU_DEP_2)
	v_dual_cndmask_b32 v1, v1, v11 :: v_dual_cndmask_b32 v24, v24, v10
	v_cmp_eq_u32_e32 vcc_lo, 5, v34
	v_dual_cndmask_b32 v1, v1, v13 :: v_dual_cndmask_b32 v24, v24, v12
	v_cmp_eq_u32_e32 vcc_lo, 6, v34
	s_delay_alu instid0(VALU_DEP_2) | instskip(SKIP_4) | instid1(VALU_DEP_2)
	v_dual_cndmask_b32 v1, v1, v15 :: v_dual_cndmask_b32 v26, v24, v14
	v_cmp_eq_u32_e32 vcc_lo, 7, v34
	ds_load_b64 v[24:25], v88 offset:8
	v_dual_cndmask_b32 v1, v1, v17 :: v_dual_cndmask_b32 v26, v26, v16
	v_cmp_eq_u32_e32 vcc_lo, 8, v34
	v_dual_cndmask_b32 v1, v1, v19 :: v_dual_cndmask_b32 v26, v26, v18
	v_cmp_eq_u32_e32 vcc_lo, 9, v34
	s_delay_alu instid0(VALU_DEP_2) | instskip(SKIP_1) | instid1(VALU_DEP_1)
	v_dual_cndmask_b32 v27, v1, v21 :: v_dual_cndmask_b32 v26, v26, v20
	s_waitcnt lgkmcnt(0)
	v_fma_f64 v[22:23], v[26:27], v[24:25], v[22:23]
	v_cmpx_ne_u32_e32 7, v0
	s_cbranch_execz .LBB73_226
; %bb.213:
	v_add_nc_u32_e32 v1, 2, v0
	s_delay_alu instid0(VALU_DEP_1) | instskip(SKIP_2) | instid1(VALU_DEP_2)
	v_cmp_eq_u32_e32 vcc_lo, 1, v1
	v_dual_cndmask_b32 v24, v3, v5 :: v_dual_cndmask_b32 v25, v2, v4
	v_cmp_eq_u32_e32 vcc_lo, 2, v1
	v_dual_cndmask_b32 v24, v24, v7 :: v_dual_cndmask_b32 v25, v25, v6
	v_cmp_eq_u32_e32 vcc_lo, 3, v1
	s_delay_alu instid0(VALU_DEP_2) | instskip(SKIP_1) | instid1(VALU_DEP_2)
	v_dual_cndmask_b32 v24, v24, v9 :: v_dual_cndmask_b32 v25, v25, v8
	v_cmp_eq_u32_e32 vcc_lo, 4, v1
	v_dual_cndmask_b32 v24, v24, v11 :: v_dual_cndmask_b32 v25, v25, v10
	v_cmp_eq_u32_e32 vcc_lo, 5, v1
	s_delay_alu instid0(VALU_DEP_2) | instskip(SKIP_1) | instid1(VALU_DEP_2)
	v_dual_cndmask_b32 v24, v24, v13 :: v_dual_cndmask_b32 v25, v25, v12
	v_cmp_eq_u32_e32 vcc_lo, 6, v1
	v_dual_cndmask_b32 v26, v24, v15 :: v_dual_cndmask_b32 v27, v25, v14
	v_cmp_eq_u32_e32 vcc_lo, 7, v1
	ds_load_b64 v[24:25], v88 offset:16
	v_dual_cndmask_b32 v26, v26, v17 :: v_dual_cndmask_b32 v27, v27, v16
	v_cmp_eq_u32_e32 vcc_lo, 8, v1
	s_delay_alu instid0(VALU_DEP_2) | instskip(NEXT) | instid1(VALU_DEP_3)
	v_cndmask_b32_e32 v26, v26, v19, vcc_lo
	v_cndmask_b32_e32 v28, v27, v18, vcc_lo
	v_cmp_eq_u32_e32 vcc_lo, 9, v1
	s_delay_alu instid0(VALU_DEP_2) | instskip(SKIP_1) | instid1(VALU_DEP_1)
	v_dual_cndmask_b32 v27, v26, v21 :: v_dual_cndmask_b32 v26, v28, v20
	s_waitcnt lgkmcnt(0)
	v_fma_f64 v[22:23], v[26:27], v[24:25], v[22:23]
	s_and_saveexec_b32 s7, s3
	s_cbranch_execz .LBB73_225
; %bb.214:
	v_add_nc_u32_e32 v1, 3, v0
	s_mov_b32 s3, exec_lo
	s_delay_alu instid0(VALU_DEP_1) | instskip(SKIP_2) | instid1(VALU_DEP_2)
	v_cmp_eq_u32_e32 vcc_lo, 1, v1
	v_dual_cndmask_b32 v24, v3, v5 :: v_dual_cndmask_b32 v25, v2, v4
	v_cmp_eq_u32_e32 vcc_lo, 2, v1
	v_dual_cndmask_b32 v24, v24, v7 :: v_dual_cndmask_b32 v25, v25, v6
	v_cmp_eq_u32_e32 vcc_lo, 3, v1
	s_delay_alu instid0(VALU_DEP_2) | instskip(SKIP_1) | instid1(VALU_DEP_2)
	v_dual_cndmask_b32 v24, v24, v9 :: v_dual_cndmask_b32 v25, v25, v8
	v_cmp_eq_u32_e32 vcc_lo, 4, v1
	v_dual_cndmask_b32 v24, v24, v11 :: v_dual_cndmask_b32 v25, v25, v10
	v_cmp_eq_u32_e32 vcc_lo, 5, v1
	s_delay_alu instid0(VALU_DEP_2) | instskip(SKIP_1) | instid1(VALU_DEP_2)
	v_dual_cndmask_b32 v24, v24, v13 :: v_dual_cndmask_b32 v25, v25, v12
	v_cmp_eq_u32_e32 vcc_lo, 6, v1
	v_dual_cndmask_b32 v26, v24, v15 :: v_dual_cndmask_b32 v27, v25, v14
	v_cmp_eq_u32_e32 vcc_lo, 7, v1
	ds_load_b64 v[24:25], v88 offset:24
	v_dual_cndmask_b32 v26, v26, v17 :: v_dual_cndmask_b32 v27, v27, v16
	v_cmp_eq_u32_e32 vcc_lo, 8, v1
	s_delay_alu instid0(VALU_DEP_2) | instskip(NEXT) | instid1(VALU_DEP_3)
	v_cndmask_b32_e32 v26, v26, v19, vcc_lo
	v_cndmask_b32_e32 v28, v27, v18, vcc_lo
	v_cmp_eq_u32_e32 vcc_lo, 9, v1
	s_delay_alu instid0(VALU_DEP_2) | instskip(SKIP_1) | instid1(VALU_DEP_1)
	v_dual_cndmask_b32 v27, v26, v21 :: v_dual_cndmask_b32 v26, v28, v20
	s_waitcnt lgkmcnt(0)
	v_fma_f64 v[22:23], v[26:27], v[24:25], v[22:23]
	v_cmpx_ne_u32_e32 5, v0
	s_cbranch_execz .LBB73_224
; %bb.215:
	v_add_nc_u32_e32 v1, 4, v0
	s_delay_alu instid0(VALU_DEP_1) | instskip(SKIP_2) | instid1(VALU_DEP_2)
	v_cmp_eq_u32_e32 vcc_lo, 1, v1
	v_dual_cndmask_b32 v24, v3, v5 :: v_dual_cndmask_b32 v25, v2, v4
	v_cmp_eq_u32_e32 vcc_lo, 2, v1
	v_dual_cndmask_b32 v24, v24, v7 :: v_dual_cndmask_b32 v25, v25, v6
	v_cmp_eq_u32_e32 vcc_lo, 3, v1
	s_delay_alu instid0(VALU_DEP_2) | instskip(SKIP_1) | instid1(VALU_DEP_2)
	v_dual_cndmask_b32 v24, v24, v9 :: v_dual_cndmask_b32 v25, v25, v8
	v_cmp_eq_u32_e32 vcc_lo, 4, v1
	v_dual_cndmask_b32 v24, v24, v11 :: v_dual_cndmask_b32 v25, v25, v10
	v_cmp_eq_u32_e32 vcc_lo, 5, v1
	s_delay_alu instid0(VALU_DEP_2) | instskip(SKIP_1) | instid1(VALU_DEP_2)
	v_dual_cndmask_b32 v24, v24, v13 :: v_dual_cndmask_b32 v25, v25, v12
	v_cmp_eq_u32_e32 vcc_lo, 6, v1
	v_dual_cndmask_b32 v26, v24, v15 :: v_dual_cndmask_b32 v27, v25, v14
	v_cmp_eq_u32_e32 vcc_lo, 7, v1
	ds_load_b64 v[24:25], v88 offset:32
	v_dual_cndmask_b32 v26, v26, v17 :: v_dual_cndmask_b32 v27, v27, v16
	v_cmp_eq_u32_e32 vcc_lo, 8, v1
	s_delay_alu instid0(VALU_DEP_2) | instskip(NEXT) | instid1(VALU_DEP_3)
	v_cndmask_b32_e32 v26, v26, v19, vcc_lo
	v_cndmask_b32_e32 v28, v27, v18, vcc_lo
	v_cmp_eq_u32_e32 vcc_lo, 9, v1
	s_delay_alu instid0(VALU_DEP_2) | instskip(SKIP_1) | instid1(VALU_DEP_1)
	v_dual_cndmask_b32 v27, v26, v21 :: v_dual_cndmask_b32 v26, v28, v20
	s_waitcnt lgkmcnt(0)
	v_fma_f64 v[22:23], v[26:27], v[24:25], v[22:23]
	s_and_saveexec_b32 s8, s2
	s_cbranch_execz .LBB73_223
; %bb.216:
	v_add_nc_u32_e32 v1, 5, v0
	s_mov_b32 s2, exec_lo
	s_delay_alu instid0(VALU_DEP_1) | instskip(SKIP_2) | instid1(VALU_DEP_2)
	v_cmp_eq_u32_e32 vcc_lo, 1, v1
	v_dual_cndmask_b32 v24, v3, v5 :: v_dual_cndmask_b32 v25, v2, v4
	v_cmp_eq_u32_e32 vcc_lo, 2, v1
	v_dual_cndmask_b32 v24, v24, v7 :: v_dual_cndmask_b32 v25, v25, v6
	v_cmp_eq_u32_e32 vcc_lo, 3, v1
	s_delay_alu instid0(VALU_DEP_2) | instskip(SKIP_1) | instid1(VALU_DEP_2)
	v_dual_cndmask_b32 v24, v24, v9 :: v_dual_cndmask_b32 v25, v25, v8
	v_cmp_eq_u32_e32 vcc_lo, 4, v1
	v_dual_cndmask_b32 v24, v24, v11 :: v_dual_cndmask_b32 v25, v25, v10
	v_cmp_eq_u32_e32 vcc_lo, 5, v1
	s_delay_alu instid0(VALU_DEP_2) | instskip(SKIP_1) | instid1(VALU_DEP_2)
	v_dual_cndmask_b32 v24, v24, v13 :: v_dual_cndmask_b32 v25, v25, v12
	v_cmp_eq_u32_e32 vcc_lo, 6, v1
	v_dual_cndmask_b32 v26, v24, v15 :: v_dual_cndmask_b32 v27, v25, v14
	v_cmp_eq_u32_e32 vcc_lo, 7, v1
	ds_load_b64 v[24:25], v88 offset:40
	v_dual_cndmask_b32 v26, v26, v17 :: v_dual_cndmask_b32 v27, v27, v16
	v_cmp_eq_u32_e32 vcc_lo, 8, v1
	s_delay_alu instid0(VALU_DEP_2) | instskip(NEXT) | instid1(VALU_DEP_3)
	v_cndmask_b32_e32 v26, v26, v19, vcc_lo
	v_cndmask_b32_e32 v28, v27, v18, vcc_lo
	v_cmp_eq_u32_e32 vcc_lo, 9, v1
	s_delay_alu instid0(VALU_DEP_2) | instskip(SKIP_1) | instid1(VALU_DEP_1)
	v_dual_cndmask_b32 v27, v26, v21 :: v_dual_cndmask_b32 v26, v28, v20
	s_waitcnt lgkmcnt(0)
	v_fma_f64 v[22:23], v[26:27], v[24:25], v[22:23]
	v_cmpx_ne_u32_e32 3, v0
	s_cbranch_execz .LBB73_222
; %bb.217:
	v_add_nc_u32_e32 v1, 6, v0
	s_delay_alu instid0(VALU_DEP_1) | instskip(SKIP_2) | instid1(VALU_DEP_2)
	v_cmp_eq_u32_e32 vcc_lo, 1, v1
	v_dual_cndmask_b32 v24, v3, v5 :: v_dual_cndmask_b32 v25, v2, v4
	v_cmp_eq_u32_e32 vcc_lo, 2, v1
	v_dual_cndmask_b32 v24, v24, v7 :: v_dual_cndmask_b32 v25, v25, v6
	v_cmp_eq_u32_e32 vcc_lo, 3, v1
	s_delay_alu instid0(VALU_DEP_2) | instskip(SKIP_1) | instid1(VALU_DEP_2)
	v_dual_cndmask_b32 v24, v24, v9 :: v_dual_cndmask_b32 v25, v25, v8
	v_cmp_eq_u32_e32 vcc_lo, 4, v1
	v_dual_cndmask_b32 v24, v24, v11 :: v_dual_cndmask_b32 v25, v25, v10
	v_cmp_eq_u32_e32 vcc_lo, 5, v1
	s_delay_alu instid0(VALU_DEP_2) | instskip(SKIP_1) | instid1(VALU_DEP_2)
	v_dual_cndmask_b32 v24, v24, v13 :: v_dual_cndmask_b32 v25, v25, v12
	v_cmp_eq_u32_e32 vcc_lo, 6, v1
	v_dual_cndmask_b32 v26, v24, v15 :: v_dual_cndmask_b32 v27, v25, v14
	v_cmp_eq_u32_e32 vcc_lo, 7, v1
	ds_load_b64 v[24:25], v88 offset:48
	v_dual_cndmask_b32 v26, v26, v17 :: v_dual_cndmask_b32 v27, v27, v16
	v_cmp_eq_u32_e32 vcc_lo, 8, v1
	s_delay_alu instid0(VALU_DEP_2) | instskip(NEXT) | instid1(VALU_DEP_3)
	v_cndmask_b32_e32 v26, v26, v19, vcc_lo
	v_cndmask_b32_e32 v28, v27, v18, vcc_lo
	v_cmp_eq_u32_e32 vcc_lo, 9, v1
	s_delay_alu instid0(VALU_DEP_2) | instskip(SKIP_1) | instid1(VALU_DEP_1)
	v_dual_cndmask_b32 v27, v26, v21 :: v_dual_cndmask_b32 v26, v28, v20
	s_waitcnt lgkmcnt(0)
	v_fma_f64 v[22:23], v[26:27], v[24:25], v[22:23]
	s_and_saveexec_b32 s9, s1
	s_cbranch_execz .LBB73_221
; %bb.218:
	v_add_nc_u32_e32 v24, 7, v0
	s_delay_alu instid0(VALU_DEP_1) | instskip(SKIP_2) | instid1(VALU_DEP_2)
	v_cmp_eq_u32_e32 vcc_lo, 1, v24
	v_dual_cndmask_b32 v0, v3, v5 :: v_dual_cndmask_b32 v1, v2, v4
	v_cmp_eq_u32_e32 vcc_lo, 2, v24
	v_dual_cndmask_b32 v1, v1, v6 :: v_dual_cndmask_b32 v0, v0, v7
	v_cmp_eq_u32_e32 vcc_lo, 3, v24
	s_delay_alu instid0(VALU_DEP_2) | instskip(SKIP_1) | instid1(VALU_DEP_2)
	v_dual_cndmask_b32 v1, v1, v8 :: v_dual_cndmask_b32 v0, v0, v9
	v_cmp_eq_u32_e32 vcc_lo, 4, v24
	v_dual_cndmask_b32 v1, v1, v10 :: v_dual_cndmask_b32 v0, v0, v11
	v_cmp_eq_u32_e32 vcc_lo, 5, v24
	s_delay_alu instid0(VALU_DEP_2) | instskip(SKIP_1) | instid1(VALU_DEP_2)
	v_dual_cndmask_b32 v1, v1, v12 :: v_dual_cndmask_b32 v0, v0, v13
	v_cmp_eq_u32_e32 vcc_lo, 6, v24
	v_dual_cndmask_b32 v25, v0, v15 :: v_dual_cndmask_b32 v26, v1, v14
	v_cmp_eq_u32_e32 vcc_lo, 7, v24
	ds_load_b64 v[0:1], v88 offset:56
	v_dual_cndmask_b32 v25, v25, v17 :: v_dual_cndmask_b32 v26, v26, v16
	v_cmp_eq_u32_e32 vcc_lo, 8, v24
	s_delay_alu instid0(VALU_DEP_2) | instskip(SKIP_1) | instid1(VALU_DEP_2)
	v_dual_cndmask_b32 v25, v25, v19 :: v_dual_cndmask_b32 v26, v26, v18
	v_cmp_eq_u32_e32 vcc_lo, 9, v24
	v_dual_cndmask_b32 v21, v25, v21 :: v_dual_cndmask_b32 v20, v26, v20
	s_waitcnt lgkmcnt(0)
	s_delay_alu instid0(VALU_DEP_1)
	v_fma_f64 v[22:23], v[20:21], v[0:1], v[22:23]
	s_and_saveexec_b32 s1, s0
	s_cbranch_execz .LBB73_220
; %bb.219:
	ds_load_b64 v[0:1], v88 offset:64
	s_waitcnt lgkmcnt(0)
	v_fma_f64 v[22:23], v[18:19], v[0:1], v[22:23]
.LBB73_220:
	s_or_b32 exec_lo, exec_lo, s1
.LBB73_221:
	s_delay_alu instid0(SALU_CYCLE_1)
	s_or_b32 exec_lo, exec_lo, s9
.LBB73_222:
	s_delay_alu instid0(SALU_CYCLE_1)
	s_or_b32 exec_lo, exec_lo, s2
.LBB73_223:
	s_delay_alu instid0(SALU_CYCLE_1)
	s_or_b32 exec_lo, exec_lo, s8
.LBB73_224:
	s_delay_alu instid0(SALU_CYCLE_1)
	s_or_b32 exec_lo, exec_lo, s3
.LBB73_225:
	s_delay_alu instid0(SALU_CYCLE_1)
	s_or_b32 exec_lo, exec_lo, s7
.LBB73_226:
	s_delay_alu instid0(SALU_CYCLE_1)
	s_or_b32 exec_lo, exec_lo, s4
.LBB73_227:
	s_delay_alu instid0(SALU_CYCLE_1)
	s_or_b32 exec_lo, exec_lo, s6
	v_mov_b32_e32 v0, 0
	ds_load_b64 v[0:1], v0 offset:72
	s_waitcnt lgkmcnt(0)
	v_mul_f64 v[20:21], v[22:23], v[0:1]
.LBB73_228:
	s_or_b32 exec_lo, exec_lo, s5
	v_dual_mov_b32 v65, v33 :: v_dual_mov_b32 v64, v32
	v_dual_mov_b32 v63, v31 :: v_dual_mov_b32 v62, v30
	;; [unrolled: 1-line block ×16, first 2 shown]
.LBB73_229:
	s_clause 0x9
	global_store_b64 v[72:73], v[34:35], off
	global_store_b64 v[74:75], v[36:37], off
	;; [unrolled: 1-line block ×10, first 2 shown]
.LBB73_230:
	s_nop 0
	s_sendmsg sendmsg(MSG_DEALLOC_VGPRS)
	s_endpgm
	.section	.rodata,"a",@progbits
	.p2align	6, 0x0
	.amdhsa_kernel _ZN9rocsolver6v33100L18trti2_kernel_smallILi10EdPKPdEEv13rocblas_fill_17rocblas_diagonal_T1_iil
		.amdhsa_group_segment_fixed_size 160
		.amdhsa_private_segment_fixed_size 0
		.amdhsa_kernarg_size 32
		.amdhsa_user_sgpr_count 15
		.amdhsa_user_sgpr_dispatch_ptr 0
		.amdhsa_user_sgpr_queue_ptr 0
		.amdhsa_user_sgpr_kernarg_segment_ptr 1
		.amdhsa_user_sgpr_dispatch_id 0
		.amdhsa_user_sgpr_private_segment_size 0
		.amdhsa_wavefront_size32 1
		.amdhsa_uses_dynamic_stack 0
		.amdhsa_enable_private_segment 0
		.amdhsa_system_sgpr_workgroup_id_x 1
		.amdhsa_system_sgpr_workgroup_id_y 0
		.amdhsa_system_sgpr_workgroup_id_z 0
		.amdhsa_system_sgpr_workgroup_info 0
		.amdhsa_system_vgpr_workitem_id 0
		.amdhsa_next_free_vgpr 102
		.amdhsa_next_free_sgpr 16
		.amdhsa_reserve_vcc 1
		.amdhsa_float_round_mode_32 0
		.amdhsa_float_round_mode_16_64 0
		.amdhsa_float_denorm_mode_32 3
		.amdhsa_float_denorm_mode_16_64 3
		.amdhsa_dx10_clamp 1
		.amdhsa_ieee_mode 1
		.amdhsa_fp16_overflow 0
		.amdhsa_workgroup_processor_mode 1
		.amdhsa_memory_ordered 1
		.amdhsa_forward_progress 0
		.amdhsa_shared_vgpr_count 0
		.amdhsa_exception_fp_ieee_invalid_op 0
		.amdhsa_exception_fp_denorm_src 0
		.amdhsa_exception_fp_ieee_div_zero 0
		.amdhsa_exception_fp_ieee_overflow 0
		.amdhsa_exception_fp_ieee_underflow 0
		.amdhsa_exception_fp_ieee_inexact 0
		.amdhsa_exception_int_div_zero 0
	.end_amdhsa_kernel
	.section	.text._ZN9rocsolver6v33100L18trti2_kernel_smallILi10EdPKPdEEv13rocblas_fill_17rocblas_diagonal_T1_iil,"axG",@progbits,_ZN9rocsolver6v33100L18trti2_kernel_smallILi10EdPKPdEEv13rocblas_fill_17rocblas_diagonal_T1_iil,comdat
.Lfunc_end73:
	.size	_ZN9rocsolver6v33100L18trti2_kernel_smallILi10EdPKPdEEv13rocblas_fill_17rocblas_diagonal_T1_iil, .Lfunc_end73-_ZN9rocsolver6v33100L18trti2_kernel_smallILi10EdPKPdEEv13rocblas_fill_17rocblas_diagonal_T1_iil
                                        ; -- End function
	.section	.AMDGPU.csdata,"",@progbits
; Kernel info:
; codeLenInByte = 13708
; NumSgprs: 18
; NumVgprs: 102
; ScratchSize: 0
; MemoryBound: 0
; FloatMode: 240
; IeeeMode: 1
; LDSByteSize: 160 bytes/workgroup (compile time only)
; SGPRBlocks: 2
; VGPRBlocks: 12
; NumSGPRsForWavesPerEU: 18
; NumVGPRsForWavesPerEU: 102
; Occupancy: 12
; WaveLimiterHint : 1
; COMPUTE_PGM_RSRC2:SCRATCH_EN: 0
; COMPUTE_PGM_RSRC2:USER_SGPR: 15
; COMPUTE_PGM_RSRC2:TRAP_HANDLER: 0
; COMPUTE_PGM_RSRC2:TGID_X_EN: 1
; COMPUTE_PGM_RSRC2:TGID_Y_EN: 0
; COMPUTE_PGM_RSRC2:TGID_Z_EN: 0
; COMPUTE_PGM_RSRC2:TIDIG_COMP_CNT: 0
	.section	.text._ZN9rocsolver6v33100L18trti2_kernel_smallILi11EdPKPdEEv13rocblas_fill_17rocblas_diagonal_T1_iil,"axG",@progbits,_ZN9rocsolver6v33100L18trti2_kernel_smallILi11EdPKPdEEv13rocblas_fill_17rocblas_diagonal_T1_iil,comdat
	.globl	_ZN9rocsolver6v33100L18trti2_kernel_smallILi11EdPKPdEEv13rocblas_fill_17rocblas_diagonal_T1_iil ; -- Begin function _ZN9rocsolver6v33100L18trti2_kernel_smallILi11EdPKPdEEv13rocblas_fill_17rocblas_diagonal_T1_iil
	.p2align	8
	.type	_ZN9rocsolver6v33100L18trti2_kernel_smallILi11EdPKPdEEv13rocblas_fill_17rocblas_diagonal_T1_iil,@function
_ZN9rocsolver6v33100L18trti2_kernel_smallILi11EdPKPdEEv13rocblas_fill_17rocblas_diagonal_T1_iil: ; @_ZN9rocsolver6v33100L18trti2_kernel_smallILi11EdPKPdEEv13rocblas_fill_17rocblas_diagonal_T1_iil
; %bb.0:
	s_mov_b32 s2, exec_lo
	v_cmpx_gt_u32_e32 11, v0
	s_cbranch_execz .LBB74_256
; %bb.1:
	s_mov_b32 s4, s15
	s_clause 0x1
	s_load_b64 s[2:3], s[0:1], 0x10
	s_load_b128 s[12:15], s[0:1], 0x0
	s_ashr_i32 s5, s4, 31
	v_lshlrev_b32_e32 v36, 3, v0
	s_lshl_b64 s[0:1], s[4:5], 3
	v_mov_b32_e32 v34, 0
	v_mov_b32_e32 v35, 0xbff00000
	s_waitcnt lgkmcnt(0)
	s_ashr_i32 s5, s2, 31
	s_add_u32 s0, s14, s0
	s_addc_u32 s1, s15, s1
	v_add3_u32 v1, s3, s3, v0
	s_load_b64 s[0:1], s[0:1], 0x0
	s_mov_b32 s4, s2
	s_mov_b32 s6, s3
	s_lshl_b64 s[4:5], s[4:5], 3
	v_add_nc_u32_e32 v3, s3, v1
	v_ashrrev_i32_e32 v2, 31, v1
	s_delay_alu instid0(VALU_DEP_2) | instskip(SKIP_1) | instid1(VALU_DEP_3)
	v_add_nc_u32_e32 v5, s3, v3
	v_ashrrev_i32_e32 v4, 31, v3
	v_lshlrev_b64 v[1:2], 3, v[1:2]
	s_delay_alu instid0(VALU_DEP_3) | instskip(NEXT) | instid1(VALU_DEP_3)
	v_add_nc_u32_e32 v7, s3, v5
	v_lshlrev_b64 v[3:4], 3, v[3:4]
	v_ashrrev_i32_e32 v6, 31, v5
	s_delay_alu instid0(VALU_DEP_3)
	v_add_nc_u32_e32 v9, s3, v7
	s_waitcnt lgkmcnt(0)
	s_add_u32 s0, s0, s4
	s_addc_u32 s1, s1, s5
	v_add_co_u32 v70, vcc_lo, s0, v1
	v_ashrrev_i32_e32 v8, 31, v7
	v_add_co_u32 v72, s2, s0, v36
	s_ashr_i32 s7, s3, 31
	v_add_co_ci_u32_e32 v71, vcc_lo, s1, v2, vcc_lo
	v_lshlrev_b64 v[5:6], 3, v[5:6]
	v_add_co_ci_u32_e64 v73, null, s1, 0, s2
	v_add_co_u32 v68, vcc_lo, s0, v3
	v_add_nc_u32_e32 v14, s3, v9
	s_lshl_b64 s[4:5], s[6:7], 3
	v_add_co_ci_u32_e32 v69, vcc_lo, s1, v4, vcc_lo
	v_lshlrev_b64 v[12:13], 3, v[7:8]
	v_ashrrev_i32_e32 v10, 31, v9
	v_add_co_u32 v74, vcc_lo, v72, s4
	v_add_co_ci_u32_e32 v75, vcc_lo, s5, v73, vcc_lo
	v_add_co_u32 v66, vcc_lo, s0, v5
	v_ashrrev_i32_e32 v15, 31, v14
	v_add_nc_u32_e32 v16, s3, v14
	v_add_co_ci_u32_e32 v67, vcc_lo, s1, v6, vcc_lo
	v_lshlrev_b64 v[1:2], 3, v[9:10]
	v_add_co_u32 v76, vcc_lo, s0, v12
	v_add_co_ci_u32_e32 v77, vcc_lo, s1, v13, vcc_lo
	v_lshlrev_b64 v[12:13], 3, v[14:15]
	v_ashrrev_i32_e32 v17, 31, v16
	v_add_nc_u32_e32 v14, s3, v16
	v_add_co_u32 v78, vcc_lo, s0, v1
	v_add_co_ci_u32_e32 v79, vcc_lo, s1, v2, vcc_lo
	s_delay_alu instid0(VALU_DEP_4) | instskip(NEXT) | instid1(VALU_DEP_4)
	v_lshlrev_b64 v[1:2], 3, v[16:17]
	v_add_nc_u32_e32 v16, s3, v14
	v_ashrrev_i32_e32 v15, 31, v14
	v_add_co_u32 v86, vcc_lo, s0, v12
	v_add_co_ci_u32_e32 v87, vcc_lo, s1, v13, vcc_lo
	s_delay_alu instid0(VALU_DEP_4) | instskip(NEXT) | instid1(VALU_DEP_4)
	v_ashrrev_i32_e32 v17, 31, v16
	v_lshlrev_b64 v[12:13], 3, v[14:15]
	v_add_co_u32 v82, vcc_lo, s0, v1
	v_add_co_ci_u32_e32 v83, vcc_lo, s1, v2, vcc_lo
	s_delay_alu instid0(VALU_DEP_4) | instskip(NEXT) | instid1(VALU_DEP_4)
	v_lshlrev_b64 v[1:2], 3, v[16:17]
	v_add_co_u32 v84, vcc_lo, s0, v12
	v_add_co_ci_u32_e32 v85, vcc_lo, s1, v13, vcc_lo
	s_clause 0x3
	global_load_b64 v[4:5], v[74:75], off
	global_load_b64 v[6:7], v[70:71], off
	;; [unrolled: 1-line block ×4, first 2 shown]
	v_add_co_u32 v80, vcc_lo, s0, v1
	v_add_co_ci_u32_e32 v81, vcc_lo, s1, v2, vcc_lo
	v_mov_b32_e32 v1, 0
	s_clause 0x6
	global_load_b64 v[12:13], v[76:77], off
	global_load_b64 v[14:15], v[78:79], off
	global_load_b64 v[16:17], v[86:87], off
	global_load_b64 v[18:19], v[82:83], off
	global_load_b64 v[20:21], v[84:85], off
	global_load_b64 v[2:3], v36, s[0:1]
	global_load_b64 v[22:23], v[80:81], off
	v_cmp_eq_u32_e64 s0, 0, v0
	s_cmpk_lg_i32 s13, 0x84
	s_cselect_b32 s11, -1, 0
	s_cmpk_eq_i32 s13, 0x84
	s_cbranch_scc1 .LBB74_3
; %bb.2:
	v_cmp_eq_u32_e64 s1, 1, v0
	v_cmp_eq_u32_e64 s2, 2, v0
	;; [unrolled: 1-line block ×5, first 2 shown]
	s_waitcnt vmcnt(1)
	v_cndmask_b32_e64 v24, v3, v5, s1
	v_cndmask_b32_e64 v25, v2, v4, s1
	v_cmp_eq_u32_e64 s6, 6, v0
	v_cmp_eq_u32_e64 s7, 7, v0
	;; [unrolled: 1-line block ×3, first 2 shown]
	v_cndmask_b32_e64 v24, v24, v7, s2
	v_cndmask_b32_e64 v25, v25, v6, s2
	v_cmp_eq_u32_e64 s9, 9, v0
	v_cmp_eq_u32_e64 s10, 10, v0
	s_delay_alu instid0(VALU_DEP_4) | instskip(NEXT) | instid1(VALU_DEP_4)
	v_cndmask_b32_e64 v24, v24, v9, s3
	v_cndmask_b32_e64 v25, v25, v8, s3
	s_delay_alu instid0(VALU_DEP_2) | instskip(NEXT) | instid1(VALU_DEP_2)
	v_cndmask_b32_e64 v24, v24, v11, s4
	v_cndmask_b32_e64 v25, v25, v10, s4
	s_delay_alu instid0(VALU_DEP_2) | instskip(NEXT) | instid1(VALU_DEP_2)
	;; [unrolled: 3-line block ×6, first 2 shown]
	v_cndmask_b32_e64 v24, v24, v21, s9
	v_cndmask_b32_e64 v26, v25, v20, s9
	s_waitcnt vmcnt(0)
	s_delay_alu instid0(VALU_DEP_2) | instskip(NEXT) | instid1(VALU_DEP_2)
	v_cndmask_b32_e64 v25, v24, v23, s10
	v_cndmask_b32_e64 v24, v26, v22, s10
	s_delay_alu instid0(VALU_DEP_1) | instskip(SKIP_1) | instid1(VALU_DEP_2)
	v_div_scale_f64 v[26:27], null, v[24:25], v[24:25], 1.0
	v_div_scale_f64 v[32:33], vcc_lo, 1.0, v[24:25], 1.0
	v_rcp_f64_e32 v[28:29], v[26:27]
	s_waitcnt_depctr 0xfff
	v_fma_f64 v[30:31], -v[26:27], v[28:29], 1.0
	s_delay_alu instid0(VALU_DEP_1) | instskip(NEXT) | instid1(VALU_DEP_1)
	v_fma_f64 v[28:29], v[28:29], v[30:31], v[28:29]
	v_fma_f64 v[30:31], -v[26:27], v[28:29], 1.0
	s_delay_alu instid0(VALU_DEP_1) | instskip(NEXT) | instid1(VALU_DEP_1)
	v_fma_f64 v[28:29], v[28:29], v[30:31], v[28:29]
	v_mul_f64 v[30:31], v[32:33], v[28:29]
	s_delay_alu instid0(VALU_DEP_1) | instskip(NEXT) | instid1(VALU_DEP_1)
	v_fma_f64 v[26:27], -v[26:27], v[30:31], v[32:33]
	v_div_fmas_f64 v[26:27], v[26:27], v[28:29], v[30:31]
	s_delay_alu instid0(VALU_DEP_1) | instskip(NEXT) | instid1(VALU_DEP_1)
	v_div_fixup_f64 v[34:35], v[26:27], v[24:25], 1.0
	v_cndmask_b32_e64 v23, v23, v35, s10
	s_delay_alu instid0(VALU_DEP_2)
	v_cndmask_b32_e64 v22, v22, v34, s10
	v_cndmask_b32_e64 v21, v21, v35, s9
	;; [unrolled: 1-line block ×21, first 2 shown]
	v_xor_b32_e32 v35, 0x80000000, v35
.LBB74_3:
	v_add_nc_u32_e32 v90, 0x60, v36
	s_cmpk_eq_i32 s12, 0x79
	ds_store_b64 v36, v[34:35]
	s_cbranch_scc1 .LBB74_7
; %bb.4:
	s_waitcnt vmcnt(0)
	v_dual_mov_b32 v65, v33 :: v_dual_mov_b32 v64, v32
	v_dual_mov_b32 v63, v31 :: v_dual_mov_b32 v62, v30
	;; [unrolled: 1-line block ×16, first 2 shown]
	v_cmp_eq_u32_e64 s1, 10, v0
	ds_store_b64 v90, v[20:21]
	s_waitcnt lgkmcnt(0)
	s_barrier
	buffer_gl0_inv
	s_and_saveexec_b32 s0, s1
	s_cbranch_execz .LBB74_11
; %bb.5:
	s_and_b32 vcc_lo, exec_lo, s11
	s_cbranch_vccz .LBB74_8
; %bb.6:
	v_cmp_eq_u32_e32 vcc_lo, 1, v0
	v_dual_cndmask_b32 v34, v3, v5 :: v_dual_cndmask_b32 v35, v2, v4
	v_cmp_eq_u32_e32 vcc_lo, 2, v0
	s_delay_alu instid0(VALU_DEP_2) | instskip(SKIP_1) | instid1(VALU_DEP_2)
	v_dual_cndmask_b32 v34, v34, v7 :: v_dual_cndmask_b32 v35, v35, v6
	v_cmp_eq_u32_e32 vcc_lo, 3, v0
	v_dual_cndmask_b32 v34, v34, v9 :: v_dual_cndmask_b32 v35, v35, v8
	v_cmp_eq_u32_e32 vcc_lo, 4, v0
	s_delay_alu instid0(VALU_DEP_2) | instskip(SKIP_1) | instid1(VALU_DEP_2)
	v_dual_cndmask_b32 v34, v34, v11 :: v_dual_cndmask_b32 v35, v35, v10
	;; [unrolled: 5-line block ×3, first 2 shown]
	v_cmp_eq_u32_e32 vcc_lo, 7, v0
	v_dual_cndmask_b32 v36, v34, v17 :: v_dual_cndmask_b32 v37, v35, v16
	v_cmp_eq_u32_e32 vcc_lo, 8, v0
	ds_load_b64 v[34:35], v90
	v_dual_cndmask_b32 v36, v36, v19 :: v_dual_cndmask_b32 v37, v37, v18
	v_cmp_eq_u32_e32 vcc_lo, 9, v0
	s_delay_alu instid0(VALU_DEP_2) | instskip(NEXT) | instid1(VALU_DEP_3)
	v_cndmask_b32_e32 v36, v36, v21, vcc_lo
	v_cndmask_b32_e32 v38, v37, v20, vcc_lo
	v_cmp_eq_u32_e32 vcc_lo, 10, v0
	s_delay_alu instid0(VALU_DEP_2) | instskip(SKIP_1) | instid1(VALU_DEP_1)
	v_dual_cndmask_b32 v37, v36, v23 :: v_dual_cndmask_b32 v36, v38, v22
	s_waitcnt lgkmcnt(0)
	v_mul_f64 v[34:35], v[36:37], v[34:35]
	s_cbranch_execz .LBB74_9
	s_branch .LBB74_10
.LBB74_7:
                                        ; implicit-def: $vgpr34_vgpr35_vgpr36_vgpr37_vgpr38_vgpr39_vgpr40_vgpr41_vgpr42_vgpr43_vgpr44_vgpr45_vgpr46_vgpr47_vgpr48_vgpr49_vgpr50_vgpr51_vgpr52_vgpr53_vgpr54_vgpr55_vgpr56_vgpr57_vgpr58_vgpr59_vgpr60_vgpr61_vgpr62_vgpr63_vgpr64_vgpr65
	s_cbranch_execnz .LBB74_148
	s_branch .LBB74_255
.LBB74_8:
                                        ; implicit-def: $vgpr34_vgpr35
.LBB74_9:
	ds_load_b64 v[34:35], v90
.LBB74_10:
	v_mov_b32_e32 v36, 0
	v_dual_mov_b32 v38, v6 :: v_dual_mov_b32 v41, v9
	v_dual_mov_b32 v40, v8 :: v_dual_mov_b32 v43, v11
	ds_load_b64 v[36:37], v36 offset:72
	v_dual_mov_b32 v42, v10 :: v_dual_mov_b32 v45, v13
	v_dual_mov_b32 v44, v12 :: v_dual_mov_b32 v47, v15
	;; [unrolled: 1-line block ×6, first 2 shown]
	s_waitcnt lgkmcnt(0)
	v_mul_f64 v[52:53], v[34:35], v[36:37]
	v_dual_mov_b32 v34, v2 :: v_dual_mov_b32 v37, v5
	v_dual_mov_b32 v35, v3 :: v_dual_mov_b32 v36, v4
.LBB74_11:
	s_or_b32 exec_lo, exec_lo, s0
	v_cmp_lt_u32_e64 s0, 8, v0
	ds_store_b64 v90, v[50:51]
	s_waitcnt lgkmcnt(0)
	s_barrier
	buffer_gl0_inv
	s_and_saveexec_b32 s2, s0
	s_cbranch_execz .LBB74_19
; %bb.12:
	s_and_not1_b32 vcc_lo, exec_lo, s11
	s_cbranch_vccnz .LBB74_14
; %bb.13:
	v_cmp_eq_u32_e32 vcc_lo, 1, v0
	v_dual_cndmask_b32 v56, v35, v37 :: v_dual_cndmask_b32 v57, v34, v36
	v_cmp_eq_u32_e32 vcc_lo, 2, v0
	s_delay_alu instid0(VALU_DEP_2) | instskip(SKIP_1) | instid1(VALU_DEP_2)
	v_dual_cndmask_b32 v56, v56, v39 :: v_dual_cndmask_b32 v57, v57, v38
	v_cmp_eq_u32_e32 vcc_lo, 3, v0
	v_dual_cndmask_b32 v56, v56, v41 :: v_dual_cndmask_b32 v57, v57, v40
	v_cmp_eq_u32_e32 vcc_lo, 4, v0
	s_delay_alu instid0(VALU_DEP_2) | instskip(SKIP_1) | instid1(VALU_DEP_2)
	v_dual_cndmask_b32 v56, v56, v43 :: v_dual_cndmask_b32 v57, v57, v42
	;; [unrolled: 5-line block ×3, first 2 shown]
	v_cmp_eq_u32_e32 vcc_lo, 7, v0
	v_dual_cndmask_b32 v58, v56, v49 :: v_dual_cndmask_b32 v59, v57, v48
	v_cmp_eq_u32_e32 vcc_lo, 8, v0
	ds_load_b64 v[56:57], v90
	v_dual_cndmask_b32 v51, v58, v51 :: v_dual_cndmask_b32 v50, v59, v50
	v_cmp_eq_u32_e32 vcc_lo, 9, v0
	s_delay_alu instid0(VALU_DEP_2) | instskip(SKIP_1) | instid1(VALU_DEP_2)
	v_dual_cndmask_b32 v51, v51, v53 :: v_dual_cndmask_b32 v50, v50, v52
	v_cmp_eq_u32_e32 vcc_lo, 10, v0
	v_dual_cndmask_b32 v51, v51, v55 :: v_dual_cndmask_b32 v50, v50, v54
	s_waitcnt lgkmcnt(0)
	s_delay_alu instid0(VALU_DEP_1)
	v_mul_f64 v[50:51], v[50:51], v[56:57]
	s_cbranch_execz .LBB74_15
	s_branch .LBB74_16
.LBB74_14:
                                        ; implicit-def: $vgpr50_vgpr51
.LBB74_15:
	ds_load_b64 v[50:51], v90
.LBB74_16:
	s_and_saveexec_b32 s3, s1
	s_cbranch_execz .LBB74_18
; %bb.17:
	v_mov_b32_e32 v56, 0
	ds_load_b64 v[56:57], v56 offset:168
	s_waitcnt lgkmcnt(0)
	v_fma_f64 v[50:51], v[52:53], v[56:57], v[50:51]
.LBB74_18:
	s_or_b32 exec_lo, exec_lo, s3
	v_mov_b32_e32 v56, 0
	ds_load_b64 v[56:57], v56 offset:64
	s_waitcnt lgkmcnt(0)
	v_mul_f64 v[50:51], v[50:51], v[56:57]
.LBB74_19:
	s_or_b32 exec_lo, exec_lo, s2
	v_cmp_lt_u32_e64 s1, 7, v0
	ds_store_b64 v90, v[48:49]
	s_waitcnt lgkmcnt(0)
	s_barrier
	buffer_gl0_inv
	s_and_saveexec_b32 s4, s1
	s_cbranch_execz .LBB74_35
; %bb.20:
	s_and_not1_b32 vcc_lo, exec_lo, s11
	s_cbranch_vccnz .LBB74_22
; %bb.21:
	v_cmp_eq_u32_e32 vcc_lo, 1, v0
	v_dual_cndmask_b32 v88, v35, v37 :: v_dual_cndmask_b32 v89, v34, v36
	v_cmp_eq_u32_e32 vcc_lo, 2, v0
	s_delay_alu instid0(VALU_DEP_2) | instskip(SKIP_1) | instid1(VALU_DEP_2)
	v_dual_cndmask_b32 v88, v88, v39 :: v_dual_cndmask_b32 v89, v89, v38
	v_cmp_eq_u32_e32 vcc_lo, 3, v0
	v_dual_cndmask_b32 v88, v88, v41 :: v_dual_cndmask_b32 v89, v89, v40
	v_cmp_eq_u32_e32 vcc_lo, 4, v0
	s_delay_alu instid0(VALU_DEP_2) | instskip(SKIP_1) | instid1(VALU_DEP_2)
	v_dual_cndmask_b32 v88, v88, v43 :: v_dual_cndmask_b32 v89, v89, v42
	;; [unrolled: 5-line block ×3, first 2 shown]
	v_cmp_eq_u32_e32 vcc_lo, 7, v0
	v_dual_cndmask_b32 v91, v88, v49 :: v_dual_cndmask_b32 v92, v89, v48
	v_cmp_eq_u32_e32 vcc_lo, 8, v0
	ds_load_b64 v[88:89], v90
	v_dual_cndmask_b32 v91, v91, v51 :: v_dual_cndmask_b32 v92, v92, v50
	v_cmp_eq_u32_e32 vcc_lo, 9, v0
	s_delay_alu instid0(VALU_DEP_2) | instskip(NEXT) | instid1(VALU_DEP_3)
	v_cndmask_b32_e32 v91, v91, v53, vcc_lo
	v_cndmask_b32_e32 v93, v92, v52, vcc_lo
	v_cmp_eq_u32_e32 vcc_lo, 10, v0
	s_delay_alu instid0(VALU_DEP_2) | instskip(SKIP_1) | instid1(VALU_DEP_1)
	v_dual_cndmask_b32 v92, v91, v55 :: v_dual_cndmask_b32 v91, v93, v54
	s_waitcnt lgkmcnt(0)
	v_mul_f64 v[88:89], v[91:92], v[88:89]
	s_cbranch_execz .LBB74_23
	s_branch .LBB74_24
.LBB74_22:
                                        ; implicit-def: $vgpr88_vgpr89
.LBB74_23:
	ds_load_b64 v[88:89], v90
.LBB74_24:
	s_and_saveexec_b32 s5, s0
	s_cbranch_execz .LBB74_34
; %bb.25:
	v_dual_mov_b32 v92, 8 :: v_dual_add_nc_u32 v91, -9, v0
	s_mov_b32 s0, exec_lo
	s_delay_alu instid0(VALU_DEP_1)
	v_cmpx_lt_u32_e32 6, v91
	s_cbranch_execz .LBB74_29
; %bb.26:
	v_and_b32_e32 v91, 8, v0
	s_mov_b32 s6, 0
	s_mov_b64 s[2:3], 15
	s_movk_i32 s7, 0xa0
	s_delay_alu instid0(VALU_DEP_1)
	v_sub_nc_u32_e32 v91, 0, v91
.LBB74_27:                              ; =>This Inner Loop Header: Depth=1
	v_mov_b32_e32 v102, s7
	s_lshl_b32 s8, s2, 1
	s_delay_alu instid0(SALU_CYCLE_1)
	s_add_i32 m0, s8, -13
	v_movrels_b32_e32 v101, v34
	ds_load_b128 v[92:95], v102
	ds_load_b128 v[96:99], v102 offset:16
	s_add_i32 m0, s8, -14
	v_movrels_b32_e32 v100, v34
	s_add_i32 m0, s8, -11
	s_waitcnt lgkmcnt(1)
	s_delay_alu instid0(VALU_DEP_1) | instskip(SKIP_4) | instid1(VALU_DEP_1)
	v_fma_f64 v[88:89], v[100:101], v[92:93], v[88:89]
	v_movrels_b32_e32 v93, v34
	s_add_i32 m0, s8, -12
	v_movrels_b32_e32 v92, v34
	s_add_i32 m0, s8, -9
	v_fma_f64 v[88:89], v[92:93], v[94:95], v[88:89]
	v_movrels_b32_e32 v93, v34
	s_add_i32 m0, s8, -10
	v_movrels_b32_e32 v92, v34
	s_add_i32 m0, s8, -7
	s_waitcnt lgkmcnt(0)
	s_delay_alu instid0(VALU_DEP_1)
	v_fma_f64 v[88:89], v[92:93], v[96:97], v[88:89]
	v_movrels_b32_e32 v93, v34
	s_add_i32 m0, s8, -8
	v_movrels_b32_e32 v92, v34
	s_add_i32 m0, s8, -5
	;; [unrolled: 2-line block ×4, first 2 shown]
	v_fma_f64 v[88:89], v[92:93], v[98:99], v[88:89]
	ds_load_b128 v[92:95], v102 offset:32
	ds_load_b128 v[96:99], v102 offset:48
	s_waitcnt lgkmcnt(1)
	v_fma_f64 v[88:89], v[100:101], v[92:93], v[88:89]
	v_movrels_b32_e32 v93, v34
	s_add_i32 m0, s8, -4
	v_movrels_b32_e32 v92, v34
	s_add_i32 m0, s8, -1
	s_delay_alu instid0(VALU_DEP_1)
	v_fma_f64 v[88:89], v[92:93], v[94:95], v[88:89]
	v_movrels_b32_e32 v93, v34
	s_add_i32 m0, s8, -2
	s_add_u32 s2, s2, 8
	v_movrels_b32_e32 v92, v34
	s_mov_b32 m0, s8
	s_addc_u32 s3, s3, 0
	s_add_i32 s8, s2, -7
	s_add_i32 s7, s7, 64
	s_waitcnt lgkmcnt(0)
	s_delay_alu instid0(VALU_DEP_3) | instskip(SKIP_2) | instid1(VALU_DEP_1)
	v_fma_f64 v[88:89], v[92:93], v[96:97], v[88:89]
	v_movrels_b32_e32 v93, v35
	v_movrels_b32_e32 v92, v34
	v_fma_f64 v[88:89], v[92:93], v[98:99], v[88:89]
	v_add_nc_u32_e32 v92, s2, v91
	s_delay_alu instid0(VALU_DEP_1) | instskip(SKIP_2) | instid1(SALU_CYCLE_1)
	v_cmp_eq_u32_e32 vcc_lo, 7, v92
	v_mov_b32_e32 v92, s8
	s_or_b32 s6, vcc_lo, s6
	s_and_not1_b32 exec_lo, exec_lo, s6
	s_cbranch_execnz .LBB74_27
; %bb.28:
	s_or_b32 exec_lo, exec_lo, s6
.LBB74_29:
	s_delay_alu instid0(SALU_CYCLE_1) | instskip(SKIP_3) | instid1(VALU_DEP_1)
	s_or_b32 exec_lo, exec_lo, s0
	v_and_b32_e32 v56, 7, v0
	s_mov_b32 s3, 0
	s_mov_b32 s2, exec_lo
	v_cmpx_ne_u32_e32 0, v56
	s_cbranch_execz .LBB74_33
; %bb.30:
	v_lshl_add_u32 v57, v92, 3, 0x60
	v_mov_b32_e32 v58, 0
.LBB74_31:                              ; =>This Inner Loop Header: Depth=1
	v_cmp_eq_u32_e32 vcc_lo, 1, v92
	v_cmp_eq_u32_e64 s0, 2, v92
	v_dual_cndmask_b32 v59, v35, v37 :: v_dual_add_nc_u32 v56, -1, v56
	v_cndmask_b32_e32 v60, v34, v36, vcc_lo
	v_cmp_eq_u32_e32 vcc_lo, 3, v92
	s_delay_alu instid0(VALU_DEP_3) | instskip(NEXT) | instid1(VALU_DEP_3)
	v_cndmask_b32_e64 v59, v59, v39, s0
	v_cndmask_b32_e64 v60, v60, v38, s0
	v_cmp_eq_u32_e64 s0, 4, v92
	s_delay_alu instid0(VALU_DEP_2) | instskip(SKIP_1) | instid1(VALU_DEP_2)
	v_dual_cndmask_b32 v59, v59, v41 :: v_dual_cndmask_b32 v60, v60, v40
	v_cmp_eq_u32_e32 vcc_lo, 5, v92
	v_cndmask_b32_e64 v59, v59, v43, s0
	s_delay_alu instid0(VALU_DEP_3) | instskip(SKIP_1) | instid1(VALU_DEP_2)
	v_cndmask_b32_e64 v60, v60, v42, s0
	v_cmp_eq_u32_e64 s0, 6, v92
	v_dual_cndmask_b32 v59, v59, v45 :: v_dual_cndmask_b32 v60, v60, v44
	v_cmp_eq_u32_e32 vcc_lo, 7, v92
	s_delay_alu instid0(VALU_DEP_2) | instskip(NEXT) | instid1(VALU_DEP_3)
	v_cndmask_b32_e64 v61, v59, v47, s0
	v_cndmask_b32_e64 v62, v60, v46, s0
	ds_load_b64 v[59:60], v57
	v_cmp_eq_u32_e64 s0, 8, v92
	v_add_nc_u32_e32 v57, 8, v57
	v_dual_cndmask_b32 v61, v61, v49 :: v_dual_cndmask_b32 v62, v62, v48
	v_cmp_eq_u32_e32 vcc_lo, 9, v92
	s_delay_alu instid0(VALU_DEP_2) | instskip(NEXT) | instid1(VALU_DEP_3)
	v_cndmask_b32_e64 v61, v61, v51, s0
	v_cndmask_b32_e64 v62, v62, v50, s0
	v_cmp_eq_u32_e64 s0, 10, v92
	s_delay_alu instid0(VALU_DEP_3) | instskip(NEXT) | instid1(VALU_DEP_3)
	v_cndmask_b32_e32 v61, v61, v53, vcc_lo
	v_cndmask_b32_e32 v63, v62, v52, vcc_lo
	v_cmp_eq_u32_e32 vcc_lo, 0, v56
	s_delay_alu instid0(VALU_DEP_3) | instskip(NEXT) | instid1(VALU_DEP_3)
	v_cndmask_b32_e64 v62, v61, v55, s0
	v_cndmask_b32_e64 v61, v63, v54, s0
	v_add_co_u32 v92, s0, v92, 1
	s_delay_alu instid0(VALU_DEP_1) | instskip(SKIP_1) | instid1(VALU_DEP_3)
	v_add_co_ci_u32_e64 v58, s0, 0, v58, s0
	s_waitcnt lgkmcnt(0)
	v_fma_f64 v[88:89], v[61:62], v[59:60], v[88:89]
	s_or_b32 s3, vcc_lo, s3
	s_delay_alu instid0(SALU_CYCLE_1)
	s_and_not1_b32 exec_lo, exec_lo, s3
	s_cbranch_execnz .LBB74_31
; %bb.32:
	s_or_b32 exec_lo, exec_lo, s3
.LBB74_33:
	s_delay_alu instid0(SALU_CYCLE_1)
	s_or_b32 exec_lo, exec_lo, s2
.LBB74_34:
	s_delay_alu instid0(SALU_CYCLE_1)
	s_or_b32 exec_lo, exec_lo, s5
	v_mov_b32_e32 v48, 0
	ds_load_b64 v[48:49], v48 offset:56
	s_waitcnt lgkmcnt(0)
	v_mul_f64 v[48:49], v[88:89], v[48:49]
.LBB74_35:
	s_or_b32 exec_lo, exec_lo, s4
	v_cmp_lt_u32_e64 s0, 6, v0
	ds_store_b64 v90, v[46:47]
	s_waitcnt lgkmcnt(0)
	s_barrier
	buffer_gl0_inv
	s_and_saveexec_b32 s4, s0
	s_cbranch_execz .LBB74_51
; %bb.36:
	s_and_not1_b32 vcc_lo, exec_lo, s11
	s_cbranch_vccnz .LBB74_38
; %bb.37:
	v_cmp_eq_u32_e32 vcc_lo, 1, v0
	v_dual_cndmask_b32 v88, v35, v37 :: v_dual_cndmask_b32 v89, v34, v36
	v_cmp_eq_u32_e32 vcc_lo, 2, v0
	s_delay_alu instid0(VALU_DEP_2) | instskip(SKIP_1) | instid1(VALU_DEP_2)
	v_dual_cndmask_b32 v88, v88, v39 :: v_dual_cndmask_b32 v89, v89, v38
	v_cmp_eq_u32_e32 vcc_lo, 3, v0
	v_dual_cndmask_b32 v88, v88, v41 :: v_dual_cndmask_b32 v89, v89, v40
	v_cmp_eq_u32_e32 vcc_lo, 4, v0
	s_delay_alu instid0(VALU_DEP_2) | instskip(SKIP_1) | instid1(VALU_DEP_2)
	v_dual_cndmask_b32 v88, v88, v43 :: v_dual_cndmask_b32 v89, v89, v42
	v_cmp_eq_u32_e32 vcc_lo, 5, v0
	v_dual_cndmask_b32 v88, v88, v45 :: v_dual_cndmask_b32 v89, v89, v44
	v_cmp_eq_u32_e32 vcc_lo, 6, v0
	s_delay_alu instid0(VALU_DEP_2) | instskip(SKIP_1) | instid1(VALU_DEP_2)
	v_dual_cndmask_b32 v88, v88, v47 :: v_dual_cndmask_b32 v89, v89, v46
	v_cmp_eq_u32_e32 vcc_lo, 7, v0
	v_dual_cndmask_b32 v91, v88, v49 :: v_dual_cndmask_b32 v92, v89, v48
	v_cmp_eq_u32_e32 vcc_lo, 8, v0
	ds_load_b64 v[88:89], v90
	v_dual_cndmask_b32 v91, v91, v51 :: v_dual_cndmask_b32 v92, v92, v50
	v_cmp_eq_u32_e32 vcc_lo, 9, v0
	s_delay_alu instid0(VALU_DEP_2) | instskip(NEXT) | instid1(VALU_DEP_3)
	v_cndmask_b32_e32 v91, v91, v53, vcc_lo
	v_cndmask_b32_e32 v93, v92, v52, vcc_lo
	v_cmp_eq_u32_e32 vcc_lo, 10, v0
	s_delay_alu instid0(VALU_DEP_2) | instskip(SKIP_1) | instid1(VALU_DEP_1)
	v_dual_cndmask_b32 v92, v91, v55 :: v_dual_cndmask_b32 v91, v93, v54
	s_waitcnt lgkmcnt(0)
	v_mul_f64 v[88:89], v[91:92], v[88:89]
	s_cbranch_execz .LBB74_39
	s_branch .LBB74_40
.LBB74_38:
                                        ; implicit-def: $vgpr88_vgpr89
.LBB74_39:
	ds_load_b64 v[88:89], v90
.LBB74_40:
	s_and_saveexec_b32 s5, s1
	s_cbranch_execz .LBB74_50
; %bb.41:
	v_dual_mov_b32 v93, 7 :: v_dual_add_nc_u32 v92, -8, v0
	v_add_nc_u32_e32 v91, -7, v0
	s_mov_b32 s1, exec_lo
	s_delay_alu instid0(VALU_DEP_2)
	v_cmpx_lt_u32_e32 6, v92
	s_cbranch_execz .LBB74_45
; %bb.42:
	s_delay_alu instid0(VALU_DEP_2) | instskip(SKIP_3) | instid1(VALU_DEP_1)
	v_and_b32_e32 v92, -8, v91
	s_mov_b32 s6, 0
	s_mov_b64 s[2:3], 14
	s_movk_i32 s7, 0x98
	v_sub_nc_u32_e32 v92, 0, v92
.LBB74_43:                              ; =>This Inner Loop Header: Depth=1
	v_mov_b32_e32 v103, s7
	s_lshl_b32 s8, s2, 1
	s_delay_alu instid0(SALU_CYCLE_1)
	s_add_i32 m0, s8, -13
	v_movrels_b32_e32 v102, v34
	ds_load_2addr_b64 v[93:96], v103 offset1:1
	ds_load_2addr_b64 v[97:100], v103 offset0:2 offset1:3
	s_add_i32 m0, s8, -14
	v_movrels_b32_e32 v101, v34
	s_add_i32 m0, s8, -11
	s_waitcnt lgkmcnt(1)
	s_delay_alu instid0(VALU_DEP_1) | instskip(SKIP_4) | instid1(VALU_DEP_1)
	v_fma_f64 v[88:89], v[101:102], v[93:94], v[88:89]
	v_movrels_b32_e32 v94, v34
	s_add_i32 m0, s8, -12
	v_movrels_b32_e32 v93, v34
	s_add_i32 m0, s8, -9
	v_fma_f64 v[88:89], v[93:94], v[95:96], v[88:89]
	v_movrels_b32_e32 v94, v34
	s_add_i32 m0, s8, -10
	v_movrels_b32_e32 v93, v34
	s_add_i32 m0, s8, -7
	s_waitcnt lgkmcnt(0)
	s_delay_alu instid0(VALU_DEP_1)
	v_fma_f64 v[88:89], v[93:94], v[97:98], v[88:89]
	v_movrels_b32_e32 v94, v34
	s_add_i32 m0, s8, -8
	v_movrels_b32_e32 v93, v34
	s_add_i32 m0, s8, -5
	;; [unrolled: 2-line block ×4, first 2 shown]
	v_fma_f64 v[88:89], v[93:94], v[99:100], v[88:89]
	ds_load_2addr_b64 v[93:96], v103 offset0:4 offset1:5
	ds_load_2addr_b64 v[97:100], v103 offset0:6 offset1:7
	s_waitcnt lgkmcnt(1)
	v_fma_f64 v[88:89], v[101:102], v[93:94], v[88:89]
	v_movrels_b32_e32 v94, v34
	s_add_i32 m0, s8, -4
	v_movrels_b32_e32 v93, v34
	s_add_i32 m0, s8, -1
	s_delay_alu instid0(VALU_DEP_1)
	v_fma_f64 v[88:89], v[93:94], v[95:96], v[88:89]
	v_movrels_b32_e32 v94, v34
	s_add_i32 m0, s8, -2
	s_add_u32 s2, s2, 8
	v_movrels_b32_e32 v93, v34
	s_mov_b32 m0, s8
	s_addc_u32 s3, s3, 0
	s_add_i32 s8, s2, -7
	s_add_i32 s7, s7, 64
	s_waitcnt lgkmcnt(0)
	s_delay_alu instid0(VALU_DEP_3) | instskip(SKIP_2) | instid1(VALU_DEP_1)
	v_fma_f64 v[88:89], v[93:94], v[97:98], v[88:89]
	v_movrels_b32_e32 v94, v35
	v_movrels_b32_e32 v93, v34
	v_fma_f64 v[88:89], v[93:94], v[99:100], v[88:89]
	v_add_nc_u32_e32 v93, s2, v92
	s_delay_alu instid0(VALU_DEP_1) | instskip(SKIP_2) | instid1(SALU_CYCLE_1)
	v_cmp_eq_u32_e32 vcc_lo, 14, v93
	v_mov_b32_e32 v93, s8
	s_or_b32 s6, vcc_lo, s6
	s_and_not1_b32 exec_lo, exec_lo, s6
	s_cbranch_execnz .LBB74_43
; %bb.44:
	s_or_b32 exec_lo, exec_lo, s6
.LBB74_45:
	s_delay_alu instid0(SALU_CYCLE_1) | instskip(SKIP_3) | instid1(VALU_DEP_1)
	s_or_b32 exec_lo, exec_lo, s1
	v_and_b32_e32 v56, 7, v91
	s_mov_b32 s3, 0
	s_mov_b32 s2, exec_lo
	v_cmpx_ne_u32_e32 0, v56
	s_cbranch_execz .LBB74_49
; %bb.46:
	v_lshl_add_u32 v57, v93, 3, 0x60
	v_mov_b32_e32 v58, 0
.LBB74_47:                              ; =>This Inner Loop Header: Depth=1
	v_cmp_eq_u32_e32 vcc_lo, 1, v93
	v_cmp_eq_u32_e64 s1, 2, v93
	v_dual_cndmask_b32 v59, v35, v37 :: v_dual_add_nc_u32 v56, -1, v56
	v_cndmask_b32_e32 v60, v34, v36, vcc_lo
	v_cmp_eq_u32_e32 vcc_lo, 3, v93
	s_delay_alu instid0(VALU_DEP_3) | instskip(NEXT) | instid1(VALU_DEP_3)
	v_cndmask_b32_e64 v59, v59, v39, s1
	v_cndmask_b32_e64 v60, v60, v38, s1
	v_cmp_eq_u32_e64 s1, 4, v93
	s_delay_alu instid0(VALU_DEP_2) | instskip(SKIP_1) | instid1(VALU_DEP_2)
	v_dual_cndmask_b32 v59, v59, v41 :: v_dual_cndmask_b32 v60, v60, v40
	v_cmp_eq_u32_e32 vcc_lo, 5, v93
	v_cndmask_b32_e64 v59, v59, v43, s1
	s_delay_alu instid0(VALU_DEP_3) | instskip(SKIP_1) | instid1(VALU_DEP_2)
	v_cndmask_b32_e64 v60, v60, v42, s1
	v_cmp_eq_u32_e64 s1, 6, v93
	v_dual_cndmask_b32 v59, v59, v45 :: v_dual_cndmask_b32 v60, v60, v44
	v_cmp_eq_u32_e32 vcc_lo, 7, v93
	s_delay_alu instid0(VALU_DEP_2) | instskip(NEXT) | instid1(VALU_DEP_3)
	v_cndmask_b32_e64 v61, v59, v47, s1
	v_cndmask_b32_e64 v62, v60, v46, s1
	ds_load_b64 v[59:60], v57
	v_cmp_eq_u32_e64 s1, 8, v93
	v_add_nc_u32_e32 v57, 8, v57
	v_dual_cndmask_b32 v61, v61, v49 :: v_dual_cndmask_b32 v62, v62, v48
	v_cmp_eq_u32_e32 vcc_lo, 9, v93
	s_delay_alu instid0(VALU_DEP_2) | instskip(NEXT) | instid1(VALU_DEP_3)
	v_cndmask_b32_e64 v61, v61, v51, s1
	v_cndmask_b32_e64 v62, v62, v50, s1
	v_cmp_eq_u32_e64 s1, 10, v93
	s_delay_alu instid0(VALU_DEP_3) | instskip(NEXT) | instid1(VALU_DEP_3)
	v_cndmask_b32_e32 v61, v61, v53, vcc_lo
	v_cndmask_b32_e32 v63, v62, v52, vcc_lo
	v_cmp_eq_u32_e32 vcc_lo, 0, v56
	s_delay_alu instid0(VALU_DEP_3) | instskip(NEXT) | instid1(VALU_DEP_3)
	v_cndmask_b32_e64 v62, v61, v55, s1
	v_cndmask_b32_e64 v61, v63, v54, s1
	v_add_co_u32 v93, s1, v93, 1
	s_delay_alu instid0(VALU_DEP_1) | instskip(SKIP_1) | instid1(VALU_DEP_3)
	v_add_co_ci_u32_e64 v58, s1, 0, v58, s1
	s_waitcnt lgkmcnt(0)
	v_fma_f64 v[88:89], v[61:62], v[59:60], v[88:89]
	s_or_b32 s3, vcc_lo, s3
	s_delay_alu instid0(SALU_CYCLE_1)
	s_and_not1_b32 exec_lo, exec_lo, s3
	s_cbranch_execnz .LBB74_47
; %bb.48:
	s_or_b32 exec_lo, exec_lo, s3
.LBB74_49:
	s_delay_alu instid0(SALU_CYCLE_1)
	s_or_b32 exec_lo, exec_lo, s2
.LBB74_50:
	s_delay_alu instid0(SALU_CYCLE_1)
	s_or_b32 exec_lo, exec_lo, s5
	v_mov_b32_e32 v46, 0
	ds_load_b64 v[46:47], v46 offset:48
	s_waitcnt lgkmcnt(0)
	v_mul_f64 v[46:47], v[88:89], v[46:47]
.LBB74_51:
	s_or_b32 exec_lo, exec_lo, s4
	v_cmp_lt_u32_e64 s2, 5, v0
	ds_store_b64 v90, v[44:45]
	s_waitcnt lgkmcnt(0)
	s_barrier
	buffer_gl0_inv
	s_and_saveexec_b32 s3, s2
	s_cbranch_execz .LBB74_67
; %bb.52:
	s_and_not1_b32 vcc_lo, exec_lo, s11
	s_cbranch_vccnz .LBB74_54
; %bb.53:
	v_cmp_eq_u32_e32 vcc_lo, 1, v0
	v_dual_cndmask_b32 v88, v35, v37 :: v_dual_cndmask_b32 v89, v34, v36
	v_cmp_eq_u32_e32 vcc_lo, 2, v0
	s_delay_alu instid0(VALU_DEP_2) | instskip(SKIP_1) | instid1(VALU_DEP_2)
	v_dual_cndmask_b32 v88, v88, v39 :: v_dual_cndmask_b32 v89, v89, v38
	v_cmp_eq_u32_e32 vcc_lo, 3, v0
	v_dual_cndmask_b32 v88, v88, v41 :: v_dual_cndmask_b32 v89, v89, v40
	v_cmp_eq_u32_e32 vcc_lo, 4, v0
	s_delay_alu instid0(VALU_DEP_2) | instskip(SKIP_1) | instid1(VALU_DEP_2)
	v_dual_cndmask_b32 v88, v88, v43 :: v_dual_cndmask_b32 v89, v89, v42
	;; [unrolled: 5-line block ×3, first 2 shown]
	v_cmp_eq_u32_e32 vcc_lo, 7, v0
	v_dual_cndmask_b32 v91, v88, v49 :: v_dual_cndmask_b32 v92, v89, v48
	v_cmp_eq_u32_e32 vcc_lo, 8, v0
	ds_load_b64 v[88:89], v90
	v_dual_cndmask_b32 v91, v91, v51 :: v_dual_cndmask_b32 v92, v92, v50
	v_cmp_eq_u32_e32 vcc_lo, 9, v0
	s_delay_alu instid0(VALU_DEP_2) | instskip(NEXT) | instid1(VALU_DEP_3)
	v_cndmask_b32_e32 v91, v91, v53, vcc_lo
	v_cndmask_b32_e32 v93, v92, v52, vcc_lo
	v_cmp_eq_u32_e32 vcc_lo, 10, v0
	s_delay_alu instid0(VALU_DEP_2) | instskip(SKIP_1) | instid1(VALU_DEP_1)
	v_dual_cndmask_b32 v92, v91, v55 :: v_dual_cndmask_b32 v91, v93, v54
	s_waitcnt lgkmcnt(0)
	v_mul_f64 v[88:89], v[91:92], v[88:89]
	s_cbranch_execz .LBB74_55
	s_branch .LBB74_56
.LBB74_54:
                                        ; implicit-def: $vgpr88_vgpr89
.LBB74_55:
	ds_load_b64 v[88:89], v90
.LBB74_56:
	s_and_saveexec_b32 s4, s0
	s_cbranch_execz .LBB74_66
; %bb.57:
	v_dual_mov_b32 v93, 6 :: v_dual_add_nc_u32 v92, -7, v0
	v_add_nc_u32_e32 v91, -6, v0
	s_mov_b32 s5, exec_lo
	s_delay_alu instid0(VALU_DEP_2)
	v_cmpx_lt_u32_e32 6, v92
	s_cbranch_execz .LBB74_61
; %bb.58:
	s_delay_alu instid0(VALU_DEP_2) | instskip(SKIP_3) | instid1(VALU_DEP_1)
	v_and_b32_e32 v92, -8, v91
	s_mov_b32 s6, 0
	s_mov_b64 s[0:1], 13
	s_movk_i32 s7, 0x90
	v_sub_nc_u32_e32 v92, 0, v92
.LBB74_59:                              ; =>This Inner Loop Header: Depth=1
	v_mov_b32_e32 v103, s7
	s_lshl_b32 s8, s0, 1
	s_delay_alu instid0(SALU_CYCLE_1)
	s_add_i32 m0, s8, -13
	v_movrels_b32_e32 v102, v34
	ds_load_b128 v[93:96], v103
	ds_load_b128 v[97:100], v103 offset:16
	s_add_i32 m0, s8, -14
	v_movrels_b32_e32 v101, v34
	s_add_i32 m0, s8, -11
	s_waitcnt lgkmcnt(1)
	s_delay_alu instid0(VALU_DEP_1) | instskip(SKIP_4) | instid1(VALU_DEP_1)
	v_fma_f64 v[88:89], v[101:102], v[93:94], v[88:89]
	v_movrels_b32_e32 v94, v34
	s_add_i32 m0, s8, -12
	v_movrels_b32_e32 v93, v34
	s_add_i32 m0, s8, -9
	v_fma_f64 v[88:89], v[93:94], v[95:96], v[88:89]
	v_movrels_b32_e32 v94, v34
	s_add_i32 m0, s8, -10
	v_movrels_b32_e32 v93, v34
	s_add_i32 m0, s8, -7
	s_waitcnt lgkmcnt(0)
	s_delay_alu instid0(VALU_DEP_1)
	v_fma_f64 v[88:89], v[93:94], v[97:98], v[88:89]
	v_movrels_b32_e32 v94, v34
	s_add_i32 m0, s8, -8
	v_movrels_b32_e32 v93, v34
	s_add_i32 m0, s8, -5
	;; [unrolled: 2-line block ×4, first 2 shown]
	v_fma_f64 v[88:89], v[93:94], v[99:100], v[88:89]
	ds_load_b128 v[93:96], v103 offset:32
	ds_load_b128 v[97:100], v103 offset:48
	s_waitcnt lgkmcnt(1)
	v_fma_f64 v[88:89], v[101:102], v[93:94], v[88:89]
	v_movrels_b32_e32 v94, v34
	s_add_i32 m0, s8, -4
	v_movrels_b32_e32 v93, v34
	s_add_i32 m0, s8, -1
	s_delay_alu instid0(VALU_DEP_1)
	v_fma_f64 v[88:89], v[93:94], v[95:96], v[88:89]
	v_movrels_b32_e32 v94, v34
	s_add_i32 m0, s8, -2
	s_add_u32 s0, s0, 8
	v_movrels_b32_e32 v93, v34
	s_mov_b32 m0, s8
	s_addc_u32 s1, s1, 0
	s_add_i32 s8, s0, -7
	s_add_i32 s7, s7, 64
	s_waitcnt lgkmcnt(0)
	s_delay_alu instid0(VALU_DEP_3) | instskip(SKIP_2) | instid1(VALU_DEP_1)
	v_fma_f64 v[88:89], v[93:94], v[97:98], v[88:89]
	v_movrels_b32_e32 v94, v35
	v_movrels_b32_e32 v93, v34
	v_fma_f64 v[88:89], v[93:94], v[99:100], v[88:89]
	v_add_nc_u32_e32 v93, s0, v92
	s_delay_alu instid0(VALU_DEP_1) | instskip(SKIP_2) | instid1(SALU_CYCLE_1)
	v_cmp_eq_u32_e32 vcc_lo, 13, v93
	v_mov_b32_e32 v93, s8
	s_or_b32 s6, vcc_lo, s6
	s_and_not1_b32 exec_lo, exec_lo, s6
	s_cbranch_execnz .LBB74_59
; %bb.60:
	s_or_b32 exec_lo, exec_lo, s6
.LBB74_61:
	s_delay_alu instid0(SALU_CYCLE_1) | instskip(SKIP_3) | instid1(VALU_DEP_1)
	s_or_b32 exec_lo, exec_lo, s5
	v_and_b32_e32 v56, 7, v91
	s_mov_b32 s5, 0
	s_mov_b32 s1, exec_lo
	v_cmpx_ne_u32_e32 0, v56
	s_cbranch_execz .LBB74_65
; %bb.62:
	v_lshl_add_u32 v57, v93, 3, 0x60
	v_mov_b32_e32 v58, 0
.LBB74_63:                              ; =>This Inner Loop Header: Depth=1
	v_cmp_eq_u32_e32 vcc_lo, 1, v93
	v_cmp_eq_u32_e64 s0, 2, v93
	v_dual_cndmask_b32 v59, v35, v37 :: v_dual_add_nc_u32 v56, -1, v56
	v_cndmask_b32_e32 v60, v34, v36, vcc_lo
	v_cmp_eq_u32_e32 vcc_lo, 3, v93
	s_delay_alu instid0(VALU_DEP_3) | instskip(NEXT) | instid1(VALU_DEP_3)
	v_cndmask_b32_e64 v59, v59, v39, s0
	v_cndmask_b32_e64 v60, v60, v38, s0
	v_cmp_eq_u32_e64 s0, 4, v93
	s_delay_alu instid0(VALU_DEP_2) | instskip(SKIP_1) | instid1(VALU_DEP_2)
	v_dual_cndmask_b32 v59, v59, v41 :: v_dual_cndmask_b32 v60, v60, v40
	v_cmp_eq_u32_e32 vcc_lo, 5, v93
	v_cndmask_b32_e64 v59, v59, v43, s0
	s_delay_alu instid0(VALU_DEP_3) | instskip(SKIP_1) | instid1(VALU_DEP_2)
	v_cndmask_b32_e64 v60, v60, v42, s0
	v_cmp_eq_u32_e64 s0, 6, v93
	v_dual_cndmask_b32 v59, v59, v45 :: v_dual_cndmask_b32 v60, v60, v44
	v_cmp_eq_u32_e32 vcc_lo, 7, v93
	s_delay_alu instid0(VALU_DEP_2) | instskip(NEXT) | instid1(VALU_DEP_3)
	v_cndmask_b32_e64 v61, v59, v47, s0
	v_cndmask_b32_e64 v62, v60, v46, s0
	ds_load_b64 v[59:60], v57
	v_cmp_eq_u32_e64 s0, 8, v93
	v_add_nc_u32_e32 v57, 8, v57
	v_dual_cndmask_b32 v61, v61, v49 :: v_dual_cndmask_b32 v62, v62, v48
	v_cmp_eq_u32_e32 vcc_lo, 9, v93
	s_delay_alu instid0(VALU_DEP_2) | instskip(NEXT) | instid1(VALU_DEP_3)
	v_cndmask_b32_e64 v61, v61, v51, s0
	v_cndmask_b32_e64 v62, v62, v50, s0
	v_cmp_eq_u32_e64 s0, 10, v93
	s_delay_alu instid0(VALU_DEP_3) | instskip(NEXT) | instid1(VALU_DEP_3)
	v_cndmask_b32_e32 v61, v61, v53, vcc_lo
	v_cndmask_b32_e32 v63, v62, v52, vcc_lo
	v_cmp_eq_u32_e32 vcc_lo, 0, v56
	s_delay_alu instid0(VALU_DEP_3) | instskip(NEXT) | instid1(VALU_DEP_3)
	v_cndmask_b32_e64 v62, v61, v55, s0
	v_cndmask_b32_e64 v61, v63, v54, s0
	v_add_co_u32 v93, s0, v93, 1
	s_delay_alu instid0(VALU_DEP_1) | instskip(SKIP_1) | instid1(VALU_DEP_3)
	v_add_co_ci_u32_e64 v58, s0, 0, v58, s0
	s_waitcnt lgkmcnt(0)
	v_fma_f64 v[88:89], v[61:62], v[59:60], v[88:89]
	s_or_b32 s5, vcc_lo, s5
	s_delay_alu instid0(SALU_CYCLE_1)
	s_and_not1_b32 exec_lo, exec_lo, s5
	s_cbranch_execnz .LBB74_63
; %bb.64:
	s_or_b32 exec_lo, exec_lo, s5
.LBB74_65:
	s_delay_alu instid0(SALU_CYCLE_1)
	s_or_b32 exec_lo, exec_lo, s1
.LBB74_66:
	s_delay_alu instid0(SALU_CYCLE_1)
	s_or_b32 exec_lo, exec_lo, s4
	v_mov_b32_e32 v44, 0
	ds_load_b64 v[44:45], v44 offset:40
	s_waitcnt lgkmcnt(0)
	v_mul_f64 v[44:45], v[88:89], v[44:45]
.LBB74_67:
	s_or_b32 exec_lo, exec_lo, s3
	v_cmp_lt_u32_e64 s1, 4, v0
	ds_store_b64 v90, v[42:43]
	s_waitcnt lgkmcnt(0)
	s_barrier
	buffer_gl0_inv
	s_and_saveexec_b32 s4, s1
	s_cbranch_execz .LBB74_83
; %bb.68:
	s_and_not1_b32 vcc_lo, exec_lo, s11
	s_cbranch_vccnz .LBB74_70
; %bb.69:
	v_cmp_eq_u32_e32 vcc_lo, 1, v0
	v_dual_cndmask_b32 v88, v35, v37 :: v_dual_cndmask_b32 v89, v34, v36
	v_cmp_eq_u32_e32 vcc_lo, 2, v0
	s_delay_alu instid0(VALU_DEP_2) | instskip(SKIP_1) | instid1(VALU_DEP_2)
	v_dual_cndmask_b32 v88, v88, v39 :: v_dual_cndmask_b32 v89, v89, v38
	v_cmp_eq_u32_e32 vcc_lo, 3, v0
	v_dual_cndmask_b32 v88, v88, v41 :: v_dual_cndmask_b32 v89, v89, v40
	v_cmp_eq_u32_e32 vcc_lo, 4, v0
	s_delay_alu instid0(VALU_DEP_2) | instskip(SKIP_1) | instid1(VALU_DEP_2)
	v_dual_cndmask_b32 v88, v88, v43 :: v_dual_cndmask_b32 v89, v89, v42
	;; [unrolled: 5-line block ×3, first 2 shown]
	v_cmp_eq_u32_e32 vcc_lo, 7, v0
	v_dual_cndmask_b32 v91, v88, v49 :: v_dual_cndmask_b32 v92, v89, v48
	v_cmp_eq_u32_e32 vcc_lo, 8, v0
	ds_load_b64 v[88:89], v90
	v_dual_cndmask_b32 v91, v91, v51 :: v_dual_cndmask_b32 v92, v92, v50
	v_cmp_eq_u32_e32 vcc_lo, 9, v0
	s_delay_alu instid0(VALU_DEP_2) | instskip(NEXT) | instid1(VALU_DEP_3)
	v_cndmask_b32_e32 v91, v91, v53, vcc_lo
	v_cndmask_b32_e32 v93, v92, v52, vcc_lo
	v_cmp_eq_u32_e32 vcc_lo, 10, v0
	s_delay_alu instid0(VALU_DEP_2) | instskip(SKIP_1) | instid1(VALU_DEP_1)
	v_dual_cndmask_b32 v92, v91, v55 :: v_dual_cndmask_b32 v91, v93, v54
	s_waitcnt lgkmcnt(0)
	v_mul_f64 v[88:89], v[91:92], v[88:89]
	s_cbranch_execz .LBB74_71
	s_branch .LBB74_72
.LBB74_70:
                                        ; implicit-def: $vgpr88_vgpr89
.LBB74_71:
	ds_load_b64 v[88:89], v90
.LBB74_72:
	s_and_saveexec_b32 s5, s2
	s_cbranch_execz .LBB74_82
; %bb.73:
	v_dual_mov_b32 v93, 5 :: v_dual_add_nc_u32 v92, -6, v0
	v_add_nc_u32_e32 v91, -5, v0
	s_mov_b32 s0, exec_lo
	s_delay_alu instid0(VALU_DEP_2)
	v_cmpx_lt_u32_e32 6, v92
	s_cbranch_execz .LBB74_77
; %bb.74:
	s_delay_alu instid0(VALU_DEP_2) | instskip(SKIP_3) | instid1(VALU_DEP_1)
	v_and_b32_e32 v92, -8, v91
	s_mov_b32 s6, 0
	s_mov_b64 s[2:3], 12
	s_movk_i32 s7, 0x88
	v_sub_nc_u32_e32 v92, 0, v92
.LBB74_75:                              ; =>This Inner Loop Header: Depth=1
	v_mov_b32_e32 v103, s7
	s_lshl_b32 s8, s2, 1
	s_delay_alu instid0(SALU_CYCLE_1)
	s_add_i32 m0, s8, -13
	v_movrels_b32_e32 v102, v34
	ds_load_2addr_b64 v[93:96], v103 offset1:1
	ds_load_2addr_b64 v[97:100], v103 offset0:2 offset1:3
	s_add_i32 m0, s8, -14
	v_movrels_b32_e32 v101, v34
	s_add_i32 m0, s8, -11
	s_waitcnt lgkmcnt(1)
	s_delay_alu instid0(VALU_DEP_1) | instskip(SKIP_4) | instid1(VALU_DEP_1)
	v_fma_f64 v[88:89], v[101:102], v[93:94], v[88:89]
	v_movrels_b32_e32 v94, v34
	s_add_i32 m0, s8, -12
	v_movrels_b32_e32 v93, v34
	s_add_i32 m0, s8, -9
	v_fma_f64 v[88:89], v[93:94], v[95:96], v[88:89]
	v_movrels_b32_e32 v94, v34
	s_add_i32 m0, s8, -10
	v_movrels_b32_e32 v93, v34
	s_add_i32 m0, s8, -7
	s_waitcnt lgkmcnt(0)
	s_delay_alu instid0(VALU_DEP_1)
	v_fma_f64 v[88:89], v[93:94], v[97:98], v[88:89]
	v_movrels_b32_e32 v94, v34
	s_add_i32 m0, s8, -8
	v_movrels_b32_e32 v93, v34
	s_add_i32 m0, s8, -5
	;; [unrolled: 2-line block ×4, first 2 shown]
	v_fma_f64 v[88:89], v[93:94], v[99:100], v[88:89]
	ds_load_2addr_b64 v[93:96], v103 offset0:4 offset1:5
	ds_load_2addr_b64 v[97:100], v103 offset0:6 offset1:7
	s_waitcnt lgkmcnt(1)
	v_fma_f64 v[88:89], v[101:102], v[93:94], v[88:89]
	v_movrels_b32_e32 v94, v34
	s_add_i32 m0, s8, -4
	v_movrels_b32_e32 v93, v34
	s_add_i32 m0, s8, -1
	s_delay_alu instid0(VALU_DEP_1)
	v_fma_f64 v[88:89], v[93:94], v[95:96], v[88:89]
	v_movrels_b32_e32 v94, v34
	s_add_i32 m0, s8, -2
	s_add_u32 s2, s2, 8
	v_movrels_b32_e32 v93, v34
	s_mov_b32 m0, s8
	s_addc_u32 s3, s3, 0
	s_add_i32 s8, s2, -7
	s_add_i32 s7, s7, 64
	s_waitcnt lgkmcnt(0)
	s_delay_alu instid0(VALU_DEP_3) | instskip(SKIP_2) | instid1(VALU_DEP_1)
	v_fma_f64 v[88:89], v[93:94], v[97:98], v[88:89]
	v_movrels_b32_e32 v94, v35
	v_movrels_b32_e32 v93, v34
	v_fma_f64 v[88:89], v[93:94], v[99:100], v[88:89]
	v_add_nc_u32_e32 v93, s2, v92
	s_delay_alu instid0(VALU_DEP_1) | instskip(SKIP_2) | instid1(SALU_CYCLE_1)
	v_cmp_eq_u32_e32 vcc_lo, 12, v93
	v_mov_b32_e32 v93, s8
	s_or_b32 s6, vcc_lo, s6
	s_and_not1_b32 exec_lo, exec_lo, s6
	s_cbranch_execnz .LBB74_75
; %bb.76:
	s_or_b32 exec_lo, exec_lo, s6
.LBB74_77:
	s_delay_alu instid0(SALU_CYCLE_1) | instskip(SKIP_3) | instid1(VALU_DEP_1)
	s_or_b32 exec_lo, exec_lo, s0
	v_and_b32_e32 v56, 7, v91
	s_mov_b32 s3, 0
	s_mov_b32 s2, exec_lo
	v_cmpx_ne_u32_e32 0, v56
	s_cbranch_execz .LBB74_81
; %bb.78:
	v_lshl_add_u32 v57, v93, 3, 0x60
	v_mov_b32_e32 v58, 0
.LBB74_79:                              ; =>This Inner Loop Header: Depth=1
	v_cmp_eq_u32_e32 vcc_lo, 1, v93
	v_cmp_eq_u32_e64 s0, 2, v93
	v_dual_cndmask_b32 v59, v35, v37 :: v_dual_add_nc_u32 v56, -1, v56
	v_cndmask_b32_e32 v60, v34, v36, vcc_lo
	v_cmp_eq_u32_e32 vcc_lo, 3, v93
	s_delay_alu instid0(VALU_DEP_3) | instskip(NEXT) | instid1(VALU_DEP_3)
	v_cndmask_b32_e64 v59, v59, v39, s0
	v_cndmask_b32_e64 v60, v60, v38, s0
	v_cmp_eq_u32_e64 s0, 4, v93
	s_delay_alu instid0(VALU_DEP_2) | instskip(SKIP_1) | instid1(VALU_DEP_2)
	v_dual_cndmask_b32 v59, v59, v41 :: v_dual_cndmask_b32 v60, v60, v40
	v_cmp_eq_u32_e32 vcc_lo, 5, v93
	v_cndmask_b32_e64 v59, v59, v43, s0
	s_delay_alu instid0(VALU_DEP_3) | instskip(SKIP_1) | instid1(VALU_DEP_2)
	v_cndmask_b32_e64 v60, v60, v42, s0
	v_cmp_eq_u32_e64 s0, 6, v93
	v_dual_cndmask_b32 v59, v59, v45 :: v_dual_cndmask_b32 v60, v60, v44
	v_cmp_eq_u32_e32 vcc_lo, 7, v93
	s_delay_alu instid0(VALU_DEP_2) | instskip(NEXT) | instid1(VALU_DEP_3)
	v_cndmask_b32_e64 v61, v59, v47, s0
	v_cndmask_b32_e64 v62, v60, v46, s0
	ds_load_b64 v[59:60], v57
	v_cmp_eq_u32_e64 s0, 8, v93
	v_add_nc_u32_e32 v57, 8, v57
	v_dual_cndmask_b32 v61, v61, v49 :: v_dual_cndmask_b32 v62, v62, v48
	v_cmp_eq_u32_e32 vcc_lo, 9, v93
	s_delay_alu instid0(VALU_DEP_2) | instskip(NEXT) | instid1(VALU_DEP_3)
	v_cndmask_b32_e64 v61, v61, v51, s0
	v_cndmask_b32_e64 v62, v62, v50, s0
	v_cmp_eq_u32_e64 s0, 10, v93
	s_delay_alu instid0(VALU_DEP_3) | instskip(NEXT) | instid1(VALU_DEP_3)
	v_cndmask_b32_e32 v61, v61, v53, vcc_lo
	v_cndmask_b32_e32 v63, v62, v52, vcc_lo
	v_cmp_eq_u32_e32 vcc_lo, 0, v56
	s_delay_alu instid0(VALU_DEP_3) | instskip(NEXT) | instid1(VALU_DEP_3)
	v_cndmask_b32_e64 v62, v61, v55, s0
	v_cndmask_b32_e64 v61, v63, v54, s0
	v_add_co_u32 v93, s0, v93, 1
	s_delay_alu instid0(VALU_DEP_1) | instskip(SKIP_1) | instid1(VALU_DEP_3)
	v_add_co_ci_u32_e64 v58, s0, 0, v58, s0
	s_waitcnt lgkmcnt(0)
	v_fma_f64 v[88:89], v[61:62], v[59:60], v[88:89]
	s_or_b32 s3, vcc_lo, s3
	s_delay_alu instid0(SALU_CYCLE_1)
	s_and_not1_b32 exec_lo, exec_lo, s3
	s_cbranch_execnz .LBB74_79
; %bb.80:
	s_or_b32 exec_lo, exec_lo, s3
.LBB74_81:
	s_delay_alu instid0(SALU_CYCLE_1)
	s_or_b32 exec_lo, exec_lo, s2
.LBB74_82:
	s_delay_alu instid0(SALU_CYCLE_1)
	s_or_b32 exec_lo, exec_lo, s5
	v_mov_b32_e32 v42, 0
	ds_load_b64 v[42:43], v42 offset:32
	s_waitcnt lgkmcnt(0)
	v_mul_f64 v[42:43], v[88:89], v[42:43]
.LBB74_83:
	s_or_b32 exec_lo, exec_lo, s4
	v_cmp_lt_u32_e64 s0, 3, v0
	ds_store_b64 v90, v[40:41]
	s_waitcnt lgkmcnt(0)
	s_barrier
	buffer_gl0_inv
	s_and_saveexec_b32 s4, s0
	s_cbranch_execz .LBB74_99
; %bb.84:
	s_and_not1_b32 vcc_lo, exec_lo, s11
	s_cbranch_vccnz .LBB74_86
; %bb.85:
	v_cmp_eq_u32_e32 vcc_lo, 1, v0
	v_dual_cndmask_b32 v88, v35, v37 :: v_dual_cndmask_b32 v89, v34, v36
	v_cmp_eq_u32_e32 vcc_lo, 2, v0
	s_delay_alu instid0(VALU_DEP_2) | instskip(SKIP_1) | instid1(VALU_DEP_2)
	v_dual_cndmask_b32 v88, v88, v39 :: v_dual_cndmask_b32 v89, v89, v38
	v_cmp_eq_u32_e32 vcc_lo, 3, v0
	v_dual_cndmask_b32 v88, v88, v41 :: v_dual_cndmask_b32 v89, v89, v40
	v_cmp_eq_u32_e32 vcc_lo, 4, v0
	s_delay_alu instid0(VALU_DEP_2) | instskip(SKIP_1) | instid1(VALU_DEP_2)
	v_dual_cndmask_b32 v88, v88, v43 :: v_dual_cndmask_b32 v89, v89, v42
	v_cmp_eq_u32_e32 vcc_lo, 5, v0
	v_dual_cndmask_b32 v88, v88, v45 :: v_dual_cndmask_b32 v89, v89, v44
	v_cmp_eq_u32_e32 vcc_lo, 6, v0
	s_delay_alu instid0(VALU_DEP_2) | instskip(SKIP_1) | instid1(VALU_DEP_2)
	v_dual_cndmask_b32 v88, v88, v47 :: v_dual_cndmask_b32 v89, v89, v46
	v_cmp_eq_u32_e32 vcc_lo, 7, v0
	v_dual_cndmask_b32 v91, v88, v49 :: v_dual_cndmask_b32 v92, v89, v48
	v_cmp_eq_u32_e32 vcc_lo, 8, v0
	ds_load_b64 v[88:89], v90
	v_dual_cndmask_b32 v91, v91, v51 :: v_dual_cndmask_b32 v92, v92, v50
	v_cmp_eq_u32_e32 vcc_lo, 9, v0
	s_delay_alu instid0(VALU_DEP_2) | instskip(NEXT) | instid1(VALU_DEP_3)
	v_cndmask_b32_e32 v91, v91, v53, vcc_lo
	v_cndmask_b32_e32 v93, v92, v52, vcc_lo
	v_cmp_eq_u32_e32 vcc_lo, 10, v0
	s_delay_alu instid0(VALU_DEP_2) | instskip(SKIP_1) | instid1(VALU_DEP_1)
	v_dual_cndmask_b32 v92, v91, v55 :: v_dual_cndmask_b32 v91, v93, v54
	s_waitcnt lgkmcnt(0)
	v_mul_f64 v[88:89], v[91:92], v[88:89]
	s_cbranch_execz .LBB74_87
	s_branch .LBB74_88
.LBB74_86:
                                        ; implicit-def: $vgpr88_vgpr89
.LBB74_87:
	ds_load_b64 v[88:89], v90
.LBB74_88:
	s_and_saveexec_b32 s5, s1
	s_cbranch_execz .LBB74_98
; %bb.89:
	v_dual_mov_b32 v93, 4 :: v_dual_add_nc_u32 v92, -5, v0
	v_add_nc_u32_e32 v91, -4, v0
	s_mov_b32 s1, exec_lo
	s_delay_alu instid0(VALU_DEP_2)
	v_cmpx_lt_u32_e32 6, v92
	s_cbranch_execz .LBB74_93
; %bb.90:
	s_delay_alu instid0(VALU_DEP_2) | instskip(SKIP_3) | instid1(VALU_DEP_1)
	v_and_b32_e32 v92, -8, v91
	s_mov_b32 s6, 0
	s_mov_b64 s[2:3], 5
	s_movk_i32 s7, 0x80
	v_sub_nc_u32_e32 v92, 0, v92
.LBB74_91:                              ; =>This Inner Loop Header: Depth=1
	v_mov_b32_e32 v103, s7
	s_lshl_b32 s8, s2, 1
	s_delay_alu instid0(SALU_CYCLE_1)
	s_add_i32 m0, s8, -1
	s_add_i32 s9, s8, 3
	ds_load_b128 v[93:96], v103
	ds_load_b128 v[97:100], v103 offset:16
	v_movrels_b32_e32 v102, v34
	s_add_i32 m0, s8, -2
	s_add_i32 s10, s8, 2
	v_movrels_b32_e32 v101, v34
	s_mov_b32 m0, s8
	s_waitcnt lgkmcnt(1)
	s_delay_alu instid0(VALU_DEP_1) | instskip(SKIP_4) | instid1(VALU_DEP_1)
	v_fma_f64 v[88:89], v[101:102], v[93:94], v[88:89]
	v_movrels_b32_e32 v94, v35
	v_movrels_b32_e32 v93, v34
	s_mov_b32 m0, s9
	s_add_i32 s9, s8, 5
	v_fma_f64 v[88:89], v[93:94], v[95:96], v[88:89]
	v_movrels_b32_e32 v94, v34
	s_mov_b32 m0, s10
	s_add_i32 s10, s8, 4
	v_movrels_b32_e32 v93, v34
	s_mov_b32 m0, s9
	s_add_i32 s9, s8, 7
	s_waitcnt lgkmcnt(0)
	s_delay_alu instid0(VALU_DEP_1)
	v_fma_f64 v[88:89], v[93:94], v[97:98], v[88:89]
	v_movrels_b32_e32 v94, v34
	s_mov_b32 m0, s10
	s_add_i32 s10, s8, 6
	v_movrels_b32_e32 v93, v34
	s_mov_b32 m0, s9
	s_add_i32 s9, s8, 9
	;; [unrolled: 3-line block ×4, first 2 shown]
	v_fma_f64 v[88:89], v[93:94], v[99:100], v[88:89]
	ds_load_b128 v[93:96], v103 offset:32
	ds_load_b128 v[97:100], v103 offset:48
	s_waitcnt lgkmcnt(1)
	v_fma_f64 v[88:89], v[101:102], v[93:94], v[88:89]
	v_movrels_b32_e32 v94, v34
	s_mov_b32 m0, s10
	s_add_i32 s10, s8, 10
	v_movrels_b32_e32 v93, v34
	s_mov_b32 m0, s9
	s_add_i32 s9, s8, 13
	s_add_i32 s8, s8, 12
	s_add_u32 s2, s2, 8
	s_addc_u32 s3, s3, 0
	s_add_i32 s7, s7, 64
	s_delay_alu instid0(VALU_DEP_3)
	v_fma_f64 v[88:89], v[93:94], v[95:96], v[88:89]
	v_movrels_b32_e32 v94, v34
	s_mov_b32 m0, s10
	v_movrels_b32_e32 v93, v34
	s_mov_b32 m0, s9
	s_waitcnt lgkmcnt(0)
	s_delay_alu instid0(VALU_DEP_1) | instskip(SKIP_4) | instid1(VALU_DEP_1)
	v_fma_f64 v[88:89], v[93:94], v[97:98], v[88:89]
	v_movrels_b32_e32 v94, v34
	s_mov_b32 m0, s8
	s_add_i32 s8, s2, -1
	v_movrels_b32_e32 v93, v34
	v_fma_f64 v[88:89], v[93:94], v[99:100], v[88:89]
	v_add_nc_u32_e32 v93, s2, v92
	s_delay_alu instid0(VALU_DEP_1) | instskip(SKIP_2) | instid1(SALU_CYCLE_1)
	v_cmp_eq_u32_e32 vcc_lo, 5, v93
	v_mov_b32_e32 v93, s8
	s_or_b32 s6, vcc_lo, s6
	s_and_not1_b32 exec_lo, exec_lo, s6
	s_cbranch_execnz .LBB74_91
; %bb.92:
	s_or_b32 exec_lo, exec_lo, s6
.LBB74_93:
	s_delay_alu instid0(SALU_CYCLE_1) | instskip(SKIP_3) | instid1(VALU_DEP_1)
	s_or_b32 exec_lo, exec_lo, s1
	v_and_b32_e32 v56, 7, v91
	s_mov_b32 s3, 0
	s_mov_b32 s2, exec_lo
	v_cmpx_ne_u32_e32 0, v56
	s_cbranch_execz .LBB74_97
; %bb.94:
	v_lshl_add_u32 v57, v93, 3, 0x60
	v_mov_b32_e32 v58, 0
.LBB74_95:                              ; =>This Inner Loop Header: Depth=1
	v_cmp_eq_u32_e32 vcc_lo, 1, v93
	v_cmp_eq_u32_e64 s1, 2, v93
	v_dual_cndmask_b32 v59, v35, v37 :: v_dual_add_nc_u32 v56, -1, v56
	v_cndmask_b32_e32 v60, v34, v36, vcc_lo
	v_cmp_eq_u32_e32 vcc_lo, 3, v93
	s_delay_alu instid0(VALU_DEP_3) | instskip(NEXT) | instid1(VALU_DEP_3)
	v_cndmask_b32_e64 v59, v59, v39, s1
	v_cndmask_b32_e64 v60, v60, v38, s1
	v_cmp_eq_u32_e64 s1, 4, v93
	s_delay_alu instid0(VALU_DEP_2) | instskip(SKIP_1) | instid1(VALU_DEP_2)
	v_dual_cndmask_b32 v59, v59, v41 :: v_dual_cndmask_b32 v60, v60, v40
	v_cmp_eq_u32_e32 vcc_lo, 5, v93
	v_cndmask_b32_e64 v59, v59, v43, s1
	s_delay_alu instid0(VALU_DEP_3) | instskip(SKIP_1) | instid1(VALU_DEP_2)
	v_cndmask_b32_e64 v60, v60, v42, s1
	v_cmp_eq_u32_e64 s1, 6, v93
	v_dual_cndmask_b32 v59, v59, v45 :: v_dual_cndmask_b32 v60, v60, v44
	v_cmp_eq_u32_e32 vcc_lo, 7, v93
	s_delay_alu instid0(VALU_DEP_2) | instskip(NEXT) | instid1(VALU_DEP_3)
	v_cndmask_b32_e64 v61, v59, v47, s1
	v_cndmask_b32_e64 v62, v60, v46, s1
	ds_load_b64 v[59:60], v57
	v_cmp_eq_u32_e64 s1, 8, v93
	v_add_nc_u32_e32 v57, 8, v57
	v_dual_cndmask_b32 v61, v61, v49 :: v_dual_cndmask_b32 v62, v62, v48
	v_cmp_eq_u32_e32 vcc_lo, 9, v93
	s_delay_alu instid0(VALU_DEP_2) | instskip(NEXT) | instid1(VALU_DEP_3)
	v_cndmask_b32_e64 v61, v61, v51, s1
	v_cndmask_b32_e64 v62, v62, v50, s1
	v_cmp_eq_u32_e64 s1, 10, v93
	s_delay_alu instid0(VALU_DEP_3) | instskip(NEXT) | instid1(VALU_DEP_3)
	v_cndmask_b32_e32 v61, v61, v53, vcc_lo
	v_cndmask_b32_e32 v63, v62, v52, vcc_lo
	v_cmp_eq_u32_e32 vcc_lo, 0, v56
	s_delay_alu instid0(VALU_DEP_3) | instskip(NEXT) | instid1(VALU_DEP_3)
	v_cndmask_b32_e64 v62, v61, v55, s1
	v_cndmask_b32_e64 v61, v63, v54, s1
	v_add_co_u32 v93, s1, v93, 1
	s_delay_alu instid0(VALU_DEP_1) | instskip(SKIP_1) | instid1(VALU_DEP_3)
	v_add_co_ci_u32_e64 v58, s1, 0, v58, s1
	s_waitcnt lgkmcnt(0)
	v_fma_f64 v[88:89], v[61:62], v[59:60], v[88:89]
	s_or_b32 s3, vcc_lo, s3
	s_delay_alu instid0(SALU_CYCLE_1)
	s_and_not1_b32 exec_lo, exec_lo, s3
	s_cbranch_execnz .LBB74_95
; %bb.96:
	s_or_b32 exec_lo, exec_lo, s3
.LBB74_97:
	s_delay_alu instid0(SALU_CYCLE_1)
	s_or_b32 exec_lo, exec_lo, s2
.LBB74_98:
	s_delay_alu instid0(SALU_CYCLE_1)
	s_or_b32 exec_lo, exec_lo, s5
	v_mov_b32_e32 v40, 0
	ds_load_b64 v[40:41], v40 offset:24
	s_waitcnt lgkmcnt(0)
	v_mul_f64 v[40:41], v[88:89], v[40:41]
.LBB74_99:
	s_or_b32 exec_lo, exec_lo, s4
	v_cmp_lt_u32_e64 s1, 2, v0
	ds_store_b64 v90, v[38:39]
	s_waitcnt lgkmcnt(0)
	s_barrier
	buffer_gl0_inv
	s_and_saveexec_b32 s4, s1
	s_cbranch_execz .LBB74_115
; %bb.100:
	s_and_not1_b32 vcc_lo, exec_lo, s11
	s_cbranch_vccnz .LBB74_102
; %bb.101:
	v_cmp_eq_u32_e32 vcc_lo, 1, v0
	v_dual_cndmask_b32 v88, v35, v37 :: v_dual_cndmask_b32 v89, v34, v36
	v_cmp_eq_u32_e32 vcc_lo, 2, v0
	s_delay_alu instid0(VALU_DEP_2) | instskip(SKIP_1) | instid1(VALU_DEP_2)
	v_dual_cndmask_b32 v88, v88, v39 :: v_dual_cndmask_b32 v89, v89, v38
	v_cmp_eq_u32_e32 vcc_lo, 3, v0
	v_dual_cndmask_b32 v88, v88, v41 :: v_dual_cndmask_b32 v89, v89, v40
	v_cmp_eq_u32_e32 vcc_lo, 4, v0
	s_delay_alu instid0(VALU_DEP_2) | instskip(SKIP_1) | instid1(VALU_DEP_2)
	v_dual_cndmask_b32 v88, v88, v43 :: v_dual_cndmask_b32 v89, v89, v42
	;; [unrolled: 5-line block ×3, first 2 shown]
	v_cmp_eq_u32_e32 vcc_lo, 7, v0
	v_dual_cndmask_b32 v91, v88, v49 :: v_dual_cndmask_b32 v92, v89, v48
	v_cmp_eq_u32_e32 vcc_lo, 8, v0
	ds_load_b64 v[88:89], v90
	v_dual_cndmask_b32 v91, v91, v51 :: v_dual_cndmask_b32 v92, v92, v50
	v_cmp_eq_u32_e32 vcc_lo, 9, v0
	s_delay_alu instid0(VALU_DEP_2) | instskip(NEXT) | instid1(VALU_DEP_3)
	v_cndmask_b32_e32 v91, v91, v53, vcc_lo
	v_cndmask_b32_e32 v93, v92, v52, vcc_lo
	v_cmp_eq_u32_e32 vcc_lo, 10, v0
	s_delay_alu instid0(VALU_DEP_2) | instskip(SKIP_1) | instid1(VALU_DEP_1)
	v_dual_cndmask_b32 v92, v91, v55 :: v_dual_cndmask_b32 v91, v93, v54
	s_waitcnt lgkmcnt(0)
	v_mul_f64 v[88:89], v[91:92], v[88:89]
	s_cbranch_execz .LBB74_103
	s_branch .LBB74_104
.LBB74_102:
                                        ; implicit-def: $vgpr88_vgpr89
.LBB74_103:
	ds_load_b64 v[88:89], v90
.LBB74_104:
	s_and_saveexec_b32 s5, s0
	s_cbranch_execz .LBB74_114
; %bb.105:
	v_dual_mov_b32 v93, 3 :: v_dual_add_nc_u32 v92, -4, v0
	v_add_nc_u32_e32 v91, -3, v0
	s_mov_b32 s0, exec_lo
	s_delay_alu instid0(VALU_DEP_2)
	v_cmpx_lt_u32_e32 6, v92
	s_cbranch_execz .LBB74_109
; %bb.106:
	s_delay_alu instid0(VALU_DEP_2) | instskip(SKIP_3) | instid1(VALU_DEP_1)
	v_and_b32_e32 v92, -8, v91
	s_mov_b32 s6, 0
	s_mov_b64 s[2:3], 10
	s_movk_i32 s7, 0x78
	v_sub_nc_u32_e32 v92, 0, v92
.LBB74_107:                             ; =>This Inner Loop Header: Depth=1
	v_mov_b32_e32 v103, s7
	s_lshl_b32 s8, s2, 1
	s_delay_alu instid0(SALU_CYCLE_1)
	s_add_i32 m0, s8, -13
	v_movrels_b32_e32 v102, v34
	ds_load_2addr_b64 v[93:96], v103 offset1:1
	ds_load_2addr_b64 v[97:100], v103 offset0:2 offset1:3
	s_add_i32 m0, s8, -14
	v_movrels_b32_e32 v101, v34
	s_add_i32 m0, s8, -11
	s_waitcnt lgkmcnt(1)
	s_delay_alu instid0(VALU_DEP_1) | instskip(SKIP_4) | instid1(VALU_DEP_1)
	v_fma_f64 v[88:89], v[101:102], v[93:94], v[88:89]
	v_movrels_b32_e32 v94, v34
	s_add_i32 m0, s8, -12
	v_movrels_b32_e32 v93, v34
	s_add_i32 m0, s8, -9
	v_fma_f64 v[88:89], v[93:94], v[95:96], v[88:89]
	v_movrels_b32_e32 v94, v34
	s_add_i32 m0, s8, -10
	v_movrels_b32_e32 v93, v34
	s_add_i32 m0, s8, -7
	s_waitcnt lgkmcnt(0)
	s_delay_alu instid0(VALU_DEP_1)
	v_fma_f64 v[88:89], v[93:94], v[97:98], v[88:89]
	v_movrels_b32_e32 v94, v34
	s_add_i32 m0, s8, -8
	v_movrels_b32_e32 v93, v34
	s_add_i32 m0, s8, -5
	;; [unrolled: 2-line block ×4, first 2 shown]
	v_fma_f64 v[88:89], v[93:94], v[99:100], v[88:89]
	ds_load_2addr_b64 v[93:96], v103 offset0:4 offset1:5
	ds_load_2addr_b64 v[97:100], v103 offset0:6 offset1:7
	s_waitcnt lgkmcnt(1)
	v_fma_f64 v[88:89], v[101:102], v[93:94], v[88:89]
	v_movrels_b32_e32 v94, v34
	s_add_i32 m0, s8, -4
	v_movrels_b32_e32 v93, v34
	s_add_i32 m0, s8, -1
	s_delay_alu instid0(VALU_DEP_1)
	v_fma_f64 v[88:89], v[93:94], v[95:96], v[88:89]
	v_movrels_b32_e32 v94, v34
	s_add_i32 m0, s8, -2
	s_add_u32 s2, s2, 8
	v_movrels_b32_e32 v93, v34
	s_mov_b32 m0, s8
	s_addc_u32 s3, s3, 0
	s_add_i32 s8, s2, -7
	s_add_i32 s7, s7, 64
	s_waitcnt lgkmcnt(0)
	s_delay_alu instid0(VALU_DEP_3) | instskip(SKIP_2) | instid1(VALU_DEP_1)
	v_fma_f64 v[88:89], v[93:94], v[97:98], v[88:89]
	v_movrels_b32_e32 v94, v35
	v_movrels_b32_e32 v93, v34
	v_fma_f64 v[88:89], v[93:94], v[99:100], v[88:89]
	v_add_nc_u32_e32 v93, s2, v92
	s_delay_alu instid0(VALU_DEP_1) | instskip(SKIP_2) | instid1(SALU_CYCLE_1)
	v_cmp_eq_u32_e32 vcc_lo, 10, v93
	v_mov_b32_e32 v93, s8
	s_or_b32 s6, vcc_lo, s6
	s_and_not1_b32 exec_lo, exec_lo, s6
	s_cbranch_execnz .LBB74_107
; %bb.108:
	s_or_b32 exec_lo, exec_lo, s6
.LBB74_109:
	s_delay_alu instid0(SALU_CYCLE_1) | instskip(SKIP_3) | instid1(VALU_DEP_1)
	s_or_b32 exec_lo, exec_lo, s0
	v_and_b32_e32 v56, 7, v91
	s_mov_b32 s3, 0
	s_mov_b32 s2, exec_lo
	v_cmpx_ne_u32_e32 0, v56
	s_cbranch_execz .LBB74_113
; %bb.110:
	v_lshl_add_u32 v57, v93, 3, 0x60
	v_mov_b32_e32 v58, 0
.LBB74_111:                             ; =>This Inner Loop Header: Depth=1
	v_cmp_eq_u32_e32 vcc_lo, 1, v93
	v_cmp_eq_u32_e64 s0, 2, v93
	v_dual_cndmask_b32 v59, v35, v37 :: v_dual_add_nc_u32 v56, -1, v56
	v_cndmask_b32_e32 v60, v34, v36, vcc_lo
	v_cmp_eq_u32_e32 vcc_lo, 3, v93
	s_delay_alu instid0(VALU_DEP_3) | instskip(NEXT) | instid1(VALU_DEP_3)
	v_cndmask_b32_e64 v59, v59, v39, s0
	v_cndmask_b32_e64 v60, v60, v38, s0
	v_cmp_eq_u32_e64 s0, 4, v93
	s_delay_alu instid0(VALU_DEP_2) | instskip(SKIP_1) | instid1(VALU_DEP_2)
	v_dual_cndmask_b32 v59, v59, v41 :: v_dual_cndmask_b32 v60, v60, v40
	v_cmp_eq_u32_e32 vcc_lo, 5, v93
	v_cndmask_b32_e64 v59, v59, v43, s0
	s_delay_alu instid0(VALU_DEP_3) | instskip(SKIP_1) | instid1(VALU_DEP_2)
	v_cndmask_b32_e64 v60, v60, v42, s0
	v_cmp_eq_u32_e64 s0, 6, v93
	v_dual_cndmask_b32 v59, v59, v45 :: v_dual_cndmask_b32 v60, v60, v44
	v_cmp_eq_u32_e32 vcc_lo, 7, v93
	s_delay_alu instid0(VALU_DEP_2) | instskip(NEXT) | instid1(VALU_DEP_3)
	v_cndmask_b32_e64 v61, v59, v47, s0
	v_cndmask_b32_e64 v62, v60, v46, s0
	ds_load_b64 v[59:60], v57
	v_cmp_eq_u32_e64 s0, 8, v93
	v_add_nc_u32_e32 v57, 8, v57
	v_dual_cndmask_b32 v61, v61, v49 :: v_dual_cndmask_b32 v62, v62, v48
	v_cmp_eq_u32_e32 vcc_lo, 9, v93
	s_delay_alu instid0(VALU_DEP_2) | instskip(NEXT) | instid1(VALU_DEP_3)
	v_cndmask_b32_e64 v61, v61, v51, s0
	v_cndmask_b32_e64 v62, v62, v50, s0
	v_cmp_eq_u32_e64 s0, 10, v93
	s_delay_alu instid0(VALU_DEP_3) | instskip(NEXT) | instid1(VALU_DEP_3)
	v_cndmask_b32_e32 v61, v61, v53, vcc_lo
	v_cndmask_b32_e32 v63, v62, v52, vcc_lo
	v_cmp_eq_u32_e32 vcc_lo, 0, v56
	s_delay_alu instid0(VALU_DEP_3) | instskip(NEXT) | instid1(VALU_DEP_3)
	v_cndmask_b32_e64 v62, v61, v55, s0
	v_cndmask_b32_e64 v61, v63, v54, s0
	v_add_co_u32 v93, s0, v93, 1
	s_delay_alu instid0(VALU_DEP_1) | instskip(SKIP_1) | instid1(VALU_DEP_3)
	v_add_co_ci_u32_e64 v58, s0, 0, v58, s0
	s_waitcnt lgkmcnt(0)
	v_fma_f64 v[88:89], v[61:62], v[59:60], v[88:89]
	s_or_b32 s3, vcc_lo, s3
	s_delay_alu instid0(SALU_CYCLE_1)
	s_and_not1_b32 exec_lo, exec_lo, s3
	s_cbranch_execnz .LBB74_111
; %bb.112:
	s_or_b32 exec_lo, exec_lo, s3
.LBB74_113:
	s_delay_alu instid0(SALU_CYCLE_1)
	s_or_b32 exec_lo, exec_lo, s2
.LBB74_114:
	s_delay_alu instid0(SALU_CYCLE_1)
	s_or_b32 exec_lo, exec_lo, s5
	v_mov_b32_e32 v38, 0
	ds_load_b64 v[38:39], v38 offset:16
	s_waitcnt lgkmcnt(0)
	v_mul_f64 v[38:39], v[88:89], v[38:39]
.LBB74_115:
	s_or_b32 exec_lo, exec_lo, s4
	v_cmp_lt_u32_e64 s0, 1, v0
	ds_store_b64 v90, v[36:37]
	s_waitcnt lgkmcnt(0)
	s_barrier
	buffer_gl0_inv
	s_and_saveexec_b32 s4, s0
	s_cbranch_execz .LBB74_131
; %bb.116:
	s_and_not1_b32 vcc_lo, exec_lo, s11
	s_cbranch_vccnz .LBB74_118
; %bb.117:
	v_cmp_eq_u32_e32 vcc_lo, 1, v0
	v_dual_cndmask_b32 v88, v35, v37 :: v_dual_cndmask_b32 v89, v34, v36
	v_cmp_eq_u32_e32 vcc_lo, 2, v0
	s_delay_alu instid0(VALU_DEP_2) | instskip(SKIP_1) | instid1(VALU_DEP_2)
	v_dual_cndmask_b32 v88, v88, v39 :: v_dual_cndmask_b32 v89, v89, v38
	v_cmp_eq_u32_e32 vcc_lo, 3, v0
	v_dual_cndmask_b32 v88, v88, v41 :: v_dual_cndmask_b32 v89, v89, v40
	v_cmp_eq_u32_e32 vcc_lo, 4, v0
	s_delay_alu instid0(VALU_DEP_2) | instskip(SKIP_1) | instid1(VALU_DEP_2)
	v_dual_cndmask_b32 v88, v88, v43 :: v_dual_cndmask_b32 v89, v89, v42
	;; [unrolled: 5-line block ×3, first 2 shown]
	v_cmp_eq_u32_e32 vcc_lo, 7, v0
	v_dual_cndmask_b32 v91, v88, v49 :: v_dual_cndmask_b32 v92, v89, v48
	v_cmp_eq_u32_e32 vcc_lo, 8, v0
	ds_load_b64 v[88:89], v90
	v_dual_cndmask_b32 v91, v91, v51 :: v_dual_cndmask_b32 v92, v92, v50
	v_cmp_eq_u32_e32 vcc_lo, 9, v0
	s_delay_alu instid0(VALU_DEP_2) | instskip(NEXT) | instid1(VALU_DEP_3)
	v_cndmask_b32_e32 v91, v91, v53, vcc_lo
	v_cndmask_b32_e32 v93, v92, v52, vcc_lo
	v_cmp_eq_u32_e32 vcc_lo, 10, v0
	s_delay_alu instid0(VALU_DEP_2) | instskip(SKIP_1) | instid1(VALU_DEP_1)
	v_dual_cndmask_b32 v92, v91, v55 :: v_dual_cndmask_b32 v91, v93, v54
	s_waitcnt lgkmcnt(0)
	v_mul_f64 v[88:89], v[91:92], v[88:89]
	s_cbranch_execz .LBB74_119
	s_branch .LBB74_120
.LBB74_118:
                                        ; implicit-def: $vgpr88_vgpr89
.LBB74_119:
	ds_load_b64 v[88:89], v90
.LBB74_120:
	s_and_saveexec_b32 s5, s1
	s_cbranch_execz .LBB74_130
; %bb.121:
	v_dual_mov_b32 v93, 2 :: v_dual_add_nc_u32 v92, -3, v0
	v_add_nc_u32_e32 v91, -2, v0
	s_mov_b32 s1, exec_lo
	s_delay_alu instid0(VALU_DEP_2)
	v_cmpx_lt_u32_e32 6, v92
	s_cbranch_execz .LBB74_125
; %bb.122:
	s_delay_alu instid0(VALU_DEP_2) | instskip(SKIP_3) | instid1(VALU_DEP_1)
	v_and_b32_e32 v92, -8, v91
	s_mov_b32 s6, 0
	s_mov_b64 s[2:3], 9
	s_movk_i32 s7, 0x70
	v_sub_nc_u32_e32 v92, 0, v92
.LBB74_123:                             ; =>This Inner Loop Header: Depth=1
	v_mov_b32_e32 v103, s7
	s_lshl_b32 s8, s2, 1
	s_delay_alu instid0(SALU_CYCLE_1)
	s_add_i32 m0, s8, -13
	v_movrels_b32_e32 v102, v34
	ds_load_b128 v[93:96], v103
	ds_load_b128 v[97:100], v103 offset:16
	s_add_i32 m0, s8, -14
	v_movrels_b32_e32 v101, v34
	s_add_i32 m0, s8, -11
	s_waitcnt lgkmcnt(1)
	s_delay_alu instid0(VALU_DEP_1) | instskip(SKIP_4) | instid1(VALU_DEP_1)
	v_fma_f64 v[88:89], v[101:102], v[93:94], v[88:89]
	v_movrels_b32_e32 v94, v34
	s_add_i32 m0, s8, -12
	v_movrels_b32_e32 v93, v34
	s_add_i32 m0, s8, -9
	v_fma_f64 v[88:89], v[93:94], v[95:96], v[88:89]
	v_movrels_b32_e32 v94, v34
	s_add_i32 m0, s8, -10
	v_movrels_b32_e32 v93, v34
	s_add_i32 m0, s8, -7
	s_waitcnt lgkmcnt(0)
	s_delay_alu instid0(VALU_DEP_1)
	v_fma_f64 v[88:89], v[93:94], v[97:98], v[88:89]
	v_movrels_b32_e32 v94, v34
	s_add_i32 m0, s8, -8
	v_movrels_b32_e32 v93, v34
	s_add_i32 m0, s8, -5
	;; [unrolled: 2-line block ×4, first 2 shown]
	v_fma_f64 v[88:89], v[93:94], v[99:100], v[88:89]
	ds_load_b128 v[93:96], v103 offset:32
	ds_load_b128 v[97:100], v103 offset:48
	s_waitcnt lgkmcnt(1)
	v_fma_f64 v[88:89], v[101:102], v[93:94], v[88:89]
	v_movrels_b32_e32 v94, v34
	s_add_i32 m0, s8, -4
	v_movrels_b32_e32 v93, v34
	s_add_i32 m0, s8, -1
	s_delay_alu instid0(VALU_DEP_1)
	v_fma_f64 v[88:89], v[93:94], v[95:96], v[88:89]
	v_movrels_b32_e32 v94, v34
	s_add_i32 m0, s8, -2
	s_add_u32 s2, s2, 8
	v_movrels_b32_e32 v93, v34
	s_mov_b32 m0, s8
	s_addc_u32 s3, s3, 0
	s_add_i32 s8, s2, -7
	s_add_i32 s7, s7, 64
	s_waitcnt lgkmcnt(0)
	s_delay_alu instid0(VALU_DEP_3) | instskip(SKIP_2) | instid1(VALU_DEP_1)
	v_fma_f64 v[88:89], v[93:94], v[97:98], v[88:89]
	v_movrels_b32_e32 v94, v35
	v_movrels_b32_e32 v93, v34
	v_fma_f64 v[88:89], v[93:94], v[99:100], v[88:89]
	v_add_nc_u32_e32 v93, s2, v92
	s_delay_alu instid0(VALU_DEP_1) | instskip(SKIP_2) | instid1(SALU_CYCLE_1)
	v_cmp_eq_u32_e32 vcc_lo, 9, v93
	v_mov_b32_e32 v93, s8
	s_or_b32 s6, vcc_lo, s6
	s_and_not1_b32 exec_lo, exec_lo, s6
	s_cbranch_execnz .LBB74_123
; %bb.124:
	s_or_b32 exec_lo, exec_lo, s6
.LBB74_125:
	s_delay_alu instid0(SALU_CYCLE_1) | instskip(SKIP_3) | instid1(VALU_DEP_1)
	s_or_b32 exec_lo, exec_lo, s1
	v_and_b32_e32 v56, 7, v91
	s_mov_b32 s3, 0
	s_mov_b32 s2, exec_lo
	v_cmpx_ne_u32_e32 0, v56
	s_cbranch_execz .LBB74_129
; %bb.126:
	v_lshl_add_u32 v57, v93, 3, 0x60
	v_mov_b32_e32 v58, 0
.LBB74_127:                             ; =>This Inner Loop Header: Depth=1
	v_cmp_eq_u32_e32 vcc_lo, 1, v93
	v_cmp_eq_u32_e64 s1, 2, v93
	v_dual_cndmask_b32 v59, v35, v37 :: v_dual_add_nc_u32 v56, -1, v56
	v_cndmask_b32_e32 v60, v34, v36, vcc_lo
	v_cmp_eq_u32_e32 vcc_lo, 3, v93
	s_delay_alu instid0(VALU_DEP_3) | instskip(NEXT) | instid1(VALU_DEP_3)
	v_cndmask_b32_e64 v59, v59, v39, s1
	v_cndmask_b32_e64 v60, v60, v38, s1
	v_cmp_eq_u32_e64 s1, 4, v93
	s_delay_alu instid0(VALU_DEP_2) | instskip(SKIP_1) | instid1(VALU_DEP_2)
	v_dual_cndmask_b32 v59, v59, v41 :: v_dual_cndmask_b32 v60, v60, v40
	v_cmp_eq_u32_e32 vcc_lo, 5, v93
	v_cndmask_b32_e64 v59, v59, v43, s1
	s_delay_alu instid0(VALU_DEP_3) | instskip(SKIP_1) | instid1(VALU_DEP_2)
	v_cndmask_b32_e64 v60, v60, v42, s1
	v_cmp_eq_u32_e64 s1, 6, v93
	v_dual_cndmask_b32 v59, v59, v45 :: v_dual_cndmask_b32 v60, v60, v44
	v_cmp_eq_u32_e32 vcc_lo, 7, v93
	s_delay_alu instid0(VALU_DEP_2) | instskip(NEXT) | instid1(VALU_DEP_3)
	v_cndmask_b32_e64 v61, v59, v47, s1
	v_cndmask_b32_e64 v62, v60, v46, s1
	ds_load_b64 v[59:60], v57
	v_cmp_eq_u32_e64 s1, 8, v93
	v_add_nc_u32_e32 v57, 8, v57
	v_dual_cndmask_b32 v61, v61, v49 :: v_dual_cndmask_b32 v62, v62, v48
	v_cmp_eq_u32_e32 vcc_lo, 9, v93
	s_delay_alu instid0(VALU_DEP_2) | instskip(NEXT) | instid1(VALU_DEP_3)
	v_cndmask_b32_e64 v61, v61, v51, s1
	v_cndmask_b32_e64 v62, v62, v50, s1
	v_cmp_eq_u32_e64 s1, 10, v93
	s_delay_alu instid0(VALU_DEP_3) | instskip(NEXT) | instid1(VALU_DEP_3)
	v_cndmask_b32_e32 v61, v61, v53, vcc_lo
	v_cndmask_b32_e32 v63, v62, v52, vcc_lo
	v_cmp_eq_u32_e32 vcc_lo, 0, v56
	s_delay_alu instid0(VALU_DEP_3) | instskip(NEXT) | instid1(VALU_DEP_3)
	v_cndmask_b32_e64 v62, v61, v55, s1
	v_cndmask_b32_e64 v61, v63, v54, s1
	v_add_co_u32 v93, s1, v93, 1
	s_delay_alu instid0(VALU_DEP_1) | instskip(SKIP_1) | instid1(VALU_DEP_3)
	v_add_co_ci_u32_e64 v58, s1, 0, v58, s1
	s_waitcnt lgkmcnt(0)
	v_fma_f64 v[88:89], v[61:62], v[59:60], v[88:89]
	s_or_b32 s3, vcc_lo, s3
	s_delay_alu instid0(SALU_CYCLE_1)
	s_and_not1_b32 exec_lo, exec_lo, s3
	s_cbranch_execnz .LBB74_127
; %bb.128:
	s_or_b32 exec_lo, exec_lo, s3
.LBB74_129:
	s_delay_alu instid0(SALU_CYCLE_1)
	s_or_b32 exec_lo, exec_lo, s2
.LBB74_130:
	s_delay_alu instid0(SALU_CYCLE_1)
	s_or_b32 exec_lo, exec_lo, s5
	v_mov_b32_e32 v36, 0
	ds_load_b64 v[36:37], v36 offset:8
	s_waitcnt lgkmcnt(0)
	v_mul_f64 v[36:37], v[88:89], v[36:37]
.LBB74_131:
	s_or_b32 exec_lo, exec_lo, s4
	s_mov_b32 s2, 0
	s_mov_b32 s3, exec_lo
	ds_store_b64 v90, v[34:35]
	s_waitcnt lgkmcnt(0)
	s_barrier
	buffer_gl0_inv
	v_cmpx_ne_u32_e32 0, v0
	s_cbranch_execz .LBB74_147
; %bb.132:
	s_and_not1_b32 vcc_lo, exec_lo, s11
	s_cbranch_vccnz .LBB74_134
; %bb.133:
	v_cmp_eq_u32_e32 vcc_lo, 1, v0
	v_dual_cndmask_b32 v88, v35, v37 :: v_dual_cndmask_b32 v89, v34, v36
	v_cmp_eq_u32_e32 vcc_lo, 2, v0
	s_delay_alu instid0(VALU_DEP_2) | instskip(SKIP_1) | instid1(VALU_DEP_2)
	v_dual_cndmask_b32 v88, v88, v39 :: v_dual_cndmask_b32 v89, v89, v38
	v_cmp_eq_u32_e32 vcc_lo, 3, v0
	v_dual_cndmask_b32 v88, v88, v41 :: v_dual_cndmask_b32 v89, v89, v40
	v_cmp_eq_u32_e32 vcc_lo, 4, v0
	s_delay_alu instid0(VALU_DEP_2) | instskip(SKIP_1) | instid1(VALU_DEP_2)
	v_dual_cndmask_b32 v88, v88, v43 :: v_dual_cndmask_b32 v89, v89, v42
	;; [unrolled: 5-line block ×3, first 2 shown]
	v_cmp_eq_u32_e32 vcc_lo, 7, v0
	v_dual_cndmask_b32 v91, v88, v49 :: v_dual_cndmask_b32 v92, v89, v48
	v_cmp_eq_u32_e32 vcc_lo, 8, v0
	ds_load_b64 v[88:89], v90
	v_dual_cndmask_b32 v91, v91, v51 :: v_dual_cndmask_b32 v92, v92, v50
	v_cmp_eq_u32_e32 vcc_lo, 9, v0
	s_delay_alu instid0(VALU_DEP_2) | instskip(NEXT) | instid1(VALU_DEP_3)
	v_cndmask_b32_e32 v91, v91, v53, vcc_lo
	v_cndmask_b32_e32 v93, v92, v52, vcc_lo
	v_cmp_eq_u32_e32 vcc_lo, 10, v0
	s_delay_alu instid0(VALU_DEP_2) | instskip(SKIP_1) | instid1(VALU_DEP_1)
	v_dual_cndmask_b32 v92, v91, v55 :: v_dual_cndmask_b32 v91, v93, v54
	s_waitcnt lgkmcnt(0)
	v_mul_f64 v[88:89], v[91:92], v[88:89]
	s_cbranch_execz .LBB74_135
	s_branch .LBB74_136
.LBB74_134:
                                        ; implicit-def: $vgpr88_vgpr89
.LBB74_135:
	ds_load_b64 v[88:89], v90
.LBB74_136:
	s_and_saveexec_b32 s4, s0
	s_cbranch_execz .LBB74_146
; %bb.137:
	v_dual_mov_b32 v93, 1 :: v_dual_add_nc_u32 v92, -2, v0
	v_add_nc_u32_e32 v91, -1, v0
	s_mov_b32 s5, exec_lo
	s_delay_alu instid0(VALU_DEP_2)
	v_cmpx_lt_u32_e32 6, v92
	s_cbranch_execz .LBB74_141
; %bb.138:
	s_delay_alu instid0(VALU_DEP_2) | instskip(SKIP_3) | instid1(VALU_DEP_1)
	v_and_b32_e32 v92, -8, v91
	s_mov_b32 s6, 0
	s_mov_b64 s[0:1], 8
	s_movk_i32 s7, 0x68
	v_sub_nc_u32_e32 v92, 0, v92
.LBB74_139:                             ; =>This Inner Loop Header: Depth=1
	v_mov_b32_e32 v103, s7
	s_lshl_b32 s8, s0, 1
	s_delay_alu instid0(SALU_CYCLE_1)
	s_add_i32 m0, s8, -13
	v_movrels_b32_e32 v102, v34
	ds_load_2addr_b64 v[93:96], v103 offset1:1
	ds_load_2addr_b64 v[97:100], v103 offset0:2 offset1:3
	s_add_i32 m0, s8, -14
	v_movrels_b32_e32 v101, v34
	s_add_i32 m0, s8, -11
	s_waitcnt lgkmcnt(1)
	s_delay_alu instid0(VALU_DEP_1) | instskip(SKIP_4) | instid1(VALU_DEP_1)
	v_fma_f64 v[88:89], v[101:102], v[93:94], v[88:89]
	v_movrels_b32_e32 v94, v34
	s_add_i32 m0, s8, -12
	v_movrels_b32_e32 v93, v34
	s_add_i32 m0, s8, -9
	v_fma_f64 v[88:89], v[93:94], v[95:96], v[88:89]
	v_movrels_b32_e32 v94, v34
	s_add_i32 m0, s8, -10
	v_movrels_b32_e32 v93, v34
	s_add_i32 m0, s8, -7
	s_waitcnt lgkmcnt(0)
	s_delay_alu instid0(VALU_DEP_1)
	v_fma_f64 v[88:89], v[93:94], v[97:98], v[88:89]
	v_movrels_b32_e32 v94, v34
	s_add_i32 m0, s8, -8
	v_movrels_b32_e32 v93, v34
	s_add_i32 m0, s8, -5
	;; [unrolled: 2-line block ×4, first 2 shown]
	v_fma_f64 v[88:89], v[93:94], v[99:100], v[88:89]
	ds_load_2addr_b64 v[93:96], v103 offset0:4 offset1:5
	ds_load_2addr_b64 v[97:100], v103 offset0:6 offset1:7
	s_waitcnt lgkmcnt(1)
	v_fma_f64 v[88:89], v[101:102], v[93:94], v[88:89]
	v_movrels_b32_e32 v94, v34
	s_add_i32 m0, s8, -4
	v_movrels_b32_e32 v93, v34
	s_add_i32 m0, s8, -1
	s_delay_alu instid0(VALU_DEP_1)
	v_fma_f64 v[88:89], v[93:94], v[95:96], v[88:89]
	v_movrels_b32_e32 v94, v34
	s_add_i32 m0, s8, -2
	s_add_u32 s0, s0, 8
	v_movrels_b32_e32 v93, v34
	s_mov_b32 m0, s8
	s_addc_u32 s1, s1, 0
	s_add_i32 s8, s0, -7
	s_add_i32 s7, s7, 64
	s_waitcnt lgkmcnt(0)
	s_delay_alu instid0(VALU_DEP_3) | instskip(SKIP_2) | instid1(VALU_DEP_1)
	v_fma_f64 v[88:89], v[93:94], v[97:98], v[88:89]
	v_movrels_b32_e32 v94, v35
	v_movrels_b32_e32 v93, v34
	v_fma_f64 v[88:89], v[93:94], v[99:100], v[88:89]
	v_add_nc_u32_e32 v93, s0, v92
	s_delay_alu instid0(VALU_DEP_1) | instskip(SKIP_2) | instid1(SALU_CYCLE_1)
	v_cmp_eq_u32_e32 vcc_lo, 8, v93
	v_mov_b32_e32 v93, s8
	s_or_b32 s6, vcc_lo, s6
	s_and_not1_b32 exec_lo, exec_lo, s6
	s_cbranch_execnz .LBB74_139
; %bb.140:
	s_or_b32 exec_lo, exec_lo, s6
.LBB74_141:
	s_delay_alu instid0(SALU_CYCLE_1) | instskip(SKIP_3) | instid1(VALU_DEP_1)
	s_or_b32 exec_lo, exec_lo, s5
	v_and_b32_e32 v56, 7, v91
	s_mov_b32 s5, 0
	s_mov_b32 s1, exec_lo
	v_cmpx_ne_u32_e32 0, v56
	s_cbranch_execz .LBB74_145
; %bb.142:
	v_lshl_add_u32 v57, v93, 3, 0x60
	v_mov_b32_e32 v58, 0
.LBB74_143:                             ; =>This Inner Loop Header: Depth=1
	v_cmp_eq_u32_e32 vcc_lo, 1, v93
	v_cmp_eq_u32_e64 s0, 2, v93
	v_dual_cndmask_b32 v59, v35, v37 :: v_dual_add_nc_u32 v56, -1, v56
	v_cndmask_b32_e32 v60, v34, v36, vcc_lo
	v_cmp_eq_u32_e32 vcc_lo, 3, v93
	s_delay_alu instid0(VALU_DEP_3) | instskip(NEXT) | instid1(VALU_DEP_3)
	v_cndmask_b32_e64 v59, v59, v39, s0
	v_cndmask_b32_e64 v60, v60, v38, s0
	v_cmp_eq_u32_e64 s0, 4, v93
	s_delay_alu instid0(VALU_DEP_2) | instskip(SKIP_1) | instid1(VALU_DEP_2)
	v_dual_cndmask_b32 v59, v59, v41 :: v_dual_cndmask_b32 v60, v60, v40
	v_cmp_eq_u32_e32 vcc_lo, 5, v93
	v_cndmask_b32_e64 v59, v59, v43, s0
	s_delay_alu instid0(VALU_DEP_3) | instskip(SKIP_1) | instid1(VALU_DEP_2)
	v_cndmask_b32_e64 v60, v60, v42, s0
	v_cmp_eq_u32_e64 s0, 6, v93
	v_dual_cndmask_b32 v59, v59, v45 :: v_dual_cndmask_b32 v60, v60, v44
	v_cmp_eq_u32_e32 vcc_lo, 7, v93
	s_delay_alu instid0(VALU_DEP_2) | instskip(NEXT) | instid1(VALU_DEP_3)
	v_cndmask_b32_e64 v61, v59, v47, s0
	v_cndmask_b32_e64 v62, v60, v46, s0
	ds_load_b64 v[59:60], v57
	v_cmp_eq_u32_e64 s0, 8, v93
	v_add_nc_u32_e32 v57, 8, v57
	v_dual_cndmask_b32 v61, v61, v49 :: v_dual_cndmask_b32 v62, v62, v48
	v_cmp_eq_u32_e32 vcc_lo, 9, v93
	s_delay_alu instid0(VALU_DEP_2) | instskip(NEXT) | instid1(VALU_DEP_3)
	v_cndmask_b32_e64 v61, v61, v51, s0
	v_cndmask_b32_e64 v62, v62, v50, s0
	v_cmp_eq_u32_e64 s0, 10, v93
	s_delay_alu instid0(VALU_DEP_3) | instskip(NEXT) | instid1(VALU_DEP_3)
	v_cndmask_b32_e32 v61, v61, v53, vcc_lo
	v_cndmask_b32_e32 v63, v62, v52, vcc_lo
	v_cmp_eq_u32_e32 vcc_lo, 0, v56
	s_delay_alu instid0(VALU_DEP_3) | instskip(NEXT) | instid1(VALU_DEP_3)
	v_cndmask_b32_e64 v62, v61, v55, s0
	v_cndmask_b32_e64 v61, v63, v54, s0
	v_add_co_u32 v93, s0, v93, 1
	s_delay_alu instid0(VALU_DEP_1) | instskip(SKIP_1) | instid1(VALU_DEP_3)
	v_add_co_ci_u32_e64 v58, s0, 0, v58, s0
	s_waitcnt lgkmcnt(0)
	v_fma_f64 v[88:89], v[61:62], v[59:60], v[88:89]
	s_or_b32 s5, vcc_lo, s5
	s_delay_alu instid0(SALU_CYCLE_1)
	s_and_not1_b32 exec_lo, exec_lo, s5
	s_cbranch_execnz .LBB74_143
; %bb.144:
	s_or_b32 exec_lo, exec_lo, s5
.LBB74_145:
	s_delay_alu instid0(SALU_CYCLE_1)
	s_or_b32 exec_lo, exec_lo, s1
.LBB74_146:
	s_delay_alu instid0(SALU_CYCLE_1)
	s_or_b32 exec_lo, exec_lo, s4
	v_mov_b32_e32 v34, 0
	ds_load_b64 v[34:35], v34
	s_waitcnt lgkmcnt(0)
	v_mul_f64 v[34:35], v[88:89], v[34:35]
.LBB74_147:
	s_or_b32 exec_lo, exec_lo, s3
	s_delay_alu instid0(SALU_CYCLE_1)
	s_and_b32 vcc_lo, exec_lo, s2
	s_cbranch_vccz .LBB74_255
.LBB74_148:
	v_cmp_eq_u32_e64 s0, 0, v0
	s_waitcnt vmcnt(10)
	ds_store_b64 v90, v[4:5]
	s_waitcnt vmcnt(0) lgkmcnt(0)
	s_barrier
	buffer_gl0_inv
	s_and_saveexec_b32 s1, s0
	s_cbranch_execz .LBB74_154
; %bb.149:
	s_and_b32 vcc_lo, exec_lo, s11
	s_cbranch_vccz .LBB74_151
; %bb.150:
	v_cmp_eq_u32_e32 vcc_lo, 1, v0
	v_dual_cndmask_b32 v5, v3, v5 :: v_dual_cndmask_b32 v4, v2, v4
	v_cmp_eq_u32_e32 vcc_lo, 2, v0
	s_delay_alu instid0(VALU_DEP_2) | instskip(SKIP_1) | instid1(VALU_DEP_2)
	v_dual_cndmask_b32 v5, v5, v7 :: v_dual_cndmask_b32 v4, v4, v6
	v_cmp_eq_u32_e32 vcc_lo, 3, v0
	v_dual_cndmask_b32 v5, v5, v9 :: v_dual_cndmask_b32 v4, v4, v8
	v_cmp_eq_u32_e32 vcc_lo, 4, v0
	s_delay_alu instid0(VALU_DEP_2) | instskip(SKIP_1) | instid1(VALU_DEP_2)
	v_dual_cndmask_b32 v5, v5, v11 :: v_dual_cndmask_b32 v4, v4, v10
	;; [unrolled: 5-line block ×3, first 2 shown]
	v_cmp_eq_u32_e32 vcc_lo, 7, v0
	v_dual_cndmask_b32 v24, v5, v17 :: v_dual_cndmask_b32 v25, v4, v16
	v_cmp_eq_u32_e32 vcc_lo, 8, v0
	ds_load_b64 v[4:5], v90
	v_dual_cndmask_b32 v24, v24, v19 :: v_dual_cndmask_b32 v25, v25, v18
	v_cmp_eq_u32_e32 vcc_lo, 9, v0
	s_delay_alu instid0(VALU_DEP_2) | instskip(NEXT) | instid1(VALU_DEP_3)
	v_cndmask_b32_e32 v24, v24, v21, vcc_lo
	v_cndmask_b32_e32 v26, v25, v20, vcc_lo
	v_cmp_eq_u32_e32 vcc_lo, 10, v0
	s_delay_alu instid0(VALU_DEP_2) | instskip(SKIP_1) | instid1(VALU_DEP_1)
	v_dual_cndmask_b32 v25, v24, v23 :: v_dual_cndmask_b32 v24, v26, v22
	s_waitcnt lgkmcnt(0)
	v_mul_f64 v[4:5], v[24:25], v[4:5]
	s_cbranch_execz .LBB74_152
	s_branch .LBB74_153
.LBB74_151:
                                        ; implicit-def: $vgpr4_vgpr5
.LBB74_152:
	ds_load_b64 v[4:5], v90
.LBB74_153:
	v_mov_b32_e32 v24, 0
	ds_load_b64 v[24:25], v24 offset:8
	s_waitcnt lgkmcnt(0)
	v_mul_f64 v[4:5], v[4:5], v[24:25]
.LBB74_154:
	s_or_b32 exec_lo, exec_lo, s1
	v_add_nc_u32_e32 v35, 1, v0
	v_cndmask_b32_e64 v34, 0, 1, s11
	s_mov_b32 s1, exec_lo
	ds_store_b64 v90, v[6:7]
	s_waitcnt lgkmcnt(0)
	s_barrier
	buffer_gl0_inv
	v_cmpx_gt_u32_e32 2, v0
	s_cbranch_execz .LBB74_162
; %bb.155:
	s_and_not1_b32 vcc_lo, exec_lo, s11
	s_cbranch_vccnz .LBB74_157
; %bb.156:
	v_cmp_eq_u32_e32 vcc_lo, 1, v0
	v_dual_cndmask_b32 v24, v3, v5 :: v_dual_cndmask_b32 v25, v2, v4
	v_cmp_eq_u32_e32 vcc_lo, 2, v0
	s_delay_alu instid0(VALU_DEP_2) | instskip(SKIP_1) | instid1(VALU_DEP_2)
	v_dual_cndmask_b32 v24, v24, v7 :: v_dual_cndmask_b32 v25, v25, v6
	v_cmp_eq_u32_e32 vcc_lo, 3, v0
	v_dual_cndmask_b32 v24, v24, v9 :: v_dual_cndmask_b32 v25, v25, v8
	v_cmp_eq_u32_e32 vcc_lo, 4, v0
	s_delay_alu instid0(VALU_DEP_2) | instskip(SKIP_1) | instid1(VALU_DEP_2)
	v_dual_cndmask_b32 v24, v24, v11 :: v_dual_cndmask_b32 v25, v25, v10
	;; [unrolled: 5-line block ×3, first 2 shown]
	v_cmp_eq_u32_e32 vcc_lo, 7, v0
	v_dual_cndmask_b32 v26, v24, v17 :: v_dual_cndmask_b32 v27, v25, v16
	v_cmp_eq_u32_e32 vcc_lo, 8, v0
	ds_load_b64 v[24:25], v90
	v_dual_cndmask_b32 v26, v26, v19 :: v_dual_cndmask_b32 v27, v27, v18
	v_cmp_eq_u32_e32 vcc_lo, 9, v0
	s_delay_alu instid0(VALU_DEP_2) | instskip(NEXT) | instid1(VALU_DEP_3)
	v_cndmask_b32_e32 v26, v26, v21, vcc_lo
	v_cndmask_b32_e32 v28, v27, v20, vcc_lo
	v_cmp_eq_u32_e32 vcc_lo, 10, v0
	s_delay_alu instid0(VALU_DEP_2) | instskip(SKIP_1) | instid1(VALU_DEP_1)
	v_dual_cndmask_b32 v27, v26, v23 :: v_dual_cndmask_b32 v26, v28, v22
	s_waitcnt lgkmcnt(0)
	v_mul_f64 v[24:25], v[26:27], v[24:25]
	s_cbranch_execz .LBB74_158
	s_branch .LBB74_159
.LBB74_157:
                                        ; implicit-def: $vgpr24_vgpr25
.LBB74_158:
	ds_load_b64 v[24:25], v90
.LBB74_159:
	s_and_saveexec_b32 s2, s0
	s_cbranch_execz .LBB74_161
; %bb.160:
	v_cmp_eq_u32_e32 vcc_lo, 1, v35
	v_dual_cndmask_b32 v26, v3, v5 :: v_dual_cndmask_b32 v27, v2, v4
	v_cmp_eq_u32_e32 vcc_lo, 2, v35
	s_delay_alu instid0(VALU_DEP_2) | instskip(SKIP_1) | instid1(VALU_DEP_2)
	v_dual_cndmask_b32 v7, v26, v7 :: v_dual_cndmask_b32 v6, v27, v6
	v_cmp_eq_u32_e32 vcc_lo, 3, v35
	v_dual_cndmask_b32 v7, v7, v9 :: v_dual_cndmask_b32 v6, v6, v8
	v_cmp_eq_u32_e32 vcc_lo, 4, v35
	s_delay_alu instid0(VALU_DEP_2) | instskip(SKIP_1) | instid1(VALU_DEP_2)
	v_dual_cndmask_b32 v7, v7, v11 :: v_dual_cndmask_b32 v6, v6, v10
	;; [unrolled: 5-line block ×3, first 2 shown]
	v_cmp_eq_u32_e32 vcc_lo, 7, v35
	v_dual_cndmask_b32 v26, v7, v17 :: v_dual_cndmask_b32 v27, v6, v16
	v_cmp_eq_u32_e32 vcc_lo, 8, v35
	ds_load_b64 v[6:7], v90 offset:8
	v_dual_cndmask_b32 v26, v26, v19 :: v_dual_cndmask_b32 v27, v27, v18
	v_cmp_eq_u32_e32 vcc_lo, 9, v35
	s_delay_alu instid0(VALU_DEP_2) | instskip(NEXT) | instid1(VALU_DEP_3)
	v_cndmask_b32_e32 v26, v26, v21, vcc_lo
	v_cndmask_b32_e32 v28, v27, v20, vcc_lo
	v_cmp_eq_u32_e32 vcc_lo, 10, v35
	s_delay_alu instid0(VALU_DEP_2) | instskip(SKIP_1) | instid1(VALU_DEP_1)
	v_dual_cndmask_b32 v27, v26, v23 :: v_dual_cndmask_b32 v26, v28, v22
	s_waitcnt lgkmcnt(0)
	v_fma_f64 v[24:25], v[26:27], v[6:7], v[24:25]
.LBB74_161:
	s_or_b32 exec_lo, exec_lo, s2
	v_mov_b32_e32 v6, 0
	ds_load_b64 v[6:7], v6 offset:16
	s_waitcnt lgkmcnt(0)
	v_mul_f64 v[6:7], v[24:25], v[6:7]
.LBB74_162:
	s_or_b32 exec_lo, exec_lo, s1
	v_cmp_gt_u32_e64 s1, 3, v0
	ds_store_b64 v90, v[8:9]
	s_waitcnt lgkmcnt(0)
	s_barrier
	buffer_gl0_inv
	s_and_saveexec_b32 s2, s1
	s_cbranch_execz .LBB74_172
; %bb.163:
	v_cmp_ne_u32_e32 vcc_lo, 1, v34
	s_cbranch_vccnz .LBB74_165
; %bb.164:
	v_cmp_eq_u32_e32 vcc_lo, 1, v0
	v_dual_cndmask_b32 v24, v3, v5 :: v_dual_cndmask_b32 v25, v2, v4
	v_cmp_eq_u32_e32 vcc_lo, 2, v0
	s_delay_alu instid0(VALU_DEP_2) | instskip(SKIP_1) | instid1(VALU_DEP_2)
	v_dual_cndmask_b32 v24, v24, v7 :: v_dual_cndmask_b32 v25, v25, v6
	v_cmp_eq_u32_e32 vcc_lo, 3, v0
	v_dual_cndmask_b32 v24, v24, v9 :: v_dual_cndmask_b32 v25, v25, v8
	v_cmp_eq_u32_e32 vcc_lo, 4, v0
	s_delay_alu instid0(VALU_DEP_2) | instskip(SKIP_1) | instid1(VALU_DEP_2)
	v_dual_cndmask_b32 v24, v24, v11 :: v_dual_cndmask_b32 v25, v25, v10
	;; [unrolled: 5-line block ×3, first 2 shown]
	v_cmp_eq_u32_e32 vcc_lo, 7, v0
	v_dual_cndmask_b32 v26, v24, v17 :: v_dual_cndmask_b32 v27, v25, v16
	v_cmp_eq_u32_e32 vcc_lo, 8, v0
	ds_load_b64 v[24:25], v90
	v_dual_cndmask_b32 v26, v26, v19 :: v_dual_cndmask_b32 v27, v27, v18
	v_cmp_eq_u32_e32 vcc_lo, 9, v0
	s_delay_alu instid0(VALU_DEP_2) | instskip(NEXT) | instid1(VALU_DEP_3)
	v_cndmask_b32_e32 v26, v26, v21, vcc_lo
	v_cndmask_b32_e32 v28, v27, v20, vcc_lo
	v_cmp_eq_u32_e32 vcc_lo, 10, v0
	s_delay_alu instid0(VALU_DEP_2) | instskip(SKIP_1) | instid1(VALU_DEP_1)
	v_dual_cndmask_b32 v27, v26, v23 :: v_dual_cndmask_b32 v26, v28, v22
	s_waitcnt lgkmcnt(0)
	v_mul_f64 v[24:25], v[26:27], v[24:25]
	s_cbranch_execz .LBB74_166
	s_branch .LBB74_167
.LBB74_165:
                                        ; implicit-def: $vgpr24_vgpr25
.LBB74_166:
	ds_load_b64 v[24:25], v90
.LBB74_167:
	s_mov_b32 s3, exec_lo
	v_cmpx_ne_u32_e32 2, v0
	s_cbranch_execz .LBB74_171
; %bb.168:
	v_cmp_eq_u32_e32 vcc_lo, 1, v35
	v_dual_cndmask_b32 v26, v3, v5 :: v_dual_cndmask_b32 v27, v2, v4
	v_cmp_eq_u32_e32 vcc_lo, 2, v35
	s_delay_alu instid0(VALU_DEP_2) | instskip(SKIP_1) | instid1(VALU_DEP_2)
	v_dual_cndmask_b32 v26, v26, v7 :: v_dual_cndmask_b32 v27, v27, v6
	v_cmp_eq_u32_e32 vcc_lo, 3, v35
	v_dual_cndmask_b32 v9, v26, v9 :: v_dual_cndmask_b32 v8, v27, v8
	v_cmp_eq_u32_e32 vcc_lo, 4, v35
	s_delay_alu instid0(VALU_DEP_2) | instskip(SKIP_1) | instid1(VALU_DEP_2)
	v_dual_cndmask_b32 v9, v9, v11 :: v_dual_cndmask_b32 v8, v8, v10
	;; [unrolled: 5-line block ×3, first 2 shown]
	v_cmp_eq_u32_e32 vcc_lo, 7, v35
	v_dual_cndmask_b32 v26, v9, v17 :: v_dual_cndmask_b32 v27, v8, v16
	v_cmp_eq_u32_e32 vcc_lo, 8, v35
	ds_load_b64 v[8:9], v90 offset:8
	v_dual_cndmask_b32 v26, v26, v19 :: v_dual_cndmask_b32 v27, v27, v18
	v_cmp_eq_u32_e32 vcc_lo, 9, v35
	s_delay_alu instid0(VALU_DEP_2) | instskip(NEXT) | instid1(VALU_DEP_3)
	v_cndmask_b32_e32 v26, v26, v21, vcc_lo
	v_cndmask_b32_e32 v28, v27, v20, vcc_lo
	v_cmp_eq_u32_e32 vcc_lo, 10, v35
	s_delay_alu instid0(VALU_DEP_2) | instskip(SKIP_1) | instid1(VALU_DEP_1)
	v_dual_cndmask_b32 v27, v26, v23 :: v_dual_cndmask_b32 v26, v28, v22
	s_waitcnt lgkmcnt(0)
	v_fma_f64 v[24:25], v[26:27], v[8:9], v[24:25]
	s_and_saveexec_b32 s4, s0
	s_cbranch_execz .LBB74_170
; %bb.169:
	v_mov_b32_e32 v8, 0
	ds_load_b64 v[8:9], v8 offset:112
	s_waitcnt lgkmcnt(0)
	v_fma_f64 v[24:25], v[6:7], v[8:9], v[24:25]
.LBB74_170:
	s_or_b32 exec_lo, exec_lo, s4
.LBB74_171:
	s_delay_alu instid0(SALU_CYCLE_1)
	s_or_b32 exec_lo, exec_lo, s3
	v_mov_b32_e32 v8, 0
	ds_load_b64 v[8:9], v8 offset:24
	s_waitcnt lgkmcnt(0)
	v_mul_f64 v[8:9], v[24:25], v[8:9]
.LBB74_172:
	s_or_b32 exec_lo, exec_lo, s2
	s_delay_alu instid0(SALU_CYCLE_1)
	s_mov_b32 s3, exec_lo
	ds_store_b64 v90, v[10:11]
	s_waitcnt lgkmcnt(0)
	s_barrier
	buffer_gl0_inv
	v_cmpx_gt_u32_e32 4, v0
	s_cbranch_execz .LBB74_182
; %bb.173:
	v_cmp_ne_u32_e32 vcc_lo, 1, v34
	s_cbranch_vccnz .LBB74_175
; %bb.174:
	v_cmp_eq_u32_e32 vcc_lo, 1, v0
	v_dual_cndmask_b32 v24, v3, v5 :: v_dual_cndmask_b32 v25, v2, v4
	v_cmp_eq_u32_e32 vcc_lo, 2, v0
	s_delay_alu instid0(VALU_DEP_2) | instskip(SKIP_1) | instid1(VALU_DEP_2)
	v_dual_cndmask_b32 v24, v24, v7 :: v_dual_cndmask_b32 v25, v25, v6
	v_cmp_eq_u32_e32 vcc_lo, 3, v0
	v_dual_cndmask_b32 v24, v24, v9 :: v_dual_cndmask_b32 v25, v25, v8
	v_cmp_eq_u32_e32 vcc_lo, 4, v0
	s_delay_alu instid0(VALU_DEP_2) | instskip(SKIP_1) | instid1(VALU_DEP_2)
	v_dual_cndmask_b32 v24, v24, v11 :: v_dual_cndmask_b32 v25, v25, v10
	;; [unrolled: 5-line block ×3, first 2 shown]
	v_cmp_eq_u32_e32 vcc_lo, 7, v0
	v_dual_cndmask_b32 v26, v24, v17 :: v_dual_cndmask_b32 v27, v25, v16
	v_cmp_eq_u32_e32 vcc_lo, 8, v0
	ds_load_b64 v[24:25], v90
	v_dual_cndmask_b32 v26, v26, v19 :: v_dual_cndmask_b32 v27, v27, v18
	v_cmp_eq_u32_e32 vcc_lo, 9, v0
	s_delay_alu instid0(VALU_DEP_2) | instskip(NEXT) | instid1(VALU_DEP_3)
	v_cndmask_b32_e32 v26, v26, v21, vcc_lo
	v_cndmask_b32_e32 v28, v27, v20, vcc_lo
	v_cmp_eq_u32_e32 vcc_lo, 10, v0
	s_delay_alu instid0(VALU_DEP_2) | instskip(SKIP_1) | instid1(VALU_DEP_1)
	v_dual_cndmask_b32 v27, v26, v23 :: v_dual_cndmask_b32 v26, v28, v22
	s_waitcnt lgkmcnt(0)
	v_mul_f64 v[24:25], v[26:27], v[24:25]
	s_cbranch_execz .LBB74_176
	s_branch .LBB74_177
.LBB74_175:
                                        ; implicit-def: $vgpr24_vgpr25
.LBB74_176:
	ds_load_b64 v[24:25], v90
.LBB74_177:
	s_mov_b32 s4, exec_lo
	v_cmpx_ne_u32_e32 3, v0
	s_cbranch_execz .LBB74_181
; %bb.178:
	v_lshl_add_u32 v28, v0, 3, 0x68
	v_dual_mov_b32 v27, v1 :: v_dual_mov_b32 v26, v0
	s_mov_b32 s5, 0
.LBB74_179:                             ; =>This Inner Loop Header: Depth=1
	s_delay_alu instid0(VALU_DEP_1) | instskip(NEXT) | instid1(VALU_DEP_2)
	v_add_co_u32 v26, vcc_lo, v26, 1
	v_add_co_ci_u32_e32 v27, vcc_lo, 0, v27, vcc_lo
	s_delay_alu instid0(VALU_DEP_2) | instskip(SKIP_3) | instid1(VALU_DEP_2)
	v_cmp_eq_u32_e32 vcc_lo, 1, v26
	v_cmp_eq_u32_e64 s2, 2, v26
	v_dual_cndmask_b32 v29, v3, v5 :: v_dual_cndmask_b32 v30, v2, v4
	v_cmp_eq_u32_e32 vcc_lo, 3, v26
	v_cndmask_b32_e64 v29, v29, v7, s2
	s_delay_alu instid0(VALU_DEP_3) | instskip(SKIP_1) | instid1(VALU_DEP_2)
	v_cndmask_b32_e64 v30, v30, v6, s2
	v_cmp_eq_u32_e64 s2, 4, v26
	v_dual_cndmask_b32 v29, v29, v9 :: v_dual_cndmask_b32 v30, v30, v8
	v_cmp_eq_u32_e32 vcc_lo, 5, v26
	s_delay_alu instid0(VALU_DEP_2) | instskip(NEXT) | instid1(VALU_DEP_3)
	v_cndmask_b32_e64 v29, v29, v11, s2
	v_cndmask_b32_e64 v30, v30, v10, s2
	v_cmp_eq_u32_e64 s2, 6, v26
	s_delay_alu instid0(VALU_DEP_2) | instskip(SKIP_1) | instid1(VALU_DEP_2)
	v_dual_cndmask_b32 v29, v29, v13 :: v_dual_cndmask_b32 v30, v30, v12
	v_cmp_eq_u32_e32 vcc_lo, 7, v26
	v_cndmask_b32_e64 v31, v29, v15, s2
	s_delay_alu instid0(VALU_DEP_3)
	v_cndmask_b32_e64 v32, v30, v14, s2
	ds_load_b64 v[29:30], v28
	v_cmp_eq_u32_e64 s2, 8, v26
	v_dual_cndmask_b32 v31, v31, v17 :: v_dual_add_nc_u32 v28, 8, v28
	v_cndmask_b32_e32 v32, v32, v16, vcc_lo
	v_cmp_eq_u32_e32 vcc_lo, 9, v26
	s_delay_alu instid0(VALU_DEP_3) | instskip(NEXT) | instid1(VALU_DEP_3)
	v_cndmask_b32_e64 v31, v31, v19, s2
	v_cndmask_b32_e64 v32, v32, v18, s2
	v_cmp_eq_u32_e64 s2, 10, v26
	s_delay_alu instid0(VALU_DEP_3) | instskip(NEXT) | instid1(VALU_DEP_3)
	v_cndmask_b32_e32 v31, v31, v21, vcc_lo
	v_cndmask_b32_e32 v33, v32, v20, vcc_lo
	v_cmp_lt_u32_e32 vcc_lo, 2, v26
	s_delay_alu instid0(VALU_DEP_3) | instskip(NEXT) | instid1(VALU_DEP_3)
	v_cndmask_b32_e64 v32, v31, v23, s2
	v_cndmask_b32_e64 v31, v33, v22, s2
	s_or_b32 s5, vcc_lo, s5
	s_waitcnt lgkmcnt(0)
	s_delay_alu instid0(VALU_DEP_1)
	v_fma_f64 v[24:25], v[31:32], v[29:30], v[24:25]
	s_and_not1_b32 exec_lo, exec_lo, s5
	s_cbranch_execnz .LBB74_179
; %bb.180:
	s_or_b32 exec_lo, exec_lo, s5
.LBB74_181:
	s_delay_alu instid0(SALU_CYCLE_1)
	s_or_b32 exec_lo, exec_lo, s4
	v_mov_b32_e32 v10, 0
	ds_load_b64 v[10:11], v10 offset:32
	s_waitcnt lgkmcnt(0)
	v_mul_f64 v[10:11], v[24:25], v[10:11]
.LBB74_182:
	s_or_b32 exec_lo, exec_lo, s3
	v_cmp_gt_u32_e64 s2, 5, v0
	ds_store_b64 v90, v[12:13]
	s_waitcnt lgkmcnt(0)
	s_barrier
	buffer_gl0_inv
	s_and_saveexec_b32 s4, s2
	s_cbranch_execz .LBB74_192
; %bb.183:
	v_cmp_ne_u32_e32 vcc_lo, 1, v34
	s_cbranch_vccnz .LBB74_185
; %bb.184:
	v_cmp_eq_u32_e32 vcc_lo, 1, v0
	v_dual_cndmask_b32 v24, v3, v5 :: v_dual_cndmask_b32 v25, v2, v4
	v_cmp_eq_u32_e32 vcc_lo, 2, v0
	s_delay_alu instid0(VALU_DEP_2) | instskip(SKIP_1) | instid1(VALU_DEP_2)
	v_dual_cndmask_b32 v24, v24, v7 :: v_dual_cndmask_b32 v25, v25, v6
	v_cmp_eq_u32_e32 vcc_lo, 3, v0
	v_dual_cndmask_b32 v24, v24, v9 :: v_dual_cndmask_b32 v25, v25, v8
	v_cmp_eq_u32_e32 vcc_lo, 4, v0
	s_delay_alu instid0(VALU_DEP_2) | instskip(SKIP_1) | instid1(VALU_DEP_2)
	v_dual_cndmask_b32 v24, v24, v11 :: v_dual_cndmask_b32 v25, v25, v10
	v_cmp_eq_u32_e32 vcc_lo, 5, v0
	v_dual_cndmask_b32 v24, v24, v13 :: v_dual_cndmask_b32 v25, v25, v12
	v_cmp_eq_u32_e32 vcc_lo, 6, v0
	s_delay_alu instid0(VALU_DEP_2) | instskip(SKIP_1) | instid1(VALU_DEP_2)
	v_dual_cndmask_b32 v24, v24, v15 :: v_dual_cndmask_b32 v25, v25, v14
	v_cmp_eq_u32_e32 vcc_lo, 7, v0
	v_dual_cndmask_b32 v26, v24, v17 :: v_dual_cndmask_b32 v27, v25, v16
	v_cmp_eq_u32_e32 vcc_lo, 8, v0
	ds_load_b64 v[24:25], v90
	v_dual_cndmask_b32 v26, v26, v19 :: v_dual_cndmask_b32 v27, v27, v18
	v_cmp_eq_u32_e32 vcc_lo, 9, v0
	s_delay_alu instid0(VALU_DEP_2) | instskip(NEXT) | instid1(VALU_DEP_3)
	v_cndmask_b32_e32 v26, v26, v21, vcc_lo
	v_cndmask_b32_e32 v28, v27, v20, vcc_lo
	v_cmp_eq_u32_e32 vcc_lo, 10, v0
	s_delay_alu instid0(VALU_DEP_2) | instskip(SKIP_1) | instid1(VALU_DEP_1)
	v_dual_cndmask_b32 v27, v26, v23 :: v_dual_cndmask_b32 v26, v28, v22
	s_waitcnt lgkmcnt(0)
	v_mul_f64 v[24:25], v[26:27], v[24:25]
	s_cbranch_execz .LBB74_186
	s_branch .LBB74_187
.LBB74_185:
                                        ; implicit-def: $vgpr24_vgpr25
.LBB74_186:
	ds_load_b64 v[24:25], v90
.LBB74_187:
	s_mov_b32 s5, exec_lo
	v_cmpx_ne_u32_e32 4, v0
	s_cbranch_execz .LBB74_191
; %bb.188:
	v_lshl_add_u32 v28, v0, 3, 0x68
	v_dual_mov_b32 v27, v1 :: v_dual_mov_b32 v26, v0
	s_mov_b32 s6, 0
.LBB74_189:                             ; =>This Inner Loop Header: Depth=1
	s_delay_alu instid0(VALU_DEP_1) | instskip(NEXT) | instid1(VALU_DEP_2)
	v_add_co_u32 v26, vcc_lo, v26, 1
	v_add_co_ci_u32_e32 v27, vcc_lo, 0, v27, vcc_lo
	s_delay_alu instid0(VALU_DEP_2) | instskip(SKIP_3) | instid1(VALU_DEP_2)
	v_cmp_eq_u32_e32 vcc_lo, 1, v26
	v_cmp_eq_u32_e64 s3, 2, v26
	v_dual_cndmask_b32 v29, v3, v5 :: v_dual_cndmask_b32 v30, v2, v4
	v_cmp_eq_u32_e32 vcc_lo, 3, v26
	v_cndmask_b32_e64 v29, v29, v7, s3
	s_delay_alu instid0(VALU_DEP_3) | instskip(SKIP_1) | instid1(VALU_DEP_2)
	v_cndmask_b32_e64 v30, v30, v6, s3
	v_cmp_eq_u32_e64 s3, 4, v26
	v_dual_cndmask_b32 v29, v29, v9 :: v_dual_cndmask_b32 v30, v30, v8
	v_cmp_eq_u32_e32 vcc_lo, 5, v26
	s_delay_alu instid0(VALU_DEP_2) | instskip(NEXT) | instid1(VALU_DEP_3)
	v_cndmask_b32_e64 v29, v29, v11, s3
	v_cndmask_b32_e64 v30, v30, v10, s3
	v_cmp_eq_u32_e64 s3, 6, v26
	s_delay_alu instid0(VALU_DEP_2) | instskip(SKIP_1) | instid1(VALU_DEP_2)
	v_dual_cndmask_b32 v29, v29, v13 :: v_dual_cndmask_b32 v30, v30, v12
	v_cmp_eq_u32_e32 vcc_lo, 7, v26
	v_cndmask_b32_e64 v31, v29, v15, s3
	s_delay_alu instid0(VALU_DEP_3)
	v_cndmask_b32_e64 v32, v30, v14, s3
	ds_load_b64 v[29:30], v28
	v_cmp_eq_u32_e64 s3, 8, v26
	v_dual_cndmask_b32 v31, v31, v17 :: v_dual_add_nc_u32 v28, 8, v28
	v_cndmask_b32_e32 v32, v32, v16, vcc_lo
	v_cmp_eq_u32_e32 vcc_lo, 9, v26
	s_delay_alu instid0(VALU_DEP_3) | instskip(NEXT) | instid1(VALU_DEP_3)
	v_cndmask_b32_e64 v31, v31, v19, s3
	v_cndmask_b32_e64 v32, v32, v18, s3
	v_cmp_eq_u32_e64 s3, 10, v26
	s_delay_alu instid0(VALU_DEP_3) | instskip(NEXT) | instid1(VALU_DEP_3)
	v_cndmask_b32_e32 v31, v31, v21, vcc_lo
	v_cndmask_b32_e32 v33, v32, v20, vcc_lo
	v_cmp_lt_u32_e32 vcc_lo, 3, v26
	s_delay_alu instid0(VALU_DEP_3) | instskip(NEXT) | instid1(VALU_DEP_3)
	v_cndmask_b32_e64 v32, v31, v23, s3
	v_cndmask_b32_e64 v31, v33, v22, s3
	s_or_b32 s6, vcc_lo, s6
	s_waitcnt lgkmcnt(0)
	s_delay_alu instid0(VALU_DEP_1)
	v_fma_f64 v[24:25], v[31:32], v[29:30], v[24:25]
	s_and_not1_b32 exec_lo, exec_lo, s6
	s_cbranch_execnz .LBB74_189
; %bb.190:
	s_or_b32 exec_lo, exec_lo, s6
.LBB74_191:
	s_delay_alu instid0(SALU_CYCLE_1)
	s_or_b32 exec_lo, exec_lo, s5
	v_mov_b32_e32 v12, 0
	ds_load_b64 v[12:13], v12 offset:40
	s_waitcnt lgkmcnt(0)
	v_mul_f64 v[12:13], v[24:25], v[12:13]
.LBB74_192:
	s_or_b32 exec_lo, exec_lo, s4
	s_delay_alu instid0(SALU_CYCLE_1)
	s_mov_b32 s4, exec_lo
	ds_store_b64 v90, v[14:15]
	s_waitcnt lgkmcnt(0)
	s_barrier
	buffer_gl0_inv
	v_cmpx_gt_u32_e32 6, v0
	s_cbranch_execz .LBB74_202
; %bb.193:
	v_cmp_ne_u32_e32 vcc_lo, 1, v34
	s_cbranch_vccnz .LBB74_195
; %bb.194:
	v_cmp_eq_u32_e32 vcc_lo, 1, v0
	v_dual_cndmask_b32 v24, v3, v5 :: v_dual_cndmask_b32 v25, v2, v4
	v_cmp_eq_u32_e32 vcc_lo, 2, v0
	s_delay_alu instid0(VALU_DEP_2) | instskip(SKIP_1) | instid1(VALU_DEP_2)
	v_dual_cndmask_b32 v24, v24, v7 :: v_dual_cndmask_b32 v25, v25, v6
	v_cmp_eq_u32_e32 vcc_lo, 3, v0
	v_dual_cndmask_b32 v24, v24, v9 :: v_dual_cndmask_b32 v25, v25, v8
	v_cmp_eq_u32_e32 vcc_lo, 4, v0
	s_delay_alu instid0(VALU_DEP_2) | instskip(SKIP_1) | instid1(VALU_DEP_2)
	v_dual_cndmask_b32 v24, v24, v11 :: v_dual_cndmask_b32 v25, v25, v10
	;; [unrolled: 5-line block ×3, first 2 shown]
	v_cmp_eq_u32_e32 vcc_lo, 7, v0
	v_dual_cndmask_b32 v26, v24, v17 :: v_dual_cndmask_b32 v27, v25, v16
	v_cmp_eq_u32_e32 vcc_lo, 8, v0
	ds_load_b64 v[24:25], v90
	v_dual_cndmask_b32 v26, v26, v19 :: v_dual_cndmask_b32 v27, v27, v18
	v_cmp_eq_u32_e32 vcc_lo, 9, v0
	s_delay_alu instid0(VALU_DEP_2) | instskip(NEXT) | instid1(VALU_DEP_3)
	v_cndmask_b32_e32 v26, v26, v21, vcc_lo
	v_cndmask_b32_e32 v28, v27, v20, vcc_lo
	v_cmp_eq_u32_e32 vcc_lo, 10, v0
	s_delay_alu instid0(VALU_DEP_2) | instskip(SKIP_1) | instid1(VALU_DEP_1)
	v_dual_cndmask_b32 v27, v26, v23 :: v_dual_cndmask_b32 v26, v28, v22
	s_waitcnt lgkmcnt(0)
	v_mul_f64 v[24:25], v[26:27], v[24:25]
	s_cbranch_execz .LBB74_196
	s_branch .LBB74_197
.LBB74_195:
                                        ; implicit-def: $vgpr24_vgpr25
.LBB74_196:
	ds_load_b64 v[24:25], v90
.LBB74_197:
	s_mov_b32 s5, exec_lo
	v_cmpx_ne_u32_e32 5, v0
	s_cbranch_execz .LBB74_201
; %bb.198:
	v_lshl_add_u32 v28, v0, 3, 0x68
	v_dual_mov_b32 v27, v1 :: v_dual_mov_b32 v26, v0
	s_mov_b32 s6, 0
.LBB74_199:                             ; =>This Inner Loop Header: Depth=1
	s_delay_alu instid0(VALU_DEP_1) | instskip(NEXT) | instid1(VALU_DEP_2)
	v_add_co_u32 v26, vcc_lo, v26, 1
	v_add_co_ci_u32_e32 v27, vcc_lo, 0, v27, vcc_lo
	s_delay_alu instid0(VALU_DEP_2) | instskip(SKIP_3) | instid1(VALU_DEP_2)
	v_cmp_eq_u32_e32 vcc_lo, 1, v26
	v_cmp_eq_u32_e64 s3, 2, v26
	v_dual_cndmask_b32 v29, v3, v5 :: v_dual_cndmask_b32 v30, v2, v4
	v_cmp_eq_u32_e32 vcc_lo, 3, v26
	v_cndmask_b32_e64 v29, v29, v7, s3
	s_delay_alu instid0(VALU_DEP_3) | instskip(SKIP_1) | instid1(VALU_DEP_2)
	v_cndmask_b32_e64 v30, v30, v6, s3
	v_cmp_eq_u32_e64 s3, 4, v26
	v_dual_cndmask_b32 v29, v29, v9 :: v_dual_cndmask_b32 v30, v30, v8
	v_cmp_eq_u32_e32 vcc_lo, 5, v26
	s_delay_alu instid0(VALU_DEP_2) | instskip(NEXT) | instid1(VALU_DEP_3)
	v_cndmask_b32_e64 v29, v29, v11, s3
	v_cndmask_b32_e64 v30, v30, v10, s3
	v_cmp_eq_u32_e64 s3, 6, v26
	s_delay_alu instid0(VALU_DEP_2) | instskip(SKIP_1) | instid1(VALU_DEP_2)
	v_dual_cndmask_b32 v29, v29, v13 :: v_dual_cndmask_b32 v30, v30, v12
	v_cmp_eq_u32_e32 vcc_lo, 7, v26
	v_cndmask_b32_e64 v31, v29, v15, s3
	s_delay_alu instid0(VALU_DEP_3)
	v_cndmask_b32_e64 v32, v30, v14, s3
	ds_load_b64 v[29:30], v28
	v_cmp_eq_u32_e64 s3, 8, v26
	v_dual_cndmask_b32 v31, v31, v17 :: v_dual_add_nc_u32 v28, 8, v28
	v_cndmask_b32_e32 v32, v32, v16, vcc_lo
	v_cmp_eq_u32_e32 vcc_lo, 9, v26
	s_delay_alu instid0(VALU_DEP_3) | instskip(NEXT) | instid1(VALU_DEP_3)
	v_cndmask_b32_e64 v31, v31, v19, s3
	v_cndmask_b32_e64 v32, v32, v18, s3
	v_cmp_eq_u32_e64 s3, 10, v26
	s_delay_alu instid0(VALU_DEP_3) | instskip(NEXT) | instid1(VALU_DEP_3)
	v_cndmask_b32_e32 v31, v31, v21, vcc_lo
	v_cndmask_b32_e32 v33, v32, v20, vcc_lo
	v_cmp_lt_u32_e32 vcc_lo, 4, v26
	s_delay_alu instid0(VALU_DEP_3) | instskip(NEXT) | instid1(VALU_DEP_3)
	v_cndmask_b32_e64 v32, v31, v23, s3
	v_cndmask_b32_e64 v31, v33, v22, s3
	s_or_b32 s6, vcc_lo, s6
	s_waitcnt lgkmcnt(0)
	s_delay_alu instid0(VALU_DEP_1)
	v_fma_f64 v[24:25], v[31:32], v[29:30], v[24:25]
	s_and_not1_b32 exec_lo, exec_lo, s6
	s_cbranch_execnz .LBB74_199
; %bb.200:
	s_or_b32 exec_lo, exec_lo, s6
.LBB74_201:
	s_delay_alu instid0(SALU_CYCLE_1)
	s_or_b32 exec_lo, exec_lo, s5
	v_mov_b32_e32 v14, 0
	ds_load_b64 v[14:15], v14 offset:48
	s_waitcnt lgkmcnt(0)
	v_mul_f64 v[14:15], v[24:25], v[14:15]
.LBB74_202:
	s_or_b32 exec_lo, exec_lo, s4
	v_cmp_gt_u32_e64 s4, 7, v0
	ds_store_b64 v90, v[16:17]
	s_waitcnt lgkmcnt(0)
	s_barrier
	buffer_gl0_inv
	s_and_saveexec_b32 s5, s4
	s_cbranch_execz .LBB74_212
; %bb.203:
	v_cmp_ne_u32_e32 vcc_lo, 1, v34
	s_cbranch_vccnz .LBB74_205
; %bb.204:
	v_cmp_eq_u32_e32 vcc_lo, 1, v0
	v_dual_cndmask_b32 v24, v3, v5 :: v_dual_cndmask_b32 v25, v2, v4
	v_cmp_eq_u32_e32 vcc_lo, 2, v0
	s_delay_alu instid0(VALU_DEP_2) | instskip(SKIP_1) | instid1(VALU_DEP_2)
	v_dual_cndmask_b32 v24, v24, v7 :: v_dual_cndmask_b32 v25, v25, v6
	v_cmp_eq_u32_e32 vcc_lo, 3, v0
	v_dual_cndmask_b32 v24, v24, v9 :: v_dual_cndmask_b32 v25, v25, v8
	v_cmp_eq_u32_e32 vcc_lo, 4, v0
	s_delay_alu instid0(VALU_DEP_2) | instskip(SKIP_1) | instid1(VALU_DEP_2)
	v_dual_cndmask_b32 v24, v24, v11 :: v_dual_cndmask_b32 v25, v25, v10
	;; [unrolled: 5-line block ×3, first 2 shown]
	v_cmp_eq_u32_e32 vcc_lo, 7, v0
	v_dual_cndmask_b32 v26, v24, v17 :: v_dual_cndmask_b32 v27, v25, v16
	v_cmp_eq_u32_e32 vcc_lo, 8, v0
	ds_load_b64 v[24:25], v90
	v_dual_cndmask_b32 v26, v26, v19 :: v_dual_cndmask_b32 v27, v27, v18
	v_cmp_eq_u32_e32 vcc_lo, 9, v0
	s_delay_alu instid0(VALU_DEP_2) | instskip(NEXT) | instid1(VALU_DEP_3)
	v_cndmask_b32_e32 v26, v26, v21, vcc_lo
	v_cndmask_b32_e32 v28, v27, v20, vcc_lo
	v_cmp_eq_u32_e32 vcc_lo, 10, v0
	s_delay_alu instid0(VALU_DEP_2) | instskip(SKIP_1) | instid1(VALU_DEP_1)
	v_dual_cndmask_b32 v27, v26, v23 :: v_dual_cndmask_b32 v26, v28, v22
	s_waitcnt lgkmcnt(0)
	v_mul_f64 v[24:25], v[26:27], v[24:25]
	s_cbranch_execz .LBB74_206
	s_branch .LBB74_207
.LBB74_205:
                                        ; implicit-def: $vgpr24_vgpr25
.LBB74_206:
	ds_load_b64 v[24:25], v90
.LBB74_207:
	s_mov_b32 s6, exec_lo
	v_cmpx_ne_u32_e32 6, v0
	s_cbranch_execz .LBB74_211
; %bb.208:
	v_lshl_add_u32 v28, v0, 3, 0x68
	v_dual_mov_b32 v27, v1 :: v_dual_mov_b32 v26, v0
	s_mov_b32 s7, 0
.LBB74_209:                             ; =>This Inner Loop Header: Depth=1
	s_delay_alu instid0(VALU_DEP_1) | instskip(NEXT) | instid1(VALU_DEP_2)
	v_add_co_u32 v26, vcc_lo, v26, 1
	v_add_co_ci_u32_e32 v27, vcc_lo, 0, v27, vcc_lo
	s_delay_alu instid0(VALU_DEP_2) | instskip(SKIP_3) | instid1(VALU_DEP_2)
	v_cmp_eq_u32_e32 vcc_lo, 1, v26
	v_cmp_eq_u32_e64 s3, 2, v26
	v_dual_cndmask_b32 v29, v3, v5 :: v_dual_cndmask_b32 v30, v2, v4
	v_cmp_eq_u32_e32 vcc_lo, 3, v26
	v_cndmask_b32_e64 v29, v29, v7, s3
	s_delay_alu instid0(VALU_DEP_3) | instskip(SKIP_1) | instid1(VALU_DEP_2)
	v_cndmask_b32_e64 v30, v30, v6, s3
	v_cmp_eq_u32_e64 s3, 4, v26
	v_dual_cndmask_b32 v29, v29, v9 :: v_dual_cndmask_b32 v30, v30, v8
	v_cmp_eq_u32_e32 vcc_lo, 5, v26
	s_delay_alu instid0(VALU_DEP_2) | instskip(NEXT) | instid1(VALU_DEP_3)
	v_cndmask_b32_e64 v29, v29, v11, s3
	v_cndmask_b32_e64 v30, v30, v10, s3
	v_cmp_eq_u32_e64 s3, 6, v26
	s_delay_alu instid0(VALU_DEP_2) | instskip(SKIP_1) | instid1(VALU_DEP_2)
	v_dual_cndmask_b32 v29, v29, v13 :: v_dual_cndmask_b32 v30, v30, v12
	v_cmp_eq_u32_e32 vcc_lo, 7, v26
	v_cndmask_b32_e64 v31, v29, v15, s3
	s_delay_alu instid0(VALU_DEP_3)
	v_cndmask_b32_e64 v32, v30, v14, s3
	ds_load_b64 v[29:30], v28
	v_cmp_eq_u32_e64 s3, 8, v26
	v_dual_cndmask_b32 v31, v31, v17 :: v_dual_add_nc_u32 v28, 8, v28
	v_cndmask_b32_e32 v32, v32, v16, vcc_lo
	v_cmp_eq_u32_e32 vcc_lo, 9, v26
	s_delay_alu instid0(VALU_DEP_3) | instskip(NEXT) | instid1(VALU_DEP_3)
	v_cndmask_b32_e64 v31, v31, v19, s3
	v_cndmask_b32_e64 v32, v32, v18, s3
	v_cmp_eq_u32_e64 s3, 10, v26
	s_delay_alu instid0(VALU_DEP_3) | instskip(NEXT) | instid1(VALU_DEP_3)
	v_cndmask_b32_e32 v31, v31, v21, vcc_lo
	v_cndmask_b32_e32 v33, v32, v20, vcc_lo
	v_cmp_lt_u32_e32 vcc_lo, 5, v26
	s_delay_alu instid0(VALU_DEP_3) | instskip(NEXT) | instid1(VALU_DEP_3)
	v_cndmask_b32_e64 v32, v31, v23, s3
	v_cndmask_b32_e64 v31, v33, v22, s3
	s_or_b32 s7, vcc_lo, s7
	s_waitcnt lgkmcnt(0)
	s_delay_alu instid0(VALU_DEP_1)
	v_fma_f64 v[24:25], v[31:32], v[29:30], v[24:25]
	s_and_not1_b32 exec_lo, exec_lo, s7
	s_cbranch_execnz .LBB74_209
; %bb.210:
	s_or_b32 exec_lo, exec_lo, s7
.LBB74_211:
	s_delay_alu instid0(SALU_CYCLE_1)
	s_or_b32 exec_lo, exec_lo, s6
	v_mov_b32_e32 v16, 0
	ds_load_b64 v[16:17], v16 offset:56
	s_waitcnt lgkmcnt(0)
	v_mul_f64 v[16:17], v[24:25], v[16:17]
.LBB74_212:
	s_or_b32 exec_lo, exec_lo, s5
	s_delay_alu instid0(SALU_CYCLE_1)
	s_mov_b32 s5, exec_lo
	ds_store_b64 v90, v[18:19]
	s_waitcnt lgkmcnt(0)
	s_barrier
	buffer_gl0_inv
	v_cmpx_gt_u32_e32 8, v0
	s_cbranch_execz .LBB74_222
; %bb.213:
	v_cmp_ne_u32_e32 vcc_lo, 1, v34
	s_cbranch_vccnz .LBB74_215
; %bb.214:
	v_cmp_eq_u32_e32 vcc_lo, 1, v0
	v_dual_cndmask_b32 v24, v3, v5 :: v_dual_cndmask_b32 v25, v2, v4
	v_cmp_eq_u32_e32 vcc_lo, 2, v0
	s_delay_alu instid0(VALU_DEP_2) | instskip(SKIP_1) | instid1(VALU_DEP_2)
	v_dual_cndmask_b32 v24, v24, v7 :: v_dual_cndmask_b32 v25, v25, v6
	v_cmp_eq_u32_e32 vcc_lo, 3, v0
	v_dual_cndmask_b32 v24, v24, v9 :: v_dual_cndmask_b32 v25, v25, v8
	v_cmp_eq_u32_e32 vcc_lo, 4, v0
	s_delay_alu instid0(VALU_DEP_2) | instskip(SKIP_1) | instid1(VALU_DEP_2)
	v_dual_cndmask_b32 v24, v24, v11 :: v_dual_cndmask_b32 v25, v25, v10
	;; [unrolled: 5-line block ×3, first 2 shown]
	v_cmp_eq_u32_e32 vcc_lo, 7, v0
	v_dual_cndmask_b32 v26, v24, v17 :: v_dual_cndmask_b32 v27, v25, v16
	v_cmp_eq_u32_e32 vcc_lo, 8, v0
	ds_load_b64 v[24:25], v90
	v_dual_cndmask_b32 v26, v26, v19 :: v_dual_cndmask_b32 v27, v27, v18
	v_cmp_eq_u32_e32 vcc_lo, 9, v0
	s_delay_alu instid0(VALU_DEP_2) | instskip(NEXT) | instid1(VALU_DEP_3)
	v_cndmask_b32_e32 v26, v26, v21, vcc_lo
	v_cndmask_b32_e32 v28, v27, v20, vcc_lo
	v_cmp_eq_u32_e32 vcc_lo, 10, v0
	s_delay_alu instid0(VALU_DEP_2) | instskip(SKIP_1) | instid1(VALU_DEP_1)
	v_dual_cndmask_b32 v27, v26, v23 :: v_dual_cndmask_b32 v26, v28, v22
	s_waitcnt lgkmcnt(0)
	v_mul_f64 v[24:25], v[26:27], v[24:25]
	s_cbranch_execz .LBB74_216
	s_branch .LBB74_217
.LBB74_215:
                                        ; implicit-def: $vgpr24_vgpr25
.LBB74_216:
	ds_load_b64 v[24:25], v90
.LBB74_217:
	s_mov_b32 s6, exec_lo
	v_cmpx_ne_u32_e32 7, v0
	s_cbranch_execz .LBB74_221
; %bb.218:
	v_lshl_add_u32 v28, v0, 3, 0x68
	v_dual_mov_b32 v27, v1 :: v_dual_mov_b32 v26, v0
	s_mov_b32 s7, 0
.LBB74_219:                             ; =>This Inner Loop Header: Depth=1
	s_delay_alu instid0(VALU_DEP_1) | instskip(NEXT) | instid1(VALU_DEP_2)
	v_add_co_u32 v26, vcc_lo, v26, 1
	v_add_co_ci_u32_e32 v27, vcc_lo, 0, v27, vcc_lo
	s_delay_alu instid0(VALU_DEP_2) | instskip(SKIP_3) | instid1(VALU_DEP_2)
	v_cmp_eq_u32_e32 vcc_lo, 1, v26
	v_cmp_eq_u32_e64 s3, 2, v26
	v_dual_cndmask_b32 v29, v3, v5 :: v_dual_cndmask_b32 v30, v2, v4
	v_cmp_eq_u32_e32 vcc_lo, 3, v26
	v_cndmask_b32_e64 v29, v29, v7, s3
	s_delay_alu instid0(VALU_DEP_3) | instskip(SKIP_1) | instid1(VALU_DEP_2)
	v_cndmask_b32_e64 v30, v30, v6, s3
	v_cmp_eq_u32_e64 s3, 4, v26
	v_dual_cndmask_b32 v29, v29, v9 :: v_dual_cndmask_b32 v30, v30, v8
	v_cmp_eq_u32_e32 vcc_lo, 5, v26
	s_delay_alu instid0(VALU_DEP_2) | instskip(NEXT) | instid1(VALU_DEP_3)
	v_cndmask_b32_e64 v29, v29, v11, s3
	v_cndmask_b32_e64 v30, v30, v10, s3
	v_cmp_eq_u32_e64 s3, 6, v26
	s_delay_alu instid0(VALU_DEP_2) | instskip(SKIP_1) | instid1(VALU_DEP_2)
	v_dual_cndmask_b32 v29, v29, v13 :: v_dual_cndmask_b32 v30, v30, v12
	v_cmp_eq_u32_e32 vcc_lo, 7, v26
	v_cndmask_b32_e64 v31, v29, v15, s3
	s_delay_alu instid0(VALU_DEP_3)
	v_cndmask_b32_e64 v32, v30, v14, s3
	ds_load_b64 v[29:30], v28
	v_cmp_eq_u32_e64 s3, 8, v26
	v_dual_cndmask_b32 v31, v31, v17 :: v_dual_add_nc_u32 v28, 8, v28
	v_cndmask_b32_e32 v32, v32, v16, vcc_lo
	v_cmp_eq_u32_e32 vcc_lo, 9, v26
	s_delay_alu instid0(VALU_DEP_3) | instskip(NEXT) | instid1(VALU_DEP_3)
	v_cndmask_b32_e64 v31, v31, v19, s3
	v_cndmask_b32_e64 v32, v32, v18, s3
	v_cmp_eq_u32_e64 s3, 10, v26
	s_delay_alu instid0(VALU_DEP_3) | instskip(NEXT) | instid1(VALU_DEP_3)
	v_cndmask_b32_e32 v31, v31, v21, vcc_lo
	v_cndmask_b32_e32 v33, v32, v20, vcc_lo
	v_cmp_lt_u32_e32 vcc_lo, 6, v26
	s_delay_alu instid0(VALU_DEP_3) | instskip(NEXT) | instid1(VALU_DEP_3)
	v_cndmask_b32_e64 v32, v31, v23, s3
	v_cndmask_b32_e64 v31, v33, v22, s3
	s_or_b32 s7, vcc_lo, s7
	s_waitcnt lgkmcnt(0)
	s_delay_alu instid0(VALU_DEP_1)
	v_fma_f64 v[24:25], v[31:32], v[29:30], v[24:25]
	s_and_not1_b32 exec_lo, exec_lo, s7
	s_cbranch_execnz .LBB74_219
; %bb.220:
	s_or_b32 exec_lo, exec_lo, s7
.LBB74_221:
	s_delay_alu instid0(SALU_CYCLE_1)
	s_or_b32 exec_lo, exec_lo, s6
	v_mov_b32_e32 v18, 0
	ds_load_b64 v[18:19], v18 offset:64
	s_waitcnt lgkmcnt(0)
	v_mul_f64 v[18:19], v[24:25], v[18:19]
.LBB74_222:
	s_or_b32 exec_lo, exec_lo, s5
	v_cmp_gt_u32_e64 s3, 9, v0
	ds_store_b64 v90, v[20:21]
	s_waitcnt lgkmcnt(0)
	s_barrier
	buffer_gl0_inv
	s_and_saveexec_b32 s5, s3
	s_cbranch_execz .LBB74_244
; %bb.223:
	v_cmp_ne_u32_e32 vcc_lo, 1, v34
	s_cbranch_vccnz .LBB74_225
; %bb.224:
	v_cmp_eq_u32_e32 vcc_lo, 1, v0
	v_dual_cndmask_b32 v24, v3, v5 :: v_dual_cndmask_b32 v25, v2, v4
	v_cmp_eq_u32_e32 vcc_lo, 2, v0
	s_delay_alu instid0(VALU_DEP_2) | instskip(SKIP_1) | instid1(VALU_DEP_2)
	v_dual_cndmask_b32 v24, v24, v7 :: v_dual_cndmask_b32 v25, v25, v6
	v_cmp_eq_u32_e32 vcc_lo, 3, v0
	v_dual_cndmask_b32 v24, v24, v9 :: v_dual_cndmask_b32 v25, v25, v8
	v_cmp_eq_u32_e32 vcc_lo, 4, v0
	s_delay_alu instid0(VALU_DEP_2) | instskip(SKIP_1) | instid1(VALU_DEP_2)
	v_dual_cndmask_b32 v24, v24, v11 :: v_dual_cndmask_b32 v25, v25, v10
	;; [unrolled: 5-line block ×3, first 2 shown]
	v_cmp_eq_u32_e32 vcc_lo, 7, v0
	v_dual_cndmask_b32 v26, v24, v17 :: v_dual_cndmask_b32 v27, v25, v16
	v_cmp_eq_u32_e32 vcc_lo, 8, v0
	ds_load_b64 v[24:25], v90
	v_dual_cndmask_b32 v26, v26, v19 :: v_dual_cndmask_b32 v27, v27, v18
	v_cmp_eq_u32_e32 vcc_lo, 9, v0
	s_delay_alu instid0(VALU_DEP_2) | instskip(NEXT) | instid1(VALU_DEP_3)
	v_cndmask_b32_e32 v26, v26, v21, vcc_lo
	v_cndmask_b32_e32 v28, v27, v20, vcc_lo
	v_cmp_eq_u32_e32 vcc_lo, 10, v0
	s_delay_alu instid0(VALU_DEP_2) | instskip(SKIP_1) | instid1(VALU_DEP_1)
	v_dual_cndmask_b32 v27, v26, v23 :: v_dual_cndmask_b32 v26, v28, v22
	s_waitcnt lgkmcnt(0)
	v_mul_f64 v[24:25], v[26:27], v[24:25]
	s_cbranch_execz .LBB74_226
	s_branch .LBB74_227
.LBB74_225:
                                        ; implicit-def: $vgpr24_vgpr25
.LBB74_226:
	ds_load_b64 v[24:25], v90
.LBB74_227:
	s_mov_b32 s6, exec_lo
	v_cmpx_ne_u32_e32 8, v0
	s_cbranch_execz .LBB74_243
; %bb.228:
	v_cmp_eq_u32_e32 vcc_lo, 1, v35
	v_dual_cndmask_b32 v26, v3, v5 :: v_dual_cndmask_b32 v27, v2, v4
	v_cmp_eq_u32_e32 vcc_lo, 2, v35
	s_delay_alu instid0(VALU_DEP_2) | instskip(SKIP_1) | instid1(VALU_DEP_2)
	v_dual_cndmask_b32 v26, v26, v7 :: v_dual_cndmask_b32 v27, v27, v6
	v_cmp_eq_u32_e32 vcc_lo, 3, v35
	v_dual_cndmask_b32 v26, v26, v9 :: v_dual_cndmask_b32 v27, v27, v8
	v_cmp_eq_u32_e32 vcc_lo, 4, v35
	s_delay_alu instid0(VALU_DEP_2) | instskip(SKIP_1) | instid1(VALU_DEP_2)
	v_dual_cndmask_b32 v26, v26, v11 :: v_dual_cndmask_b32 v27, v27, v10
	v_cmp_eq_u32_e32 vcc_lo, 5, v35
	v_dual_cndmask_b32 v26, v26, v13 :: v_dual_cndmask_b32 v27, v27, v12
	v_cmp_eq_u32_e32 vcc_lo, 6, v35
	s_delay_alu instid0(VALU_DEP_2) | instskip(SKIP_1) | instid1(VALU_DEP_2)
	v_dual_cndmask_b32 v26, v26, v15 :: v_dual_cndmask_b32 v27, v27, v14
	v_cmp_eq_u32_e32 vcc_lo, 7, v35
	v_dual_cndmask_b32 v28, v26, v17 :: v_dual_cndmask_b32 v29, v27, v16
	v_cmp_eq_u32_e32 vcc_lo, 8, v35
	ds_load_b64 v[26:27], v90 offset:8
	v_dual_cndmask_b32 v28, v28, v19 :: v_dual_cndmask_b32 v29, v29, v18
	v_cmp_eq_u32_e32 vcc_lo, 9, v35
	s_delay_alu instid0(VALU_DEP_2) | instskip(NEXT) | instid1(VALU_DEP_3)
	v_cndmask_b32_e32 v28, v28, v21, vcc_lo
	v_cndmask_b32_e32 v30, v29, v20, vcc_lo
	v_cmp_eq_u32_e32 vcc_lo, 10, v35
	s_delay_alu instid0(VALU_DEP_2) | instskip(SKIP_1) | instid1(VALU_DEP_1)
	v_dual_cndmask_b32 v29, v28, v23 :: v_dual_cndmask_b32 v28, v30, v22
	s_waitcnt lgkmcnt(0)
	v_fma_f64 v[24:25], v[28:29], v[26:27], v[24:25]
	s_and_saveexec_b32 s7, s4
	s_cbranch_execz .LBB74_242
; %bb.229:
	v_add_nc_u32_e32 v28, 2, v0
	s_mov_b32 s4, exec_lo
	s_delay_alu instid0(VALU_DEP_1) | instskip(SKIP_2) | instid1(VALU_DEP_2)
	v_cmp_eq_u32_e32 vcc_lo, 1, v28
	v_dual_cndmask_b32 v26, v3, v5 :: v_dual_cndmask_b32 v27, v2, v4
	v_cmp_eq_u32_e32 vcc_lo, 2, v28
	v_dual_cndmask_b32 v27, v27, v6 :: v_dual_cndmask_b32 v26, v26, v7
	v_cmp_eq_u32_e32 vcc_lo, 3, v28
	s_delay_alu instid0(VALU_DEP_2) | instskip(SKIP_1) | instid1(VALU_DEP_2)
	v_dual_cndmask_b32 v27, v27, v8 :: v_dual_cndmask_b32 v26, v26, v9
	v_cmp_eq_u32_e32 vcc_lo, 4, v28
	v_dual_cndmask_b32 v27, v27, v10 :: v_dual_cndmask_b32 v26, v26, v11
	v_cmp_eq_u32_e32 vcc_lo, 5, v28
	s_delay_alu instid0(VALU_DEP_2) | instskip(SKIP_1) | instid1(VALU_DEP_2)
	v_dual_cndmask_b32 v27, v27, v12 :: v_dual_cndmask_b32 v26, v26, v13
	v_cmp_eq_u32_e32 vcc_lo, 6, v28
	v_dual_cndmask_b32 v27, v27, v14 :: v_dual_cndmask_b32 v26, v26, v15
	v_cmp_eq_u32_e32 vcc_lo, 7, v28
	s_delay_alu instid0(VALU_DEP_2) | instskip(SKIP_4) | instid1(VALU_DEP_2)
	v_dual_cndmask_b32 v29, v26, v17 :: v_dual_cndmask_b32 v30, v27, v16
	v_cmp_eq_u32_e32 vcc_lo, 8, v28
	ds_load_b64 v[26:27], v90 offset:16
	v_dual_cndmask_b32 v29, v29, v19 :: v_dual_cndmask_b32 v30, v30, v18
	v_cmp_eq_u32_e32 vcc_lo, 9, v28
	v_dual_cndmask_b32 v29, v29, v21 :: v_dual_cndmask_b32 v30, v30, v20
	v_cmp_eq_u32_e32 vcc_lo, 10, v28
	s_delay_alu instid0(VALU_DEP_2) | instskip(SKIP_1) | instid1(VALU_DEP_1)
	v_dual_cndmask_b32 v29, v29, v23 :: v_dual_cndmask_b32 v28, v30, v22
	s_waitcnt lgkmcnt(0)
	v_fma_f64 v[24:25], v[28:29], v[26:27], v[24:25]
	v_cmpx_ne_u32_e32 6, v0
	s_cbranch_execz .LBB74_241
; %bb.230:
	v_add_nc_u32_e32 v28, 3, v0
	s_delay_alu instid0(VALU_DEP_1) | instskip(SKIP_2) | instid1(VALU_DEP_2)
	v_cmp_eq_u32_e32 vcc_lo, 1, v28
	v_dual_cndmask_b32 v26, v3, v5 :: v_dual_cndmask_b32 v27, v2, v4
	v_cmp_eq_u32_e32 vcc_lo, 2, v28
	v_dual_cndmask_b32 v27, v27, v6 :: v_dual_cndmask_b32 v26, v26, v7
	v_cmp_eq_u32_e32 vcc_lo, 3, v28
	s_delay_alu instid0(VALU_DEP_2) | instskip(SKIP_1) | instid1(VALU_DEP_2)
	v_dual_cndmask_b32 v27, v27, v8 :: v_dual_cndmask_b32 v26, v26, v9
	v_cmp_eq_u32_e32 vcc_lo, 4, v28
	v_dual_cndmask_b32 v27, v27, v10 :: v_dual_cndmask_b32 v26, v26, v11
	v_cmp_eq_u32_e32 vcc_lo, 5, v28
	s_delay_alu instid0(VALU_DEP_2) | instskip(SKIP_1) | instid1(VALU_DEP_2)
	v_dual_cndmask_b32 v27, v27, v12 :: v_dual_cndmask_b32 v26, v26, v13
	v_cmp_eq_u32_e32 vcc_lo, 6, v28
	v_dual_cndmask_b32 v27, v27, v14 :: v_dual_cndmask_b32 v26, v26, v15
	v_cmp_eq_u32_e32 vcc_lo, 7, v28
	s_delay_alu instid0(VALU_DEP_2) | instskip(SKIP_4) | instid1(VALU_DEP_2)
	v_dual_cndmask_b32 v29, v26, v17 :: v_dual_cndmask_b32 v30, v27, v16
	v_cmp_eq_u32_e32 vcc_lo, 8, v28
	ds_load_b64 v[26:27], v90 offset:24
	v_dual_cndmask_b32 v29, v29, v19 :: v_dual_cndmask_b32 v30, v30, v18
	v_cmp_eq_u32_e32 vcc_lo, 9, v28
	v_dual_cndmask_b32 v29, v29, v21 :: v_dual_cndmask_b32 v30, v30, v20
	v_cmp_eq_u32_e32 vcc_lo, 10, v28
	s_delay_alu instid0(VALU_DEP_2) | instskip(SKIP_1) | instid1(VALU_DEP_1)
	v_dual_cndmask_b32 v29, v29, v23 :: v_dual_cndmask_b32 v28, v30, v22
	s_waitcnt lgkmcnt(0)
	v_fma_f64 v[24:25], v[28:29], v[26:27], v[24:25]
	s_and_saveexec_b32 s8, s2
	s_cbranch_execz .LBB74_240
; %bb.231:
	v_add_nc_u32_e32 v28, 4, v0
	s_mov_b32 s2, exec_lo
	s_delay_alu instid0(VALU_DEP_1) | instskip(SKIP_2) | instid1(VALU_DEP_2)
	v_cmp_eq_u32_e32 vcc_lo, 1, v28
	v_dual_cndmask_b32 v26, v3, v5 :: v_dual_cndmask_b32 v27, v2, v4
	v_cmp_eq_u32_e32 vcc_lo, 2, v28
	v_dual_cndmask_b32 v27, v27, v6 :: v_dual_cndmask_b32 v26, v26, v7
	v_cmp_eq_u32_e32 vcc_lo, 3, v28
	s_delay_alu instid0(VALU_DEP_2) | instskip(SKIP_1) | instid1(VALU_DEP_2)
	v_dual_cndmask_b32 v27, v27, v8 :: v_dual_cndmask_b32 v26, v26, v9
	v_cmp_eq_u32_e32 vcc_lo, 4, v28
	v_dual_cndmask_b32 v27, v27, v10 :: v_dual_cndmask_b32 v26, v26, v11
	v_cmp_eq_u32_e32 vcc_lo, 5, v28
	s_delay_alu instid0(VALU_DEP_2) | instskip(SKIP_1) | instid1(VALU_DEP_2)
	v_dual_cndmask_b32 v27, v27, v12 :: v_dual_cndmask_b32 v26, v26, v13
	v_cmp_eq_u32_e32 vcc_lo, 6, v28
	v_dual_cndmask_b32 v27, v27, v14 :: v_dual_cndmask_b32 v26, v26, v15
	v_cmp_eq_u32_e32 vcc_lo, 7, v28
	s_delay_alu instid0(VALU_DEP_2) | instskip(SKIP_4) | instid1(VALU_DEP_2)
	v_dual_cndmask_b32 v29, v26, v17 :: v_dual_cndmask_b32 v30, v27, v16
	v_cmp_eq_u32_e32 vcc_lo, 8, v28
	ds_load_b64 v[26:27], v90 offset:32
	v_dual_cndmask_b32 v29, v29, v19 :: v_dual_cndmask_b32 v30, v30, v18
	v_cmp_eq_u32_e32 vcc_lo, 9, v28
	v_dual_cndmask_b32 v29, v29, v21 :: v_dual_cndmask_b32 v30, v30, v20
	v_cmp_eq_u32_e32 vcc_lo, 10, v28
	s_delay_alu instid0(VALU_DEP_2) | instskip(SKIP_1) | instid1(VALU_DEP_1)
	v_dual_cndmask_b32 v29, v29, v23 :: v_dual_cndmask_b32 v28, v30, v22
	s_waitcnt lgkmcnt(0)
	v_fma_f64 v[24:25], v[28:29], v[26:27], v[24:25]
	v_cmpx_ne_u32_e32 4, v0
	s_cbranch_execz .LBB74_239
; %bb.232:
	v_add_nc_u32_e32 v28, 5, v0
	s_delay_alu instid0(VALU_DEP_1) | instskip(SKIP_2) | instid1(VALU_DEP_2)
	v_cmp_eq_u32_e32 vcc_lo, 1, v28
	v_dual_cndmask_b32 v26, v3, v5 :: v_dual_cndmask_b32 v27, v2, v4
	v_cmp_eq_u32_e32 vcc_lo, 2, v28
	v_dual_cndmask_b32 v27, v27, v6 :: v_dual_cndmask_b32 v26, v26, v7
	v_cmp_eq_u32_e32 vcc_lo, 3, v28
	s_delay_alu instid0(VALU_DEP_2) | instskip(SKIP_1) | instid1(VALU_DEP_2)
	v_dual_cndmask_b32 v27, v27, v8 :: v_dual_cndmask_b32 v26, v26, v9
	v_cmp_eq_u32_e32 vcc_lo, 4, v28
	v_dual_cndmask_b32 v27, v27, v10 :: v_dual_cndmask_b32 v26, v26, v11
	v_cmp_eq_u32_e32 vcc_lo, 5, v28
	s_delay_alu instid0(VALU_DEP_2) | instskip(SKIP_1) | instid1(VALU_DEP_2)
	v_dual_cndmask_b32 v27, v27, v12 :: v_dual_cndmask_b32 v26, v26, v13
	v_cmp_eq_u32_e32 vcc_lo, 6, v28
	v_dual_cndmask_b32 v27, v27, v14 :: v_dual_cndmask_b32 v26, v26, v15
	v_cmp_eq_u32_e32 vcc_lo, 7, v28
	s_delay_alu instid0(VALU_DEP_2) | instskip(SKIP_4) | instid1(VALU_DEP_2)
	v_dual_cndmask_b32 v29, v26, v17 :: v_dual_cndmask_b32 v30, v27, v16
	v_cmp_eq_u32_e32 vcc_lo, 8, v28
	ds_load_b64 v[26:27], v90 offset:40
	v_dual_cndmask_b32 v29, v29, v19 :: v_dual_cndmask_b32 v30, v30, v18
	v_cmp_eq_u32_e32 vcc_lo, 9, v28
	v_dual_cndmask_b32 v29, v29, v21 :: v_dual_cndmask_b32 v30, v30, v20
	v_cmp_eq_u32_e32 vcc_lo, 10, v28
	s_delay_alu instid0(VALU_DEP_2) | instskip(SKIP_1) | instid1(VALU_DEP_1)
	v_dual_cndmask_b32 v29, v29, v23 :: v_dual_cndmask_b32 v28, v30, v22
	s_waitcnt lgkmcnt(0)
	v_fma_f64 v[24:25], v[28:29], v[26:27], v[24:25]
	s_and_saveexec_b32 s9, s1
	s_cbranch_execz .LBB74_238
; %bb.233:
	v_add_nc_u32_e32 v28, 6, v0
	s_mov_b32 s1, exec_lo
	s_delay_alu instid0(VALU_DEP_1) | instskip(SKIP_2) | instid1(VALU_DEP_2)
	v_cmp_eq_u32_e32 vcc_lo, 1, v28
	v_dual_cndmask_b32 v26, v3, v5 :: v_dual_cndmask_b32 v27, v2, v4
	v_cmp_eq_u32_e32 vcc_lo, 2, v28
	v_dual_cndmask_b32 v27, v27, v6 :: v_dual_cndmask_b32 v26, v26, v7
	v_cmp_eq_u32_e32 vcc_lo, 3, v28
	s_delay_alu instid0(VALU_DEP_2) | instskip(SKIP_1) | instid1(VALU_DEP_2)
	v_dual_cndmask_b32 v27, v27, v8 :: v_dual_cndmask_b32 v26, v26, v9
	v_cmp_eq_u32_e32 vcc_lo, 4, v28
	v_dual_cndmask_b32 v27, v27, v10 :: v_dual_cndmask_b32 v26, v26, v11
	v_cmp_eq_u32_e32 vcc_lo, 5, v28
	s_delay_alu instid0(VALU_DEP_2) | instskip(SKIP_1) | instid1(VALU_DEP_2)
	v_dual_cndmask_b32 v27, v27, v12 :: v_dual_cndmask_b32 v26, v26, v13
	v_cmp_eq_u32_e32 vcc_lo, 6, v28
	v_dual_cndmask_b32 v27, v27, v14 :: v_dual_cndmask_b32 v26, v26, v15
	v_cmp_eq_u32_e32 vcc_lo, 7, v28
	s_delay_alu instid0(VALU_DEP_2) | instskip(SKIP_4) | instid1(VALU_DEP_2)
	v_dual_cndmask_b32 v29, v26, v17 :: v_dual_cndmask_b32 v30, v27, v16
	v_cmp_eq_u32_e32 vcc_lo, 8, v28
	ds_load_b64 v[26:27], v90 offset:48
	v_dual_cndmask_b32 v29, v29, v19 :: v_dual_cndmask_b32 v30, v30, v18
	v_cmp_eq_u32_e32 vcc_lo, 9, v28
	v_dual_cndmask_b32 v29, v29, v21 :: v_dual_cndmask_b32 v30, v30, v20
	v_cmp_eq_u32_e32 vcc_lo, 10, v28
	s_delay_alu instid0(VALU_DEP_2) | instskip(SKIP_1) | instid1(VALU_DEP_1)
	v_dual_cndmask_b32 v29, v29, v23 :: v_dual_cndmask_b32 v28, v30, v22
	s_waitcnt lgkmcnt(0)
	v_fma_f64 v[24:25], v[28:29], v[26:27], v[24:25]
	v_cmpx_ne_u32_e32 2, v0
	s_cbranch_execz .LBB74_237
; %bb.234:
	v_add_nc_u32_e32 v28, 7, v0
	s_delay_alu instid0(VALU_DEP_1) | instskip(SKIP_2) | instid1(VALU_DEP_2)
	v_cmp_eq_u32_e32 vcc_lo, 1, v28
	v_dual_cndmask_b32 v26, v3, v5 :: v_dual_cndmask_b32 v27, v2, v4
	v_cmp_eq_u32_e32 vcc_lo, 2, v28
	v_dual_cndmask_b32 v27, v27, v6 :: v_dual_cndmask_b32 v26, v26, v7
	v_cmp_eq_u32_e32 vcc_lo, 3, v28
	s_delay_alu instid0(VALU_DEP_2) | instskip(SKIP_1) | instid1(VALU_DEP_2)
	v_dual_cndmask_b32 v27, v27, v8 :: v_dual_cndmask_b32 v26, v26, v9
	v_cmp_eq_u32_e32 vcc_lo, 4, v28
	v_dual_cndmask_b32 v27, v27, v10 :: v_dual_cndmask_b32 v26, v26, v11
	v_cmp_eq_u32_e32 vcc_lo, 5, v28
	s_delay_alu instid0(VALU_DEP_2) | instskip(SKIP_1) | instid1(VALU_DEP_2)
	v_dual_cndmask_b32 v27, v27, v12 :: v_dual_cndmask_b32 v26, v26, v13
	v_cmp_eq_u32_e32 vcc_lo, 6, v28
	v_dual_cndmask_b32 v27, v27, v14 :: v_dual_cndmask_b32 v26, v26, v15
	v_cmp_eq_u32_e32 vcc_lo, 7, v28
	s_delay_alu instid0(VALU_DEP_2) | instskip(SKIP_4) | instid1(VALU_DEP_2)
	v_dual_cndmask_b32 v29, v26, v17 :: v_dual_cndmask_b32 v30, v27, v16
	v_cmp_eq_u32_e32 vcc_lo, 8, v28
	ds_load_b64 v[26:27], v90 offset:56
	v_dual_cndmask_b32 v29, v29, v19 :: v_dual_cndmask_b32 v30, v30, v18
	v_cmp_eq_u32_e32 vcc_lo, 9, v28
	v_dual_cndmask_b32 v21, v29, v21 :: v_dual_cndmask_b32 v20, v30, v20
	v_cmp_eq_u32_e32 vcc_lo, 10, v28
	s_delay_alu instid0(VALU_DEP_2) | instskip(SKIP_1) | instid1(VALU_DEP_1)
	v_dual_cndmask_b32 v21, v21, v23 :: v_dual_cndmask_b32 v20, v20, v22
	s_waitcnt lgkmcnt(0)
	v_fma_f64 v[24:25], v[20:21], v[26:27], v[24:25]
	s_and_saveexec_b32 s10, s0
	s_cbranch_execz .LBB74_236
; %bb.235:
	ds_load_b64 v[20:21], v90 offset:64
	s_waitcnt lgkmcnt(0)
	v_fma_f64 v[24:25], v[18:19], v[20:21], v[24:25]
.LBB74_236:
	s_or_b32 exec_lo, exec_lo, s10
.LBB74_237:
	s_delay_alu instid0(SALU_CYCLE_1)
	s_or_b32 exec_lo, exec_lo, s1
.LBB74_238:
	s_delay_alu instid0(SALU_CYCLE_1)
	s_or_b32 exec_lo, exec_lo, s9
.LBB74_239:
	s_delay_alu instid0(SALU_CYCLE_1)
	s_or_b32 exec_lo, exec_lo, s2
.LBB74_240:
	s_delay_alu instid0(SALU_CYCLE_1)
	s_or_b32 exec_lo, exec_lo, s8
.LBB74_241:
	s_delay_alu instid0(SALU_CYCLE_1)
	s_or_b32 exec_lo, exec_lo, s4
.LBB74_242:
	s_delay_alu instid0(SALU_CYCLE_1)
	s_or_b32 exec_lo, exec_lo, s7
.LBB74_243:
	s_delay_alu instid0(SALU_CYCLE_1)
	s_or_b32 exec_lo, exec_lo, s6
	v_mov_b32_e32 v20, 0
	ds_load_b64 v[20:21], v20 offset:72
	s_waitcnt lgkmcnt(0)
	v_mul_f64 v[20:21], v[24:25], v[20:21]
.LBB74_244:
	s_or_b32 exec_lo, exec_lo, s5
	s_delay_alu instid0(SALU_CYCLE_1)
	s_mov_b32 s1, exec_lo
	ds_store_b64 v90, v[22:23]
	s_waitcnt lgkmcnt(0)
	s_barrier
	buffer_gl0_inv
	v_cmpx_ne_u32_e32 10, v0
	s_cbranch_execz .LBB74_254
; %bb.245:
	v_cmp_ne_u32_e32 vcc_lo, 1, v34
	s_cbranch_vccnz .LBB74_247
; %bb.246:
	v_cmp_eq_u32_e32 vcc_lo, 1, v0
	v_dual_cndmask_b32 v24, v3, v5 :: v_dual_cndmask_b32 v25, v2, v4
	v_cmp_eq_u32_e32 vcc_lo, 2, v0
	s_delay_alu instid0(VALU_DEP_2) | instskip(SKIP_1) | instid1(VALU_DEP_2)
	v_dual_cndmask_b32 v24, v24, v7 :: v_dual_cndmask_b32 v25, v25, v6
	v_cmp_eq_u32_e32 vcc_lo, 3, v0
	v_dual_cndmask_b32 v24, v24, v9 :: v_dual_cndmask_b32 v25, v25, v8
	v_cmp_eq_u32_e32 vcc_lo, 4, v0
	s_delay_alu instid0(VALU_DEP_2) | instskip(SKIP_1) | instid1(VALU_DEP_2)
	v_dual_cndmask_b32 v24, v24, v11 :: v_dual_cndmask_b32 v25, v25, v10
	;; [unrolled: 5-line block ×3, first 2 shown]
	v_cmp_eq_u32_e32 vcc_lo, 7, v0
	v_dual_cndmask_b32 v26, v24, v17 :: v_dual_cndmask_b32 v27, v25, v16
	v_cmp_eq_u32_e32 vcc_lo, 8, v0
	ds_load_b64 v[24:25], v90
	v_dual_cndmask_b32 v26, v26, v19 :: v_dual_cndmask_b32 v27, v27, v18
	v_cmp_eq_u32_e32 vcc_lo, 9, v0
	s_delay_alu instid0(VALU_DEP_2) | instskip(NEXT) | instid1(VALU_DEP_3)
	v_cndmask_b32_e32 v26, v26, v21, vcc_lo
	v_cndmask_b32_e32 v28, v27, v20, vcc_lo
	v_cmp_eq_u32_e32 vcc_lo, 10, v0
	s_delay_alu instid0(VALU_DEP_2) | instskip(SKIP_1) | instid1(VALU_DEP_1)
	v_dual_cndmask_b32 v27, v26, v23 :: v_dual_cndmask_b32 v26, v28, v22
	s_waitcnt lgkmcnt(0)
	v_mul_f64 v[24:25], v[26:27], v[24:25]
	s_cbranch_execz .LBB74_248
	s_branch .LBB74_249
.LBB74_247:
                                        ; implicit-def: $vgpr24_vgpr25
.LBB74_248:
	ds_load_b64 v[24:25], v90
.LBB74_249:
	s_and_saveexec_b32 s2, s3
	s_cbranch_execz .LBB74_253
; %bb.250:
	v_lshl_add_u32 v26, v0, 3, 0x68
	s_mov_b32 s3, 0
.LBB74_251:                             ; =>This Inner Loop Header: Depth=1
	v_add_co_u32 v0, vcc_lo, v0, 1
	v_add_co_ci_u32_e32 v1, vcc_lo, 0, v1, vcc_lo
	s_delay_alu instid0(VALU_DEP_2) | instskip(SKIP_3) | instid1(VALU_DEP_2)
	v_cmp_eq_u32_e32 vcc_lo, 1, v0
	v_cmp_eq_u32_e64 s0, 2, v0
	v_dual_cndmask_b32 v27, v3, v5 :: v_dual_cndmask_b32 v28, v2, v4
	v_cmp_eq_u32_e32 vcc_lo, 3, v0
	v_cndmask_b32_e64 v27, v27, v7, s0
	s_delay_alu instid0(VALU_DEP_3) | instskip(SKIP_1) | instid1(VALU_DEP_2)
	v_cndmask_b32_e64 v28, v28, v6, s0
	v_cmp_eq_u32_e64 s0, 4, v0
	v_dual_cndmask_b32 v27, v27, v9 :: v_dual_cndmask_b32 v28, v28, v8
	v_cmp_eq_u32_e32 vcc_lo, 5, v0
	s_delay_alu instid0(VALU_DEP_2) | instskip(NEXT) | instid1(VALU_DEP_3)
	v_cndmask_b32_e64 v27, v27, v11, s0
	v_cndmask_b32_e64 v28, v28, v10, s0
	v_cmp_eq_u32_e64 s0, 6, v0
	s_delay_alu instid0(VALU_DEP_2) | instskip(SKIP_1) | instid1(VALU_DEP_2)
	v_dual_cndmask_b32 v27, v27, v13 :: v_dual_cndmask_b32 v28, v28, v12
	v_cmp_eq_u32_e32 vcc_lo, 7, v0
	v_cndmask_b32_e64 v29, v27, v15, s0
	s_delay_alu instid0(VALU_DEP_3)
	v_cndmask_b32_e64 v30, v28, v14, s0
	ds_load_b64 v[27:28], v26
	v_cmp_eq_u32_e64 s0, 8, v0
	v_dual_cndmask_b32 v29, v29, v17 :: v_dual_add_nc_u32 v26, 8, v26
	v_cndmask_b32_e32 v30, v30, v16, vcc_lo
	v_cmp_eq_u32_e32 vcc_lo, 9, v0
	s_delay_alu instid0(VALU_DEP_3) | instskip(NEXT) | instid1(VALU_DEP_3)
	v_cndmask_b32_e64 v29, v29, v19, s0
	v_cndmask_b32_e64 v30, v30, v18, s0
	v_cmp_eq_u32_e64 s0, 10, v0
	s_delay_alu instid0(VALU_DEP_3) | instskip(NEXT) | instid1(VALU_DEP_3)
	v_cndmask_b32_e32 v29, v29, v21, vcc_lo
	v_cndmask_b32_e32 v31, v30, v20, vcc_lo
	v_cmp_lt_u32_e32 vcc_lo, 8, v0
	s_delay_alu instid0(VALU_DEP_3) | instskip(NEXT) | instid1(VALU_DEP_3)
	v_cndmask_b32_e64 v30, v29, v23, s0
	v_cndmask_b32_e64 v29, v31, v22, s0
	s_or_b32 s3, vcc_lo, s3
	s_waitcnt lgkmcnt(0)
	s_delay_alu instid0(VALU_DEP_1)
	v_fma_f64 v[24:25], v[29:30], v[27:28], v[24:25]
	s_and_not1_b32 exec_lo, exec_lo, s3
	s_cbranch_execnz .LBB74_251
; %bb.252:
	s_or_b32 exec_lo, exec_lo, s3
.LBB74_253:
	s_delay_alu instid0(SALU_CYCLE_1)
	s_or_b32 exec_lo, exec_lo, s2
	v_mov_b32_e32 v0, 0
	ds_load_b64 v[0:1], v0 offset:80
	s_waitcnt lgkmcnt(0)
	v_mul_f64 v[22:23], v[24:25], v[0:1]
.LBB74_254:
	s_or_b32 exec_lo, exec_lo, s1
	v_dual_mov_b32 v65, v33 :: v_dual_mov_b32 v64, v32
	v_dual_mov_b32 v63, v31 :: v_dual_mov_b32 v62, v30
	v_dual_mov_b32 v61, v29 :: v_dual_mov_b32 v60, v28
	v_dual_mov_b32 v59, v27 :: v_dual_mov_b32 v58, v26
	v_dual_mov_b32 v57, v25 :: v_dual_mov_b32 v56, v24
	v_dual_mov_b32 v55, v23 :: v_dual_mov_b32 v54, v22
	v_dual_mov_b32 v53, v21 :: v_dual_mov_b32 v52, v20
	v_dual_mov_b32 v51, v19 :: v_dual_mov_b32 v50, v18
	v_dual_mov_b32 v49, v17 :: v_dual_mov_b32 v48, v16
	v_dual_mov_b32 v47, v15 :: v_dual_mov_b32 v46, v14
	v_dual_mov_b32 v45, v13 :: v_dual_mov_b32 v44, v12
	v_dual_mov_b32 v43, v11 :: v_dual_mov_b32 v42, v10
	v_dual_mov_b32 v41, v9 :: v_dual_mov_b32 v40, v8
	v_dual_mov_b32 v39, v7 :: v_dual_mov_b32 v38, v6
	v_dual_mov_b32 v37, v5 :: v_dual_mov_b32 v36, v4
	v_dual_mov_b32 v35, v3 :: v_dual_mov_b32 v34, v2
.LBB74_255:
	s_clause 0xa
	global_store_b64 v[72:73], v[34:35], off
	global_store_b64 v[74:75], v[36:37], off
	;; [unrolled: 1-line block ×11, first 2 shown]
.LBB74_256:
	s_nop 0
	s_sendmsg sendmsg(MSG_DEALLOC_VGPRS)
	s_endpgm
	.section	.rodata,"a",@progbits
	.p2align	6, 0x0
	.amdhsa_kernel _ZN9rocsolver6v33100L18trti2_kernel_smallILi11EdPKPdEEv13rocblas_fill_17rocblas_diagonal_T1_iil
		.amdhsa_group_segment_fixed_size 184
		.amdhsa_private_segment_fixed_size 0
		.amdhsa_kernarg_size 32
		.amdhsa_user_sgpr_count 15
		.amdhsa_user_sgpr_dispatch_ptr 0
		.amdhsa_user_sgpr_queue_ptr 0
		.amdhsa_user_sgpr_kernarg_segment_ptr 1
		.amdhsa_user_sgpr_dispatch_id 0
		.amdhsa_user_sgpr_private_segment_size 0
		.amdhsa_wavefront_size32 1
		.amdhsa_uses_dynamic_stack 0
		.amdhsa_enable_private_segment 0
		.amdhsa_system_sgpr_workgroup_id_x 1
		.amdhsa_system_sgpr_workgroup_id_y 0
		.amdhsa_system_sgpr_workgroup_id_z 0
		.amdhsa_system_sgpr_workgroup_info 0
		.amdhsa_system_vgpr_workitem_id 0
		.amdhsa_next_free_vgpr 104
		.amdhsa_next_free_sgpr 16
		.amdhsa_reserve_vcc 1
		.amdhsa_float_round_mode_32 0
		.amdhsa_float_round_mode_16_64 0
		.amdhsa_float_denorm_mode_32 3
		.amdhsa_float_denorm_mode_16_64 3
		.amdhsa_dx10_clamp 1
		.amdhsa_ieee_mode 1
		.amdhsa_fp16_overflow 0
		.amdhsa_workgroup_processor_mode 1
		.amdhsa_memory_ordered 1
		.amdhsa_forward_progress 0
		.amdhsa_shared_vgpr_count 0
		.amdhsa_exception_fp_ieee_invalid_op 0
		.amdhsa_exception_fp_denorm_src 0
		.amdhsa_exception_fp_ieee_div_zero 0
		.amdhsa_exception_fp_ieee_overflow 0
		.amdhsa_exception_fp_ieee_underflow 0
		.amdhsa_exception_fp_ieee_inexact 0
		.amdhsa_exception_int_div_zero 0
	.end_amdhsa_kernel
	.section	.text._ZN9rocsolver6v33100L18trti2_kernel_smallILi11EdPKPdEEv13rocblas_fill_17rocblas_diagonal_T1_iil,"axG",@progbits,_ZN9rocsolver6v33100L18trti2_kernel_smallILi11EdPKPdEEv13rocblas_fill_17rocblas_diagonal_T1_iil,comdat
.Lfunc_end74:
	.size	_ZN9rocsolver6v33100L18trti2_kernel_smallILi11EdPKPdEEv13rocblas_fill_17rocblas_diagonal_T1_iil, .Lfunc_end74-_ZN9rocsolver6v33100L18trti2_kernel_smallILi11EdPKPdEEv13rocblas_fill_17rocblas_diagonal_T1_iil
                                        ; -- End function
	.section	.AMDGPU.csdata,"",@progbits
; Kernel info:
; codeLenInByte = 16036
; NumSgprs: 18
; NumVgprs: 104
; ScratchSize: 0
; MemoryBound: 0
; FloatMode: 240
; IeeeMode: 1
; LDSByteSize: 184 bytes/workgroup (compile time only)
; SGPRBlocks: 2
; VGPRBlocks: 12
; NumSGPRsForWavesPerEU: 18
; NumVGPRsForWavesPerEU: 104
; Occupancy: 12
; WaveLimiterHint : 1
; COMPUTE_PGM_RSRC2:SCRATCH_EN: 0
; COMPUTE_PGM_RSRC2:USER_SGPR: 15
; COMPUTE_PGM_RSRC2:TRAP_HANDLER: 0
; COMPUTE_PGM_RSRC2:TGID_X_EN: 1
; COMPUTE_PGM_RSRC2:TGID_Y_EN: 0
; COMPUTE_PGM_RSRC2:TGID_Z_EN: 0
; COMPUTE_PGM_RSRC2:TIDIG_COMP_CNT: 0
	.section	.text._ZN9rocsolver6v33100L18trti2_kernel_smallILi12EdPKPdEEv13rocblas_fill_17rocblas_diagonal_T1_iil,"axG",@progbits,_ZN9rocsolver6v33100L18trti2_kernel_smallILi12EdPKPdEEv13rocblas_fill_17rocblas_diagonal_T1_iil,comdat
	.globl	_ZN9rocsolver6v33100L18trti2_kernel_smallILi12EdPKPdEEv13rocblas_fill_17rocblas_diagonal_T1_iil ; -- Begin function _ZN9rocsolver6v33100L18trti2_kernel_smallILi12EdPKPdEEv13rocblas_fill_17rocblas_diagonal_T1_iil
	.p2align	8
	.type	_ZN9rocsolver6v33100L18trti2_kernel_smallILi12EdPKPdEEv13rocblas_fill_17rocblas_diagonal_T1_iil,@function
_ZN9rocsolver6v33100L18trti2_kernel_smallILi12EdPKPdEEv13rocblas_fill_17rocblas_diagonal_T1_iil: ; @_ZN9rocsolver6v33100L18trti2_kernel_smallILi12EdPKPdEEv13rocblas_fill_17rocblas_diagonal_T1_iil
; %bb.0:
	s_mov_b32 s2, exec_lo
	v_cmpx_gt_u32_e32 12, v0
	s_cbranch_execz .LBB75_282
; %bb.1:
	s_mov_b32 s4, s15
	s_clause 0x1
	s_load_b64 s[2:3], s[0:1], 0x10
	s_load_b128 s[12:15], s[0:1], 0x0
	s_ashr_i32 s5, s4, 31
	v_lshlrev_b32_e32 v36, 3, v0
	s_lshl_b64 s[0:1], s[4:5], 3
	v_mov_b32_e32 v34, 0
	v_mov_b32_e32 v35, 0xbff00000
	s_waitcnt lgkmcnt(0)
	s_ashr_i32 s5, s2, 31
	s_add_u32 s0, s14, s0
	s_addc_u32 s1, s15, s1
	v_add3_u32 v1, s3, s3, v0
	s_load_b64 s[0:1], s[0:1], 0x0
	s_mov_b32 s4, s2
	s_mov_b32 s6, s3
	s_lshl_b64 s[4:5], s[4:5], 3
	v_add_nc_u32_e32 v3, s3, v1
	v_ashrrev_i32_e32 v2, 31, v1
	s_delay_alu instid0(VALU_DEP_2) | instskip(SKIP_1) | instid1(VALU_DEP_3)
	v_add_nc_u32_e32 v5, s3, v3
	v_ashrrev_i32_e32 v4, 31, v3
	v_lshlrev_b64 v[1:2], 3, v[1:2]
	s_delay_alu instid0(VALU_DEP_3) | instskip(NEXT) | instid1(VALU_DEP_3)
	v_add_nc_u32_e32 v7, s3, v5
	v_lshlrev_b64 v[3:4], 3, v[3:4]
	v_ashrrev_i32_e32 v6, 31, v5
	s_delay_alu instid0(VALU_DEP_3)
	v_add_nc_u32_e32 v9, s3, v7
	s_waitcnt lgkmcnt(0)
	s_add_u32 s0, s0, s4
	s_addc_u32 s1, s1, s5
	v_add_co_u32 v70, vcc_lo, s0, v1
	v_ashrrev_i32_e32 v8, 31, v7
	v_add_co_u32 v72, s2, s0, v36
	s_ashr_i32 s7, s3, 31
	v_add_co_ci_u32_e32 v71, vcc_lo, s1, v2, vcc_lo
	v_lshlrev_b64 v[5:6], 3, v[5:6]
	v_add_co_ci_u32_e64 v73, null, s1, 0, s2
	v_add_co_u32 v68, vcc_lo, s0, v3
	v_add_nc_u32_e32 v14, s3, v9
	s_lshl_b64 s[4:5], s[6:7], 3
	v_add_co_ci_u32_e32 v69, vcc_lo, s1, v4, vcc_lo
	v_lshlrev_b64 v[12:13], 3, v[7:8]
	v_ashrrev_i32_e32 v10, 31, v9
	v_add_co_u32 v74, vcc_lo, v72, s4
	v_add_co_ci_u32_e32 v75, vcc_lo, s5, v73, vcc_lo
	v_add_co_u32 v66, vcc_lo, s0, v5
	v_ashrrev_i32_e32 v15, 31, v14
	v_add_nc_u32_e32 v16, s3, v14
	v_add_co_ci_u32_e32 v67, vcc_lo, s1, v6, vcc_lo
	v_lshlrev_b64 v[1:2], 3, v[9:10]
	v_add_co_u32 v76, vcc_lo, s0, v12
	v_add_co_ci_u32_e32 v77, vcc_lo, s1, v13, vcc_lo
	v_lshlrev_b64 v[12:13], 3, v[14:15]
	v_ashrrev_i32_e32 v17, 31, v16
	v_add_nc_u32_e32 v14, s3, v16
	v_add_co_u32 v78, vcc_lo, s0, v1
	v_add_co_ci_u32_e32 v79, vcc_lo, s1, v2, vcc_lo
	s_delay_alu instid0(VALU_DEP_4) | instskip(NEXT) | instid1(VALU_DEP_4)
	v_lshlrev_b64 v[1:2], 3, v[16:17]
	v_ashrrev_i32_e32 v15, 31, v14
	v_add_nc_u32_e32 v16, s3, v14
	v_add_co_u32 v80, vcc_lo, s0, v12
	v_add_co_ci_u32_e32 v81, vcc_lo, s1, v13, vcc_lo
	s_delay_alu instid0(VALU_DEP_4) | instskip(NEXT) | instid1(VALU_DEP_4)
	v_lshlrev_b64 v[12:13], 3, v[14:15]
	v_add_nc_u32_e32 v14, s3, v16
	v_ashrrev_i32_e32 v17, 31, v16
	v_add_co_u32 v88, vcc_lo, s0, v1
	v_add_co_ci_u32_e32 v89, vcc_lo, s1, v2, vcc_lo
	s_delay_alu instid0(VALU_DEP_4) | instskip(NEXT) | instid1(VALU_DEP_4)
	v_ashrrev_i32_e32 v15, 31, v14
	v_lshlrev_b64 v[1:2], 3, v[16:17]
	v_add_co_u32 v84, vcc_lo, s0, v12
	v_add_co_ci_u32_e32 v85, vcc_lo, s1, v13, vcc_lo
	s_delay_alu instid0(VALU_DEP_4) | instskip(NEXT) | instid1(VALU_DEP_4)
	v_lshlrev_b64 v[12:13], 3, v[14:15]
	v_add_co_u32 v86, vcc_lo, s0, v1
	v_add_co_ci_u32_e32 v87, vcc_lo, s1, v2, vcc_lo
	s_clause 0x3
	global_load_b64 v[4:5], v[74:75], off
	global_load_b64 v[6:7], v[70:71], off
	;; [unrolled: 1-line block ×4, first 2 shown]
	v_add_co_u32 v82, vcc_lo, s0, v12
	v_add_co_ci_u32_e32 v83, vcc_lo, s1, v13, vcc_lo
	v_mov_b32_e32 v1, 0
	s_clause 0x7
	global_load_b64 v[12:13], v[76:77], off
	global_load_b64 v[14:15], v[78:79], off
	;; [unrolled: 1-line block ×6, first 2 shown]
	global_load_b64 v[2:3], v36, s[0:1]
	global_load_b64 v[24:25], v[82:83], off
	v_cmp_eq_u32_e64 s0, 0, v0
	s_cmpk_lg_i32 s13, 0x84
	s_cselect_b32 s14, -1, 0
	s_cmpk_eq_i32 s13, 0x84
	s_cbranch_scc1 .LBB75_3
; %bb.2:
	v_cmp_eq_u32_e64 s1, 1, v0
	v_cmp_eq_u32_e64 s2, 2, v0
	;; [unrolled: 1-line block ×5, first 2 shown]
	s_waitcnt vmcnt(1)
	v_cndmask_b32_e64 v26, v3, v5, s1
	v_cndmask_b32_e64 v27, v2, v4, s1
	v_cmp_eq_u32_e64 s6, 6, v0
	v_cmp_eq_u32_e64 s7, 7, v0
	;; [unrolled: 1-line block ×3, first 2 shown]
	v_cndmask_b32_e64 v26, v26, v7, s2
	v_cndmask_b32_e64 v27, v27, v6, s2
	v_cmp_eq_u32_e64 s9, 9, v0
	v_cmp_eq_u32_e64 s10, 10, v0
	;; [unrolled: 1-line block ×3, first 2 shown]
	v_cndmask_b32_e64 v26, v26, v9, s3
	v_cndmask_b32_e64 v27, v27, v8, s3
	s_delay_alu instid0(VALU_DEP_2) | instskip(NEXT) | instid1(VALU_DEP_2)
	v_cndmask_b32_e64 v26, v26, v11, s4
	v_cndmask_b32_e64 v27, v27, v10, s4
	s_delay_alu instid0(VALU_DEP_2) | instskip(NEXT) | instid1(VALU_DEP_2)
	v_cndmask_b32_e64 v26, v26, v13, s5
	v_cndmask_b32_e64 v27, v27, v12, s5
	s_delay_alu instid0(VALU_DEP_2) | instskip(NEXT) | instid1(VALU_DEP_2)
	v_cndmask_b32_e64 v26, v26, v15, s6
	v_cndmask_b32_e64 v27, v27, v14, s6
	s_delay_alu instid0(VALU_DEP_2) | instskip(NEXT) | instid1(VALU_DEP_2)
	v_cndmask_b32_e64 v26, v26, v17, s7
	v_cndmask_b32_e64 v27, v27, v16, s7
	s_delay_alu instid0(VALU_DEP_2) | instskip(NEXT) | instid1(VALU_DEP_2)
	v_cndmask_b32_e64 v26, v26, v19, s8
	v_cndmask_b32_e64 v27, v27, v18, s8
	s_delay_alu instid0(VALU_DEP_2) | instskip(NEXT) | instid1(VALU_DEP_2)
	v_cndmask_b32_e64 v26, v26, v21, s9
	v_cndmask_b32_e64 v27, v27, v20, s9
	s_delay_alu instid0(VALU_DEP_2) | instskip(NEXT) | instid1(VALU_DEP_2)
	v_cndmask_b32_e64 v26, v26, v23, s10
	v_cndmask_b32_e64 v28, v27, v22, s10
	s_waitcnt vmcnt(0)
	s_delay_alu instid0(VALU_DEP_2) | instskip(NEXT) | instid1(VALU_DEP_2)
	v_cndmask_b32_e64 v27, v26, v25, s11
	v_cndmask_b32_e64 v26, v28, v24, s11
	s_delay_alu instid0(VALU_DEP_1) | instskip(SKIP_1) | instid1(VALU_DEP_2)
	v_div_scale_f64 v[28:29], null, v[26:27], v[26:27], 1.0
	v_div_scale_f64 v[34:35], vcc_lo, 1.0, v[26:27], 1.0
	v_rcp_f64_e32 v[30:31], v[28:29]
	s_waitcnt_depctr 0xfff
	v_fma_f64 v[32:33], -v[28:29], v[30:31], 1.0
	s_delay_alu instid0(VALU_DEP_1) | instskip(NEXT) | instid1(VALU_DEP_1)
	v_fma_f64 v[30:31], v[30:31], v[32:33], v[30:31]
	v_fma_f64 v[32:33], -v[28:29], v[30:31], 1.0
	s_delay_alu instid0(VALU_DEP_1) | instskip(NEXT) | instid1(VALU_DEP_1)
	v_fma_f64 v[30:31], v[30:31], v[32:33], v[30:31]
	v_mul_f64 v[32:33], v[34:35], v[30:31]
	s_delay_alu instid0(VALU_DEP_1) | instskip(NEXT) | instid1(VALU_DEP_1)
	v_fma_f64 v[28:29], -v[28:29], v[32:33], v[34:35]
	v_div_fmas_f64 v[28:29], v[28:29], v[30:31], v[32:33]
	s_delay_alu instid0(VALU_DEP_1) | instskip(NEXT) | instid1(VALU_DEP_1)
	v_div_fixup_f64 v[34:35], v[28:29], v[26:27], 1.0
	v_cndmask_b32_e64 v25, v25, v35, s11
	s_delay_alu instid0(VALU_DEP_2)
	v_cndmask_b32_e64 v24, v24, v34, s11
	v_cndmask_b32_e64 v23, v23, v35, s10
	;; [unrolled: 1-line block ×23, first 2 shown]
	v_xor_b32_e32 v35, 0x80000000, v35
.LBB75_3:
	v_add_nc_u32_e32 v92, 0x60, v36
	s_cmpk_eq_i32 s12, 0x79
	ds_store_b64 v36, v[34:35]
	s_cbranch_scc1 .LBB75_7
; %bb.4:
	s_waitcnt vmcnt(0)
	v_dual_mov_b32 v65, v33 :: v_dual_mov_b32 v64, v32
	v_dual_mov_b32 v63, v31 :: v_dual_mov_b32 v62, v30
	;; [unrolled: 1-line block ×16, first 2 shown]
	v_cmp_eq_u32_e64 s0, 11, v0
	ds_store_b64 v92, v[22:23]
	s_waitcnt lgkmcnt(0)
	s_barrier
	buffer_gl0_inv
	s_and_saveexec_b32 s1, s0
	s_cbranch_execz .LBB75_11
; %bb.5:
	s_and_b32 vcc_lo, exec_lo, s14
	s_cbranch_vccz .LBB75_8
; %bb.6:
	v_cmp_eq_u32_e32 vcc_lo, 1, v0
	v_dual_cndmask_b32 v34, v3, v5 :: v_dual_cndmask_b32 v35, v2, v4
	v_cmp_eq_u32_e32 vcc_lo, 2, v0
	s_delay_alu instid0(VALU_DEP_2) | instskip(SKIP_1) | instid1(VALU_DEP_2)
	v_dual_cndmask_b32 v34, v34, v7 :: v_dual_cndmask_b32 v35, v35, v6
	v_cmp_eq_u32_e32 vcc_lo, 3, v0
	v_dual_cndmask_b32 v34, v34, v9 :: v_dual_cndmask_b32 v35, v35, v8
	v_cmp_eq_u32_e32 vcc_lo, 4, v0
	s_delay_alu instid0(VALU_DEP_2) | instskip(SKIP_1) | instid1(VALU_DEP_2)
	v_dual_cndmask_b32 v34, v34, v11 :: v_dual_cndmask_b32 v35, v35, v10
	;; [unrolled: 5-line block ×3, first 2 shown]
	v_cmp_eq_u32_e32 vcc_lo, 7, v0
	v_dual_cndmask_b32 v34, v34, v17 :: v_dual_cndmask_b32 v35, v35, v16
	v_cmp_eq_u32_e32 vcc_lo, 8, v0
	s_delay_alu instid0(VALU_DEP_2) | instskip(SKIP_4) | instid1(VALU_DEP_2)
	v_dual_cndmask_b32 v36, v34, v19 :: v_dual_cndmask_b32 v37, v35, v18
	v_cmp_eq_u32_e32 vcc_lo, 9, v0
	ds_load_b64 v[34:35], v92
	v_dual_cndmask_b32 v36, v36, v21 :: v_dual_cndmask_b32 v37, v37, v20
	v_cmp_eq_u32_e32 vcc_lo, 10, v0
	v_cndmask_b32_e32 v36, v36, v23, vcc_lo
	s_delay_alu instid0(VALU_DEP_3) | instskip(SKIP_1) | instid1(VALU_DEP_2)
	v_cndmask_b32_e32 v38, v37, v22, vcc_lo
	v_cmp_eq_u32_e32 vcc_lo, 11, v0
	v_dual_cndmask_b32 v37, v36, v25 :: v_dual_cndmask_b32 v36, v38, v24
	s_waitcnt lgkmcnt(0)
	s_delay_alu instid0(VALU_DEP_1)
	v_mul_f64 v[34:35], v[36:37], v[34:35]
	s_cbranch_execz .LBB75_9
	s_branch .LBB75_10
.LBB75_7:
                                        ; implicit-def: $vgpr34_vgpr35_vgpr36_vgpr37_vgpr38_vgpr39_vgpr40_vgpr41_vgpr42_vgpr43_vgpr44_vgpr45_vgpr46_vgpr47_vgpr48_vgpr49_vgpr50_vgpr51_vgpr52_vgpr53_vgpr54_vgpr55_vgpr56_vgpr57_vgpr58_vgpr59_vgpr60_vgpr61_vgpr62_vgpr63_vgpr64_vgpr65
	s_cbranch_execnz .LBB75_164
	s_branch .LBB75_281
.LBB75_8:
                                        ; implicit-def: $vgpr34_vgpr35
.LBB75_9:
	ds_load_b64 v[34:35], v92
.LBB75_10:
	v_mov_b32_e32 v36, 0
	v_dual_mov_b32 v38, v6 :: v_dual_mov_b32 v41, v9
	v_dual_mov_b32 v40, v8 :: v_dual_mov_b32 v43, v11
	ds_load_b64 v[36:37], v36 offset:80
	v_dual_mov_b32 v42, v10 :: v_dual_mov_b32 v45, v13
	v_dual_mov_b32 v44, v12 :: v_dual_mov_b32 v47, v15
	;; [unrolled: 1-line block ×7, first 2 shown]
	s_waitcnt lgkmcnt(0)
	v_mul_f64 v[54:55], v[34:35], v[36:37]
	v_dual_mov_b32 v34, v2 :: v_dual_mov_b32 v37, v5
	v_dual_mov_b32 v35, v3 :: v_dual_mov_b32 v36, v4
.LBB75_11:
	s_or_b32 exec_lo, exec_lo, s1
	v_cmp_lt_u32_e64 s1, 9, v0
	ds_store_b64 v92, v[52:53]
	s_waitcnt lgkmcnt(0)
	s_barrier
	buffer_gl0_inv
	s_and_saveexec_b32 s2, s1
	s_cbranch_execz .LBB75_19
; %bb.12:
	s_and_not1_b32 vcc_lo, exec_lo, s14
	s_cbranch_vccnz .LBB75_14
; %bb.13:
	v_cmp_eq_u32_e32 vcc_lo, 1, v0
	v_dual_cndmask_b32 v58, v35, v37 :: v_dual_cndmask_b32 v59, v34, v36
	v_cmp_eq_u32_e32 vcc_lo, 2, v0
	s_delay_alu instid0(VALU_DEP_2) | instskip(SKIP_1) | instid1(VALU_DEP_2)
	v_dual_cndmask_b32 v58, v58, v39 :: v_dual_cndmask_b32 v59, v59, v38
	v_cmp_eq_u32_e32 vcc_lo, 3, v0
	v_dual_cndmask_b32 v58, v58, v41 :: v_dual_cndmask_b32 v59, v59, v40
	v_cmp_eq_u32_e32 vcc_lo, 4, v0
	s_delay_alu instid0(VALU_DEP_2) | instskip(SKIP_1) | instid1(VALU_DEP_2)
	v_dual_cndmask_b32 v58, v58, v43 :: v_dual_cndmask_b32 v59, v59, v42
	;; [unrolled: 5-line block ×3, first 2 shown]
	v_cmp_eq_u32_e32 vcc_lo, 7, v0
	v_dual_cndmask_b32 v58, v58, v49 :: v_dual_cndmask_b32 v59, v59, v48
	v_cmp_eq_u32_e32 vcc_lo, 8, v0
	s_delay_alu instid0(VALU_DEP_2) | instskip(SKIP_4) | instid1(VALU_DEP_2)
	v_dual_cndmask_b32 v60, v58, v51 :: v_dual_cndmask_b32 v61, v59, v50
	v_cmp_eq_u32_e32 vcc_lo, 9, v0
	ds_load_b64 v[58:59], v92
	v_dual_cndmask_b32 v53, v60, v53 :: v_dual_cndmask_b32 v52, v61, v52
	v_cmp_eq_u32_e32 vcc_lo, 10, v0
	v_dual_cndmask_b32 v53, v53, v55 :: v_dual_cndmask_b32 v52, v52, v54
	v_cmp_eq_u32_e32 vcc_lo, 11, v0
	s_delay_alu instid0(VALU_DEP_2) | instskip(SKIP_1) | instid1(VALU_DEP_1)
	v_dual_cndmask_b32 v53, v53, v57 :: v_dual_cndmask_b32 v52, v52, v56
	s_waitcnt lgkmcnt(0)
	v_mul_f64 v[52:53], v[52:53], v[58:59]
	s_cbranch_execz .LBB75_15
	s_branch .LBB75_16
.LBB75_14:
                                        ; implicit-def: $vgpr52_vgpr53
.LBB75_15:
	ds_load_b64 v[52:53], v92
.LBB75_16:
	s_and_saveexec_b32 s3, s0
	s_cbranch_execz .LBB75_18
; %bb.17:
	v_mov_b32_e32 v58, 0
	ds_load_b64 v[58:59], v58 offset:176
	s_waitcnt lgkmcnt(0)
	v_fma_f64 v[52:53], v[54:55], v[58:59], v[52:53]
.LBB75_18:
	s_or_b32 exec_lo, exec_lo, s3
	v_mov_b32_e32 v58, 0
	ds_load_b64 v[58:59], v58 offset:72
	s_waitcnt lgkmcnt(0)
	v_mul_f64 v[52:53], v[52:53], v[58:59]
.LBB75_19:
	s_or_b32 exec_lo, exec_lo, s2
	v_cmp_lt_u32_e64 s0, 8, v0
	ds_store_b64 v92, v[50:51]
	s_waitcnt lgkmcnt(0)
	s_barrier
	buffer_gl0_inv
	s_and_saveexec_b32 s4, s0
	s_cbranch_execz .LBB75_35
; %bb.20:
	s_and_not1_b32 vcc_lo, exec_lo, s14
	s_cbranch_vccnz .LBB75_22
; %bb.21:
	v_cmp_eq_u32_e32 vcc_lo, 1, v0
	v_dual_cndmask_b32 v90, v35, v37 :: v_dual_cndmask_b32 v91, v34, v36
	v_cmp_eq_u32_e32 vcc_lo, 2, v0
	s_delay_alu instid0(VALU_DEP_2) | instskip(SKIP_1) | instid1(VALU_DEP_2)
	v_dual_cndmask_b32 v90, v90, v39 :: v_dual_cndmask_b32 v91, v91, v38
	v_cmp_eq_u32_e32 vcc_lo, 3, v0
	v_dual_cndmask_b32 v90, v90, v41 :: v_dual_cndmask_b32 v91, v91, v40
	v_cmp_eq_u32_e32 vcc_lo, 4, v0
	s_delay_alu instid0(VALU_DEP_2) | instskip(SKIP_1) | instid1(VALU_DEP_2)
	v_dual_cndmask_b32 v90, v90, v43 :: v_dual_cndmask_b32 v91, v91, v42
	;; [unrolled: 5-line block ×3, first 2 shown]
	v_cmp_eq_u32_e32 vcc_lo, 7, v0
	v_dual_cndmask_b32 v90, v90, v49 :: v_dual_cndmask_b32 v91, v91, v48
	v_cmp_eq_u32_e32 vcc_lo, 8, v0
	s_delay_alu instid0(VALU_DEP_2) | instskip(SKIP_4) | instid1(VALU_DEP_2)
	v_dual_cndmask_b32 v93, v90, v51 :: v_dual_cndmask_b32 v94, v91, v50
	v_cmp_eq_u32_e32 vcc_lo, 9, v0
	ds_load_b64 v[90:91], v92
	v_dual_cndmask_b32 v93, v93, v53 :: v_dual_cndmask_b32 v94, v94, v52
	v_cmp_eq_u32_e32 vcc_lo, 10, v0
	v_cndmask_b32_e32 v93, v93, v55, vcc_lo
	s_delay_alu instid0(VALU_DEP_3) | instskip(SKIP_1) | instid1(VALU_DEP_2)
	v_cndmask_b32_e32 v95, v94, v54, vcc_lo
	v_cmp_eq_u32_e32 vcc_lo, 11, v0
	v_dual_cndmask_b32 v94, v93, v57 :: v_dual_cndmask_b32 v93, v95, v56
	s_waitcnt lgkmcnt(0)
	s_delay_alu instid0(VALU_DEP_1)
	v_mul_f64 v[90:91], v[93:94], v[90:91]
	s_cbranch_execz .LBB75_23
	s_branch .LBB75_24
.LBB75_22:
                                        ; implicit-def: $vgpr90_vgpr91
.LBB75_23:
	ds_load_b64 v[90:91], v92
.LBB75_24:
	s_and_saveexec_b32 s5, s1
	s_cbranch_execz .LBB75_34
; %bb.25:
	v_dual_mov_b32 v95, 9 :: v_dual_add_nc_u32 v94, -10, v0
	v_add_nc_u32_e32 v93, -9, v0
	s_mov_b32 s1, exec_lo
	s_delay_alu instid0(VALU_DEP_2)
	v_cmpx_lt_u32_e32 6, v94
	s_cbranch_execz .LBB75_29
; %bb.26:
	s_delay_alu instid0(VALU_DEP_2) | instskip(SKIP_3) | instid1(VALU_DEP_1)
	v_and_b32_e32 v94, -8, v93
	s_mov_b32 s6, 0
	s_mov_b64 s[2:3], 16
	s_movk_i32 s7, 0xa8
	v_sub_nc_u32_e32 v94, 0, v94
.LBB75_27:                              ; =>This Inner Loop Header: Depth=1
	v_mov_b32_e32 v105, s7
	s_lshl_b32 s8, s2, 1
	s_delay_alu instid0(SALU_CYCLE_1)
	s_add_i32 m0, s8, -13
	v_movrels_b32_e32 v104, v34
	ds_load_2addr_b64 v[95:98], v105 offset1:1
	ds_load_2addr_b64 v[99:102], v105 offset0:2 offset1:3
	s_add_i32 m0, s8, -14
	v_movrels_b32_e32 v103, v34
	s_add_i32 m0, s8, -11
	s_waitcnt lgkmcnt(1)
	s_delay_alu instid0(VALU_DEP_1) | instskip(SKIP_4) | instid1(VALU_DEP_1)
	v_fma_f64 v[90:91], v[103:104], v[95:96], v[90:91]
	v_movrels_b32_e32 v96, v34
	s_add_i32 m0, s8, -12
	v_movrels_b32_e32 v95, v34
	s_add_i32 m0, s8, -9
	v_fma_f64 v[90:91], v[95:96], v[97:98], v[90:91]
	v_movrels_b32_e32 v96, v34
	s_add_i32 m0, s8, -10
	v_movrels_b32_e32 v95, v34
	s_add_i32 m0, s8, -7
	s_waitcnt lgkmcnt(0)
	s_delay_alu instid0(VALU_DEP_1)
	v_fma_f64 v[90:91], v[95:96], v[99:100], v[90:91]
	v_movrels_b32_e32 v96, v34
	s_add_i32 m0, s8, -8
	v_movrels_b32_e32 v95, v34
	s_add_i32 m0, s8, -5
	;; [unrolled: 2-line block ×4, first 2 shown]
	v_fma_f64 v[90:91], v[95:96], v[101:102], v[90:91]
	ds_load_2addr_b64 v[95:98], v105 offset0:4 offset1:5
	ds_load_2addr_b64 v[99:102], v105 offset0:6 offset1:7
	s_waitcnt lgkmcnt(1)
	v_fma_f64 v[90:91], v[103:104], v[95:96], v[90:91]
	v_movrels_b32_e32 v96, v34
	s_add_i32 m0, s8, -4
	v_movrels_b32_e32 v95, v34
	s_add_i32 m0, s8, -1
	s_delay_alu instid0(VALU_DEP_1)
	v_fma_f64 v[90:91], v[95:96], v[97:98], v[90:91]
	v_movrels_b32_e32 v96, v34
	s_add_i32 m0, s8, -2
	s_add_u32 s2, s2, 8
	v_movrels_b32_e32 v95, v34
	s_mov_b32 m0, s8
	s_addc_u32 s3, s3, 0
	s_add_i32 s8, s2, -7
	s_add_i32 s7, s7, 64
	s_waitcnt lgkmcnt(0)
	s_delay_alu instid0(VALU_DEP_3) | instskip(SKIP_2) | instid1(VALU_DEP_1)
	v_fma_f64 v[90:91], v[95:96], v[99:100], v[90:91]
	v_movrels_b32_e32 v96, v35
	v_movrels_b32_e32 v95, v34
	v_fma_f64 v[90:91], v[95:96], v[101:102], v[90:91]
	v_add_nc_u32_e32 v95, s2, v94
	s_delay_alu instid0(VALU_DEP_1) | instskip(SKIP_2) | instid1(SALU_CYCLE_1)
	v_cmp_eq_u32_e32 vcc_lo, 16, v95
	v_mov_b32_e32 v95, s8
	s_or_b32 s6, vcc_lo, s6
	s_and_not1_b32 exec_lo, exec_lo, s6
	s_cbranch_execnz .LBB75_27
; %bb.28:
	s_or_b32 exec_lo, exec_lo, s6
.LBB75_29:
	s_delay_alu instid0(SALU_CYCLE_1) | instskip(SKIP_3) | instid1(VALU_DEP_1)
	s_or_b32 exec_lo, exec_lo, s1
	v_and_b32_e32 v58, 7, v93
	s_mov_b32 s3, 0
	s_mov_b32 s2, exec_lo
	v_cmpx_ne_u32_e32 0, v58
	s_cbranch_execz .LBB75_33
; %bb.30:
	v_lshl_add_u32 v59, v95, 3, 0x60
	v_mov_b32_e32 v60, 0
.LBB75_31:                              ; =>This Inner Loop Header: Depth=1
	v_cmp_eq_u32_e32 vcc_lo, 1, v95
	v_cmp_eq_u32_e64 s1, 2, v95
	v_dual_cndmask_b32 v61, v35, v37 :: v_dual_add_nc_u32 v58, -1, v58
	v_cndmask_b32_e32 v62, v34, v36, vcc_lo
	v_cmp_eq_u32_e32 vcc_lo, 3, v95
	s_delay_alu instid0(VALU_DEP_3) | instskip(NEXT) | instid1(VALU_DEP_3)
	v_cndmask_b32_e64 v61, v61, v39, s1
	v_cndmask_b32_e64 v62, v62, v38, s1
	v_cmp_eq_u32_e64 s1, 4, v95
	s_delay_alu instid0(VALU_DEP_2) | instskip(SKIP_1) | instid1(VALU_DEP_2)
	v_dual_cndmask_b32 v61, v61, v41 :: v_dual_cndmask_b32 v62, v62, v40
	v_cmp_eq_u32_e32 vcc_lo, 5, v95
	v_cndmask_b32_e64 v61, v61, v43, s1
	s_delay_alu instid0(VALU_DEP_3) | instskip(SKIP_1) | instid1(VALU_DEP_2)
	v_cndmask_b32_e64 v62, v62, v42, s1
	v_cmp_eq_u32_e64 s1, 6, v95
	v_dual_cndmask_b32 v61, v61, v45 :: v_dual_cndmask_b32 v62, v62, v44
	v_cmp_eq_u32_e32 vcc_lo, 7, v95
	s_delay_alu instid0(VALU_DEP_2) | instskip(NEXT) | instid1(VALU_DEP_3)
	v_cndmask_b32_e64 v61, v61, v47, s1
	v_cndmask_b32_e64 v62, v62, v46, s1
	v_cmp_eq_u32_e64 s1, 8, v95
	s_delay_alu instid0(VALU_DEP_2)
	v_dual_cndmask_b32 v63, v61, v49 :: v_dual_cndmask_b32 v64, v62, v48
	ds_load_b64 v[61:62], v59
	v_cmp_eq_u32_e32 vcc_lo, 9, v95
	v_add_nc_u32_e32 v59, 8, v59
	v_cndmask_b32_e64 v63, v63, v51, s1
	v_cndmask_b32_e64 v64, v64, v50, s1
	v_cmp_eq_u32_e64 s1, 10, v95
	s_delay_alu instid0(VALU_DEP_2) | instskip(SKIP_1) | instid1(VALU_DEP_2)
	v_dual_cndmask_b32 v63, v63, v53 :: v_dual_cndmask_b32 v64, v64, v52
	v_cmp_eq_u32_e32 vcc_lo, 11, v95
	v_cndmask_b32_e64 v63, v63, v55, s1
	s_delay_alu instid0(VALU_DEP_3) | instskip(SKIP_1) | instid1(VALU_DEP_1)
	v_cndmask_b32_e64 v65, v64, v54, s1
	v_add_co_u32 v95, s1, v95, 1
	v_add_co_ci_u32_e64 v60, s1, 0, v60, s1
	s_delay_alu instid0(VALU_DEP_3) | instskip(SKIP_2) | instid1(VALU_DEP_2)
	v_dual_cndmask_b32 v64, v63, v57 :: v_dual_cndmask_b32 v63, v65, v56
	v_cmp_eq_u32_e32 vcc_lo, 0, v58
	s_waitcnt lgkmcnt(0)
	v_fma_f64 v[90:91], v[63:64], v[61:62], v[90:91]
	s_or_b32 s3, vcc_lo, s3
	s_delay_alu instid0(SALU_CYCLE_1)
	s_and_not1_b32 exec_lo, exec_lo, s3
	s_cbranch_execnz .LBB75_31
; %bb.32:
	s_or_b32 exec_lo, exec_lo, s3
.LBB75_33:
	s_delay_alu instid0(SALU_CYCLE_1)
	s_or_b32 exec_lo, exec_lo, s2
.LBB75_34:
	s_delay_alu instid0(SALU_CYCLE_1)
	s_or_b32 exec_lo, exec_lo, s5
	v_mov_b32_e32 v50, 0
	ds_load_b64 v[50:51], v50 offset:64
	s_waitcnt lgkmcnt(0)
	v_mul_f64 v[50:51], v[90:91], v[50:51]
.LBB75_35:
	s_or_b32 exec_lo, exec_lo, s4
	v_cmp_lt_u32_e64 s1, 7, v0
	ds_store_b64 v92, v[48:49]
	s_waitcnt lgkmcnt(0)
	s_barrier
	buffer_gl0_inv
	s_and_saveexec_b32 s4, s1
	s_cbranch_execz .LBB75_51
; %bb.36:
	s_and_not1_b32 vcc_lo, exec_lo, s14
	s_cbranch_vccnz .LBB75_38
; %bb.37:
	v_cmp_eq_u32_e32 vcc_lo, 1, v0
	v_dual_cndmask_b32 v90, v35, v37 :: v_dual_cndmask_b32 v91, v34, v36
	v_cmp_eq_u32_e32 vcc_lo, 2, v0
	s_delay_alu instid0(VALU_DEP_2) | instskip(SKIP_1) | instid1(VALU_DEP_2)
	v_dual_cndmask_b32 v90, v90, v39 :: v_dual_cndmask_b32 v91, v91, v38
	v_cmp_eq_u32_e32 vcc_lo, 3, v0
	v_dual_cndmask_b32 v90, v90, v41 :: v_dual_cndmask_b32 v91, v91, v40
	v_cmp_eq_u32_e32 vcc_lo, 4, v0
	s_delay_alu instid0(VALU_DEP_2) | instskip(SKIP_1) | instid1(VALU_DEP_2)
	v_dual_cndmask_b32 v90, v90, v43 :: v_dual_cndmask_b32 v91, v91, v42
	;; [unrolled: 5-line block ×3, first 2 shown]
	v_cmp_eq_u32_e32 vcc_lo, 7, v0
	v_dual_cndmask_b32 v90, v90, v49 :: v_dual_cndmask_b32 v91, v91, v48
	v_cmp_eq_u32_e32 vcc_lo, 8, v0
	s_delay_alu instid0(VALU_DEP_2) | instskip(SKIP_4) | instid1(VALU_DEP_2)
	v_dual_cndmask_b32 v93, v90, v51 :: v_dual_cndmask_b32 v94, v91, v50
	v_cmp_eq_u32_e32 vcc_lo, 9, v0
	ds_load_b64 v[90:91], v92
	v_dual_cndmask_b32 v93, v93, v53 :: v_dual_cndmask_b32 v94, v94, v52
	v_cmp_eq_u32_e32 vcc_lo, 10, v0
	v_cndmask_b32_e32 v93, v93, v55, vcc_lo
	s_delay_alu instid0(VALU_DEP_3) | instskip(SKIP_1) | instid1(VALU_DEP_2)
	v_cndmask_b32_e32 v95, v94, v54, vcc_lo
	v_cmp_eq_u32_e32 vcc_lo, 11, v0
	v_dual_cndmask_b32 v94, v93, v57 :: v_dual_cndmask_b32 v93, v95, v56
	s_waitcnt lgkmcnt(0)
	s_delay_alu instid0(VALU_DEP_1)
	v_mul_f64 v[90:91], v[93:94], v[90:91]
	s_cbranch_execz .LBB75_39
	s_branch .LBB75_40
.LBB75_38:
                                        ; implicit-def: $vgpr90_vgpr91
.LBB75_39:
	ds_load_b64 v[90:91], v92
.LBB75_40:
	s_and_saveexec_b32 s5, s0
	s_cbranch_execz .LBB75_50
; %bb.41:
	v_add_nc_u32_e32 v93, -9, v0
	s_delay_alu instid0(VALU_DEP_1)
	v_cmp_lt_u32_e32 vcc_lo, 6, v93
	v_mov_b32_e32 v93, 8
	s_and_saveexec_b32 s0, vcc_lo
	s_cbranch_execz .LBB75_45
; %bb.42:
	v_and_b32_e32 v93, 8, v0
	s_mov_b32 s6, 0
	s_mov_b64 s[2:3], 15
	s_movk_i32 s7, 0xa0
	s_delay_alu instid0(VALU_DEP_1)
	v_sub_nc_u32_e32 v94, 0, v93
.LBB75_43:                              ; =>This Inner Loop Header: Depth=1
	v_mov_b32_e32 v93, s7
	s_lshl_b32 s8, s2, 1
	s_delay_alu instid0(SALU_CYCLE_1)
	s_add_i32 m0, s8, -13
	v_movrels_b32_e32 v104, v34
	ds_load_b128 v[95:98], v93
	ds_load_b128 v[99:102], v93 offset:16
	s_add_i32 m0, s8, -14
	v_movrels_b32_e32 v103, v34
	s_add_i32 m0, s8, -11
	s_waitcnt lgkmcnt(1)
	s_delay_alu instid0(VALU_DEP_1) | instskip(SKIP_4) | instid1(VALU_DEP_1)
	v_fma_f64 v[90:91], v[103:104], v[95:96], v[90:91]
	v_movrels_b32_e32 v96, v34
	s_add_i32 m0, s8, -12
	v_movrels_b32_e32 v95, v34
	s_add_i32 m0, s8, -9
	v_fma_f64 v[90:91], v[95:96], v[97:98], v[90:91]
	v_movrels_b32_e32 v96, v34
	s_add_i32 m0, s8, -10
	v_movrels_b32_e32 v95, v34
	s_add_i32 m0, s8, -7
	s_waitcnt lgkmcnt(0)
	s_delay_alu instid0(VALU_DEP_1)
	v_fma_f64 v[90:91], v[95:96], v[99:100], v[90:91]
	v_movrels_b32_e32 v96, v34
	s_add_i32 m0, s8, -8
	v_movrels_b32_e32 v95, v34
	s_add_i32 m0, s8, -5
	;; [unrolled: 2-line block ×4, first 2 shown]
	v_fma_f64 v[90:91], v[95:96], v[101:102], v[90:91]
	ds_load_b128 v[95:98], v93 offset:32
	ds_load_b128 v[99:102], v93 offset:48
	s_waitcnt lgkmcnt(1)
	v_fma_f64 v[90:91], v[103:104], v[95:96], v[90:91]
	v_movrels_b32_e32 v96, v34
	s_add_i32 m0, s8, -4
	v_movrels_b32_e32 v95, v34
	s_add_i32 m0, s8, -1
	s_delay_alu instid0(VALU_DEP_1)
	v_fma_f64 v[90:91], v[95:96], v[97:98], v[90:91]
	v_movrels_b32_e32 v96, v34
	s_add_i32 m0, s8, -2
	s_add_u32 s2, s2, 8
	v_movrels_b32_e32 v95, v34
	s_mov_b32 m0, s8
	v_add_nc_u32_e32 v93, s2, v94
	s_addc_u32 s3, s3, 0
	s_add_i32 s8, s2, -7
	s_add_i32 s7, s7, 64
	s_delay_alu instid0(VALU_DEP_1)
	v_cmp_eq_u32_e32 vcc_lo, 7, v93
	v_mov_b32_e32 v93, s8
	s_or_b32 s6, vcc_lo, s6
	s_waitcnt lgkmcnt(0)
	v_fma_f64 v[90:91], v[95:96], v[99:100], v[90:91]
	v_movrels_b32_e32 v96, v35
	v_movrels_b32_e32 v95, v34
	s_delay_alu instid0(VALU_DEP_1)
	v_fma_f64 v[90:91], v[95:96], v[101:102], v[90:91]
	s_and_not1_b32 exec_lo, exec_lo, s6
	s_cbranch_execnz .LBB75_43
; %bb.44:
	s_or_b32 exec_lo, exec_lo, s6
.LBB75_45:
	s_delay_alu instid0(SALU_CYCLE_1) | instskip(SKIP_3) | instid1(VALU_DEP_1)
	s_or_b32 exec_lo, exec_lo, s0
	v_and_b32_e32 v58, 7, v0
	s_mov_b32 s3, 0
	s_mov_b32 s2, exec_lo
	v_cmpx_ne_u32_e32 0, v58
	s_cbranch_execz .LBB75_49
; %bb.46:
	v_lshl_add_u32 v59, v93, 3, 0x60
	v_mov_b32_e32 v60, 0
.LBB75_47:                              ; =>This Inner Loop Header: Depth=1
	v_cmp_eq_u32_e32 vcc_lo, 1, v93
	v_cmp_eq_u32_e64 s0, 2, v93
	v_dual_cndmask_b32 v61, v35, v37 :: v_dual_add_nc_u32 v58, -1, v58
	v_cndmask_b32_e32 v62, v34, v36, vcc_lo
	v_cmp_eq_u32_e32 vcc_lo, 3, v93
	s_delay_alu instid0(VALU_DEP_3) | instskip(NEXT) | instid1(VALU_DEP_3)
	v_cndmask_b32_e64 v61, v61, v39, s0
	v_cndmask_b32_e64 v62, v62, v38, s0
	v_cmp_eq_u32_e64 s0, 4, v93
	s_delay_alu instid0(VALU_DEP_2) | instskip(SKIP_1) | instid1(VALU_DEP_2)
	v_dual_cndmask_b32 v61, v61, v41 :: v_dual_cndmask_b32 v62, v62, v40
	v_cmp_eq_u32_e32 vcc_lo, 5, v93
	v_cndmask_b32_e64 v61, v61, v43, s0
	s_delay_alu instid0(VALU_DEP_3) | instskip(SKIP_1) | instid1(VALU_DEP_2)
	v_cndmask_b32_e64 v62, v62, v42, s0
	v_cmp_eq_u32_e64 s0, 6, v93
	v_dual_cndmask_b32 v61, v61, v45 :: v_dual_cndmask_b32 v62, v62, v44
	v_cmp_eq_u32_e32 vcc_lo, 7, v93
	s_delay_alu instid0(VALU_DEP_2) | instskip(NEXT) | instid1(VALU_DEP_3)
	v_cndmask_b32_e64 v61, v61, v47, s0
	v_cndmask_b32_e64 v62, v62, v46, s0
	v_cmp_eq_u32_e64 s0, 8, v93
	s_delay_alu instid0(VALU_DEP_2)
	v_dual_cndmask_b32 v63, v61, v49 :: v_dual_cndmask_b32 v64, v62, v48
	ds_load_b64 v[61:62], v59
	v_cmp_eq_u32_e32 vcc_lo, 9, v93
	v_add_nc_u32_e32 v59, 8, v59
	v_cndmask_b32_e64 v63, v63, v51, s0
	v_cndmask_b32_e64 v64, v64, v50, s0
	v_cmp_eq_u32_e64 s0, 10, v93
	s_delay_alu instid0(VALU_DEP_2) | instskip(SKIP_1) | instid1(VALU_DEP_2)
	v_dual_cndmask_b32 v63, v63, v53 :: v_dual_cndmask_b32 v64, v64, v52
	v_cmp_eq_u32_e32 vcc_lo, 11, v93
	v_cndmask_b32_e64 v63, v63, v55, s0
	s_delay_alu instid0(VALU_DEP_3) | instskip(SKIP_1) | instid1(VALU_DEP_1)
	v_cndmask_b32_e64 v65, v64, v54, s0
	v_add_co_u32 v93, s0, v93, 1
	v_add_co_ci_u32_e64 v60, s0, 0, v60, s0
	s_delay_alu instid0(VALU_DEP_3) | instskip(SKIP_2) | instid1(VALU_DEP_2)
	v_dual_cndmask_b32 v64, v63, v57 :: v_dual_cndmask_b32 v63, v65, v56
	v_cmp_eq_u32_e32 vcc_lo, 0, v58
	s_waitcnt lgkmcnt(0)
	v_fma_f64 v[90:91], v[63:64], v[61:62], v[90:91]
	s_or_b32 s3, vcc_lo, s3
	s_delay_alu instid0(SALU_CYCLE_1)
	s_and_not1_b32 exec_lo, exec_lo, s3
	s_cbranch_execnz .LBB75_47
; %bb.48:
	s_or_b32 exec_lo, exec_lo, s3
.LBB75_49:
	s_delay_alu instid0(SALU_CYCLE_1)
	s_or_b32 exec_lo, exec_lo, s2
.LBB75_50:
	s_delay_alu instid0(SALU_CYCLE_1)
	s_or_b32 exec_lo, exec_lo, s5
	v_mov_b32_e32 v48, 0
	ds_load_b64 v[48:49], v48 offset:56
	s_waitcnt lgkmcnt(0)
	v_mul_f64 v[48:49], v[90:91], v[48:49]
.LBB75_51:
	s_or_b32 exec_lo, exec_lo, s4
	v_cmp_lt_u32_e64 s0, 6, v0
	ds_store_b64 v92, v[46:47]
	s_waitcnt lgkmcnt(0)
	s_barrier
	buffer_gl0_inv
	s_and_saveexec_b32 s4, s0
	s_cbranch_execz .LBB75_67
; %bb.52:
	s_and_not1_b32 vcc_lo, exec_lo, s14
	s_cbranch_vccnz .LBB75_54
; %bb.53:
	v_cmp_eq_u32_e32 vcc_lo, 1, v0
	v_dual_cndmask_b32 v90, v35, v37 :: v_dual_cndmask_b32 v91, v34, v36
	v_cmp_eq_u32_e32 vcc_lo, 2, v0
	s_delay_alu instid0(VALU_DEP_2) | instskip(SKIP_1) | instid1(VALU_DEP_2)
	v_dual_cndmask_b32 v90, v90, v39 :: v_dual_cndmask_b32 v91, v91, v38
	v_cmp_eq_u32_e32 vcc_lo, 3, v0
	v_dual_cndmask_b32 v90, v90, v41 :: v_dual_cndmask_b32 v91, v91, v40
	v_cmp_eq_u32_e32 vcc_lo, 4, v0
	s_delay_alu instid0(VALU_DEP_2) | instskip(SKIP_1) | instid1(VALU_DEP_2)
	v_dual_cndmask_b32 v90, v90, v43 :: v_dual_cndmask_b32 v91, v91, v42
	;; [unrolled: 5-line block ×3, first 2 shown]
	v_cmp_eq_u32_e32 vcc_lo, 7, v0
	v_dual_cndmask_b32 v90, v90, v49 :: v_dual_cndmask_b32 v91, v91, v48
	v_cmp_eq_u32_e32 vcc_lo, 8, v0
	s_delay_alu instid0(VALU_DEP_2) | instskip(SKIP_4) | instid1(VALU_DEP_2)
	v_dual_cndmask_b32 v93, v90, v51 :: v_dual_cndmask_b32 v94, v91, v50
	v_cmp_eq_u32_e32 vcc_lo, 9, v0
	ds_load_b64 v[90:91], v92
	v_dual_cndmask_b32 v93, v93, v53 :: v_dual_cndmask_b32 v94, v94, v52
	v_cmp_eq_u32_e32 vcc_lo, 10, v0
	v_cndmask_b32_e32 v93, v93, v55, vcc_lo
	s_delay_alu instid0(VALU_DEP_3) | instskip(SKIP_1) | instid1(VALU_DEP_2)
	v_cndmask_b32_e32 v95, v94, v54, vcc_lo
	v_cmp_eq_u32_e32 vcc_lo, 11, v0
	v_dual_cndmask_b32 v94, v93, v57 :: v_dual_cndmask_b32 v93, v95, v56
	s_waitcnt lgkmcnt(0)
	s_delay_alu instid0(VALU_DEP_1)
	v_mul_f64 v[90:91], v[93:94], v[90:91]
	s_cbranch_execz .LBB75_55
	s_branch .LBB75_56
.LBB75_54:
                                        ; implicit-def: $vgpr90_vgpr91
.LBB75_55:
	ds_load_b64 v[90:91], v92
.LBB75_56:
	s_and_saveexec_b32 s5, s1
	s_cbranch_execz .LBB75_66
; %bb.57:
	v_dual_mov_b32 v95, 7 :: v_dual_add_nc_u32 v94, -8, v0
	v_add_nc_u32_e32 v93, -7, v0
	s_mov_b32 s1, exec_lo
	s_delay_alu instid0(VALU_DEP_2)
	v_cmpx_lt_u32_e32 6, v94
	s_cbranch_execz .LBB75_61
; %bb.58:
	s_delay_alu instid0(VALU_DEP_2) | instskip(SKIP_3) | instid1(VALU_DEP_1)
	v_and_b32_e32 v94, -8, v93
	s_mov_b32 s6, 0
	s_mov_b64 s[2:3], 14
	s_movk_i32 s7, 0x98
	v_sub_nc_u32_e32 v94, 0, v94
.LBB75_59:                              ; =>This Inner Loop Header: Depth=1
	v_mov_b32_e32 v105, s7
	s_lshl_b32 s8, s2, 1
	s_delay_alu instid0(SALU_CYCLE_1)
	s_add_i32 m0, s8, -13
	v_movrels_b32_e32 v104, v34
	ds_load_2addr_b64 v[95:98], v105 offset1:1
	ds_load_2addr_b64 v[99:102], v105 offset0:2 offset1:3
	s_add_i32 m0, s8, -14
	v_movrels_b32_e32 v103, v34
	s_add_i32 m0, s8, -11
	s_waitcnt lgkmcnt(1)
	s_delay_alu instid0(VALU_DEP_1) | instskip(SKIP_4) | instid1(VALU_DEP_1)
	v_fma_f64 v[90:91], v[103:104], v[95:96], v[90:91]
	v_movrels_b32_e32 v96, v34
	s_add_i32 m0, s8, -12
	v_movrels_b32_e32 v95, v34
	s_add_i32 m0, s8, -9
	v_fma_f64 v[90:91], v[95:96], v[97:98], v[90:91]
	v_movrels_b32_e32 v96, v34
	s_add_i32 m0, s8, -10
	v_movrels_b32_e32 v95, v34
	s_add_i32 m0, s8, -7
	s_waitcnt lgkmcnt(0)
	s_delay_alu instid0(VALU_DEP_1)
	v_fma_f64 v[90:91], v[95:96], v[99:100], v[90:91]
	v_movrels_b32_e32 v96, v34
	s_add_i32 m0, s8, -8
	v_movrels_b32_e32 v95, v34
	s_add_i32 m0, s8, -5
	;; [unrolled: 2-line block ×4, first 2 shown]
	v_fma_f64 v[90:91], v[95:96], v[101:102], v[90:91]
	ds_load_2addr_b64 v[95:98], v105 offset0:4 offset1:5
	ds_load_2addr_b64 v[99:102], v105 offset0:6 offset1:7
	s_waitcnt lgkmcnt(1)
	v_fma_f64 v[90:91], v[103:104], v[95:96], v[90:91]
	v_movrels_b32_e32 v96, v34
	s_add_i32 m0, s8, -4
	v_movrels_b32_e32 v95, v34
	s_add_i32 m0, s8, -1
	s_delay_alu instid0(VALU_DEP_1)
	v_fma_f64 v[90:91], v[95:96], v[97:98], v[90:91]
	v_movrels_b32_e32 v96, v34
	s_add_i32 m0, s8, -2
	s_add_u32 s2, s2, 8
	v_movrels_b32_e32 v95, v34
	s_mov_b32 m0, s8
	s_addc_u32 s3, s3, 0
	s_add_i32 s8, s2, -7
	s_add_i32 s7, s7, 64
	s_waitcnt lgkmcnt(0)
	s_delay_alu instid0(VALU_DEP_3) | instskip(SKIP_2) | instid1(VALU_DEP_1)
	v_fma_f64 v[90:91], v[95:96], v[99:100], v[90:91]
	v_movrels_b32_e32 v96, v35
	v_movrels_b32_e32 v95, v34
	v_fma_f64 v[90:91], v[95:96], v[101:102], v[90:91]
	v_add_nc_u32_e32 v95, s2, v94
	s_delay_alu instid0(VALU_DEP_1) | instskip(SKIP_2) | instid1(SALU_CYCLE_1)
	v_cmp_eq_u32_e32 vcc_lo, 14, v95
	v_mov_b32_e32 v95, s8
	s_or_b32 s6, vcc_lo, s6
	s_and_not1_b32 exec_lo, exec_lo, s6
	s_cbranch_execnz .LBB75_59
; %bb.60:
	s_or_b32 exec_lo, exec_lo, s6
.LBB75_61:
	s_delay_alu instid0(SALU_CYCLE_1) | instskip(SKIP_3) | instid1(VALU_DEP_1)
	s_or_b32 exec_lo, exec_lo, s1
	v_and_b32_e32 v58, 7, v93
	s_mov_b32 s3, 0
	s_mov_b32 s2, exec_lo
	v_cmpx_ne_u32_e32 0, v58
	s_cbranch_execz .LBB75_65
; %bb.62:
	v_lshl_add_u32 v59, v95, 3, 0x60
	v_mov_b32_e32 v60, 0
.LBB75_63:                              ; =>This Inner Loop Header: Depth=1
	v_cmp_eq_u32_e32 vcc_lo, 1, v95
	v_cmp_eq_u32_e64 s1, 2, v95
	v_dual_cndmask_b32 v61, v35, v37 :: v_dual_add_nc_u32 v58, -1, v58
	v_cndmask_b32_e32 v62, v34, v36, vcc_lo
	v_cmp_eq_u32_e32 vcc_lo, 3, v95
	s_delay_alu instid0(VALU_DEP_3) | instskip(NEXT) | instid1(VALU_DEP_3)
	v_cndmask_b32_e64 v61, v61, v39, s1
	v_cndmask_b32_e64 v62, v62, v38, s1
	v_cmp_eq_u32_e64 s1, 4, v95
	s_delay_alu instid0(VALU_DEP_2) | instskip(SKIP_1) | instid1(VALU_DEP_2)
	v_dual_cndmask_b32 v61, v61, v41 :: v_dual_cndmask_b32 v62, v62, v40
	v_cmp_eq_u32_e32 vcc_lo, 5, v95
	v_cndmask_b32_e64 v61, v61, v43, s1
	s_delay_alu instid0(VALU_DEP_3) | instskip(SKIP_1) | instid1(VALU_DEP_2)
	v_cndmask_b32_e64 v62, v62, v42, s1
	v_cmp_eq_u32_e64 s1, 6, v95
	v_dual_cndmask_b32 v61, v61, v45 :: v_dual_cndmask_b32 v62, v62, v44
	v_cmp_eq_u32_e32 vcc_lo, 7, v95
	s_delay_alu instid0(VALU_DEP_2) | instskip(NEXT) | instid1(VALU_DEP_3)
	v_cndmask_b32_e64 v61, v61, v47, s1
	v_cndmask_b32_e64 v62, v62, v46, s1
	v_cmp_eq_u32_e64 s1, 8, v95
	s_delay_alu instid0(VALU_DEP_2)
	v_dual_cndmask_b32 v63, v61, v49 :: v_dual_cndmask_b32 v64, v62, v48
	ds_load_b64 v[61:62], v59
	v_cmp_eq_u32_e32 vcc_lo, 9, v95
	v_add_nc_u32_e32 v59, 8, v59
	v_cndmask_b32_e64 v63, v63, v51, s1
	v_cndmask_b32_e64 v64, v64, v50, s1
	v_cmp_eq_u32_e64 s1, 10, v95
	s_delay_alu instid0(VALU_DEP_2) | instskip(SKIP_1) | instid1(VALU_DEP_2)
	v_dual_cndmask_b32 v63, v63, v53 :: v_dual_cndmask_b32 v64, v64, v52
	v_cmp_eq_u32_e32 vcc_lo, 11, v95
	v_cndmask_b32_e64 v63, v63, v55, s1
	s_delay_alu instid0(VALU_DEP_3) | instskip(SKIP_1) | instid1(VALU_DEP_1)
	v_cndmask_b32_e64 v65, v64, v54, s1
	v_add_co_u32 v95, s1, v95, 1
	v_add_co_ci_u32_e64 v60, s1, 0, v60, s1
	s_delay_alu instid0(VALU_DEP_3) | instskip(SKIP_2) | instid1(VALU_DEP_2)
	v_dual_cndmask_b32 v64, v63, v57 :: v_dual_cndmask_b32 v63, v65, v56
	v_cmp_eq_u32_e32 vcc_lo, 0, v58
	s_waitcnt lgkmcnt(0)
	v_fma_f64 v[90:91], v[63:64], v[61:62], v[90:91]
	s_or_b32 s3, vcc_lo, s3
	s_delay_alu instid0(SALU_CYCLE_1)
	s_and_not1_b32 exec_lo, exec_lo, s3
	s_cbranch_execnz .LBB75_63
; %bb.64:
	s_or_b32 exec_lo, exec_lo, s3
.LBB75_65:
	s_delay_alu instid0(SALU_CYCLE_1)
	s_or_b32 exec_lo, exec_lo, s2
.LBB75_66:
	s_delay_alu instid0(SALU_CYCLE_1)
	s_or_b32 exec_lo, exec_lo, s5
	v_mov_b32_e32 v46, 0
	ds_load_b64 v[46:47], v46 offset:48
	s_waitcnt lgkmcnt(0)
	v_mul_f64 v[46:47], v[90:91], v[46:47]
.LBB75_67:
	s_or_b32 exec_lo, exec_lo, s4
	v_cmp_lt_u32_e64 s2, 5, v0
	ds_store_b64 v92, v[44:45]
	s_waitcnt lgkmcnt(0)
	s_barrier
	buffer_gl0_inv
	s_and_saveexec_b32 s3, s2
	s_cbranch_execz .LBB75_83
; %bb.68:
	s_and_not1_b32 vcc_lo, exec_lo, s14
	s_cbranch_vccnz .LBB75_70
; %bb.69:
	v_cmp_eq_u32_e32 vcc_lo, 1, v0
	v_dual_cndmask_b32 v90, v35, v37 :: v_dual_cndmask_b32 v91, v34, v36
	v_cmp_eq_u32_e32 vcc_lo, 2, v0
	s_delay_alu instid0(VALU_DEP_2) | instskip(SKIP_1) | instid1(VALU_DEP_2)
	v_dual_cndmask_b32 v90, v90, v39 :: v_dual_cndmask_b32 v91, v91, v38
	v_cmp_eq_u32_e32 vcc_lo, 3, v0
	v_dual_cndmask_b32 v90, v90, v41 :: v_dual_cndmask_b32 v91, v91, v40
	v_cmp_eq_u32_e32 vcc_lo, 4, v0
	s_delay_alu instid0(VALU_DEP_2) | instskip(SKIP_1) | instid1(VALU_DEP_2)
	v_dual_cndmask_b32 v90, v90, v43 :: v_dual_cndmask_b32 v91, v91, v42
	;; [unrolled: 5-line block ×3, first 2 shown]
	v_cmp_eq_u32_e32 vcc_lo, 7, v0
	v_dual_cndmask_b32 v90, v90, v49 :: v_dual_cndmask_b32 v91, v91, v48
	v_cmp_eq_u32_e32 vcc_lo, 8, v0
	s_delay_alu instid0(VALU_DEP_2) | instskip(SKIP_4) | instid1(VALU_DEP_2)
	v_dual_cndmask_b32 v93, v90, v51 :: v_dual_cndmask_b32 v94, v91, v50
	v_cmp_eq_u32_e32 vcc_lo, 9, v0
	ds_load_b64 v[90:91], v92
	v_dual_cndmask_b32 v93, v93, v53 :: v_dual_cndmask_b32 v94, v94, v52
	v_cmp_eq_u32_e32 vcc_lo, 10, v0
	v_cndmask_b32_e32 v93, v93, v55, vcc_lo
	s_delay_alu instid0(VALU_DEP_3) | instskip(SKIP_1) | instid1(VALU_DEP_2)
	v_cndmask_b32_e32 v95, v94, v54, vcc_lo
	v_cmp_eq_u32_e32 vcc_lo, 11, v0
	v_dual_cndmask_b32 v94, v93, v57 :: v_dual_cndmask_b32 v93, v95, v56
	s_waitcnt lgkmcnt(0)
	s_delay_alu instid0(VALU_DEP_1)
	v_mul_f64 v[90:91], v[93:94], v[90:91]
	s_cbranch_execz .LBB75_71
	s_branch .LBB75_72
.LBB75_70:
                                        ; implicit-def: $vgpr90_vgpr91
.LBB75_71:
	ds_load_b64 v[90:91], v92
.LBB75_72:
	s_and_saveexec_b32 s4, s0
	s_cbranch_execz .LBB75_82
; %bb.73:
	v_add_nc_u32_e32 v94, -7, v0
	v_add_nc_u32_e32 v93, -6, v0
	s_delay_alu instid0(VALU_DEP_2)
	v_cmp_lt_u32_e32 vcc_lo, 6, v94
	v_mov_b32_e32 v94, 6
	s_and_saveexec_b32 s5, vcc_lo
	s_cbranch_execz .LBB75_77
; %bb.74:
	v_and_b32_e32 v94, -8, v93
	s_mov_b32 s6, 0
	s_mov_b64 s[0:1], 13
	s_movk_i32 s7, 0x90
	s_delay_alu instid0(VALU_DEP_1)
	v_sub_nc_u32_e32 v95, 0, v94
.LBB75_75:                              ; =>This Inner Loop Header: Depth=1
	v_mov_b32_e32 v94, s7
	s_lshl_b32 s8, s0, 1
	s_delay_alu instid0(SALU_CYCLE_1)
	s_add_i32 m0, s8, -13
	v_movrels_b32_e32 v105, v34
	ds_load_b128 v[96:99], v94
	ds_load_b128 v[100:103], v94 offset:16
	s_add_i32 m0, s8, -14
	v_movrels_b32_e32 v104, v34
	s_add_i32 m0, s8, -11
	s_waitcnt lgkmcnt(1)
	s_delay_alu instid0(VALU_DEP_1) | instskip(SKIP_4) | instid1(VALU_DEP_1)
	v_fma_f64 v[90:91], v[104:105], v[96:97], v[90:91]
	v_movrels_b32_e32 v97, v34
	s_add_i32 m0, s8, -12
	v_movrels_b32_e32 v96, v34
	s_add_i32 m0, s8, -9
	v_fma_f64 v[90:91], v[96:97], v[98:99], v[90:91]
	v_movrels_b32_e32 v97, v34
	s_add_i32 m0, s8, -10
	v_movrels_b32_e32 v96, v34
	s_add_i32 m0, s8, -7
	s_waitcnt lgkmcnt(0)
	s_delay_alu instid0(VALU_DEP_1)
	v_fma_f64 v[90:91], v[96:97], v[100:101], v[90:91]
	v_movrels_b32_e32 v97, v34
	s_add_i32 m0, s8, -8
	v_movrels_b32_e32 v96, v34
	s_add_i32 m0, s8, -5
	;; [unrolled: 2-line block ×4, first 2 shown]
	v_fma_f64 v[90:91], v[96:97], v[102:103], v[90:91]
	ds_load_b128 v[96:99], v94 offset:32
	ds_load_b128 v[100:103], v94 offset:48
	s_waitcnt lgkmcnt(1)
	v_fma_f64 v[90:91], v[104:105], v[96:97], v[90:91]
	v_movrels_b32_e32 v97, v34
	s_add_i32 m0, s8, -4
	v_movrels_b32_e32 v96, v34
	s_add_i32 m0, s8, -1
	s_delay_alu instid0(VALU_DEP_1)
	v_fma_f64 v[90:91], v[96:97], v[98:99], v[90:91]
	v_movrels_b32_e32 v97, v34
	s_add_i32 m0, s8, -2
	s_add_u32 s0, s0, 8
	v_movrels_b32_e32 v96, v34
	s_mov_b32 m0, s8
	v_add_nc_u32_e32 v94, s0, v95
	s_addc_u32 s1, s1, 0
	s_add_i32 s8, s0, -7
	s_add_i32 s7, s7, 64
	s_delay_alu instid0(VALU_DEP_1)
	v_cmp_eq_u32_e32 vcc_lo, 13, v94
	v_mov_b32_e32 v94, s8
	s_or_b32 s6, vcc_lo, s6
	s_waitcnt lgkmcnt(0)
	v_fma_f64 v[90:91], v[96:97], v[100:101], v[90:91]
	v_movrels_b32_e32 v97, v35
	v_movrels_b32_e32 v96, v34
	s_delay_alu instid0(VALU_DEP_1)
	v_fma_f64 v[90:91], v[96:97], v[102:103], v[90:91]
	s_and_not1_b32 exec_lo, exec_lo, s6
	s_cbranch_execnz .LBB75_75
; %bb.76:
	s_or_b32 exec_lo, exec_lo, s6
.LBB75_77:
	s_delay_alu instid0(SALU_CYCLE_1) | instskip(SKIP_3) | instid1(VALU_DEP_1)
	s_or_b32 exec_lo, exec_lo, s5
	v_and_b32_e32 v58, 7, v93
	s_mov_b32 s5, 0
	s_mov_b32 s1, exec_lo
	v_cmpx_ne_u32_e32 0, v58
	s_cbranch_execz .LBB75_81
; %bb.78:
	v_lshl_add_u32 v59, v94, 3, 0x60
	v_mov_b32_e32 v60, 0
.LBB75_79:                              ; =>This Inner Loop Header: Depth=1
	v_cmp_eq_u32_e32 vcc_lo, 1, v94
	v_cmp_eq_u32_e64 s0, 2, v94
	v_dual_cndmask_b32 v61, v35, v37 :: v_dual_add_nc_u32 v58, -1, v58
	v_cndmask_b32_e32 v62, v34, v36, vcc_lo
	v_cmp_eq_u32_e32 vcc_lo, 3, v94
	s_delay_alu instid0(VALU_DEP_3) | instskip(NEXT) | instid1(VALU_DEP_3)
	v_cndmask_b32_e64 v61, v61, v39, s0
	v_cndmask_b32_e64 v62, v62, v38, s0
	v_cmp_eq_u32_e64 s0, 4, v94
	s_delay_alu instid0(VALU_DEP_2) | instskip(SKIP_1) | instid1(VALU_DEP_2)
	v_dual_cndmask_b32 v61, v61, v41 :: v_dual_cndmask_b32 v62, v62, v40
	v_cmp_eq_u32_e32 vcc_lo, 5, v94
	v_cndmask_b32_e64 v61, v61, v43, s0
	s_delay_alu instid0(VALU_DEP_3) | instskip(SKIP_1) | instid1(VALU_DEP_2)
	v_cndmask_b32_e64 v62, v62, v42, s0
	v_cmp_eq_u32_e64 s0, 6, v94
	v_dual_cndmask_b32 v61, v61, v45 :: v_dual_cndmask_b32 v62, v62, v44
	v_cmp_eq_u32_e32 vcc_lo, 7, v94
	s_delay_alu instid0(VALU_DEP_2) | instskip(NEXT) | instid1(VALU_DEP_3)
	v_cndmask_b32_e64 v61, v61, v47, s0
	v_cndmask_b32_e64 v62, v62, v46, s0
	v_cmp_eq_u32_e64 s0, 8, v94
	s_delay_alu instid0(VALU_DEP_2)
	v_dual_cndmask_b32 v63, v61, v49 :: v_dual_cndmask_b32 v64, v62, v48
	ds_load_b64 v[61:62], v59
	v_cmp_eq_u32_e32 vcc_lo, 9, v94
	v_add_nc_u32_e32 v59, 8, v59
	v_cndmask_b32_e64 v63, v63, v51, s0
	v_cndmask_b32_e64 v64, v64, v50, s0
	v_cmp_eq_u32_e64 s0, 10, v94
	s_delay_alu instid0(VALU_DEP_2) | instskip(SKIP_1) | instid1(VALU_DEP_2)
	v_dual_cndmask_b32 v63, v63, v53 :: v_dual_cndmask_b32 v64, v64, v52
	v_cmp_eq_u32_e32 vcc_lo, 11, v94
	v_cndmask_b32_e64 v63, v63, v55, s0
	s_delay_alu instid0(VALU_DEP_3) | instskip(SKIP_1) | instid1(VALU_DEP_1)
	v_cndmask_b32_e64 v65, v64, v54, s0
	v_add_co_u32 v94, s0, v94, 1
	v_add_co_ci_u32_e64 v60, s0, 0, v60, s0
	s_delay_alu instid0(VALU_DEP_3) | instskip(SKIP_2) | instid1(VALU_DEP_2)
	v_dual_cndmask_b32 v64, v63, v57 :: v_dual_cndmask_b32 v63, v65, v56
	v_cmp_eq_u32_e32 vcc_lo, 0, v58
	s_waitcnt lgkmcnt(0)
	v_fma_f64 v[90:91], v[63:64], v[61:62], v[90:91]
	s_or_b32 s5, vcc_lo, s5
	s_delay_alu instid0(SALU_CYCLE_1)
	s_and_not1_b32 exec_lo, exec_lo, s5
	s_cbranch_execnz .LBB75_79
; %bb.80:
	s_or_b32 exec_lo, exec_lo, s5
.LBB75_81:
	s_delay_alu instid0(SALU_CYCLE_1)
	s_or_b32 exec_lo, exec_lo, s1
.LBB75_82:
	s_delay_alu instid0(SALU_CYCLE_1)
	s_or_b32 exec_lo, exec_lo, s4
	v_mov_b32_e32 v44, 0
	ds_load_b64 v[44:45], v44 offset:40
	s_waitcnt lgkmcnt(0)
	v_mul_f64 v[44:45], v[90:91], v[44:45]
.LBB75_83:
	s_or_b32 exec_lo, exec_lo, s3
	v_cmp_lt_u32_e64 s1, 4, v0
	ds_store_b64 v92, v[42:43]
	s_waitcnt lgkmcnt(0)
	s_barrier
	buffer_gl0_inv
	s_and_saveexec_b32 s4, s1
	s_cbranch_execz .LBB75_99
; %bb.84:
	s_and_not1_b32 vcc_lo, exec_lo, s14
	s_cbranch_vccnz .LBB75_86
; %bb.85:
	v_cmp_eq_u32_e32 vcc_lo, 1, v0
	v_dual_cndmask_b32 v90, v35, v37 :: v_dual_cndmask_b32 v91, v34, v36
	v_cmp_eq_u32_e32 vcc_lo, 2, v0
	s_delay_alu instid0(VALU_DEP_2) | instskip(SKIP_1) | instid1(VALU_DEP_2)
	v_dual_cndmask_b32 v90, v90, v39 :: v_dual_cndmask_b32 v91, v91, v38
	v_cmp_eq_u32_e32 vcc_lo, 3, v0
	v_dual_cndmask_b32 v90, v90, v41 :: v_dual_cndmask_b32 v91, v91, v40
	v_cmp_eq_u32_e32 vcc_lo, 4, v0
	s_delay_alu instid0(VALU_DEP_2) | instskip(SKIP_1) | instid1(VALU_DEP_2)
	v_dual_cndmask_b32 v90, v90, v43 :: v_dual_cndmask_b32 v91, v91, v42
	;; [unrolled: 5-line block ×3, first 2 shown]
	v_cmp_eq_u32_e32 vcc_lo, 7, v0
	v_dual_cndmask_b32 v90, v90, v49 :: v_dual_cndmask_b32 v91, v91, v48
	v_cmp_eq_u32_e32 vcc_lo, 8, v0
	s_delay_alu instid0(VALU_DEP_2) | instskip(SKIP_4) | instid1(VALU_DEP_2)
	v_dual_cndmask_b32 v93, v90, v51 :: v_dual_cndmask_b32 v94, v91, v50
	v_cmp_eq_u32_e32 vcc_lo, 9, v0
	ds_load_b64 v[90:91], v92
	v_dual_cndmask_b32 v93, v93, v53 :: v_dual_cndmask_b32 v94, v94, v52
	v_cmp_eq_u32_e32 vcc_lo, 10, v0
	v_cndmask_b32_e32 v93, v93, v55, vcc_lo
	s_delay_alu instid0(VALU_DEP_3) | instskip(SKIP_1) | instid1(VALU_DEP_2)
	v_cndmask_b32_e32 v95, v94, v54, vcc_lo
	v_cmp_eq_u32_e32 vcc_lo, 11, v0
	v_dual_cndmask_b32 v94, v93, v57 :: v_dual_cndmask_b32 v93, v95, v56
	s_waitcnt lgkmcnt(0)
	s_delay_alu instid0(VALU_DEP_1)
	v_mul_f64 v[90:91], v[93:94], v[90:91]
	s_cbranch_execz .LBB75_87
	s_branch .LBB75_88
.LBB75_86:
                                        ; implicit-def: $vgpr90_vgpr91
.LBB75_87:
	ds_load_b64 v[90:91], v92
.LBB75_88:
	s_and_saveexec_b32 s5, s2
	s_cbranch_execz .LBB75_98
; %bb.89:
	v_dual_mov_b32 v95, 5 :: v_dual_add_nc_u32 v94, -6, v0
	v_add_nc_u32_e32 v93, -5, v0
	s_mov_b32 s0, exec_lo
	s_delay_alu instid0(VALU_DEP_2)
	v_cmpx_lt_u32_e32 6, v94
	s_cbranch_execz .LBB75_93
; %bb.90:
	s_delay_alu instid0(VALU_DEP_2) | instskip(SKIP_3) | instid1(VALU_DEP_1)
	v_and_b32_e32 v94, -8, v93
	s_mov_b32 s6, 0
	s_mov_b64 s[2:3], 12
	s_movk_i32 s7, 0x88
	v_sub_nc_u32_e32 v94, 0, v94
.LBB75_91:                              ; =>This Inner Loop Header: Depth=1
	v_mov_b32_e32 v105, s7
	s_lshl_b32 s8, s2, 1
	s_delay_alu instid0(SALU_CYCLE_1)
	s_add_i32 m0, s8, -13
	v_movrels_b32_e32 v104, v34
	ds_load_2addr_b64 v[95:98], v105 offset1:1
	ds_load_2addr_b64 v[99:102], v105 offset0:2 offset1:3
	s_add_i32 m0, s8, -14
	v_movrels_b32_e32 v103, v34
	s_add_i32 m0, s8, -11
	s_waitcnt lgkmcnt(1)
	s_delay_alu instid0(VALU_DEP_1) | instskip(SKIP_4) | instid1(VALU_DEP_1)
	v_fma_f64 v[90:91], v[103:104], v[95:96], v[90:91]
	v_movrels_b32_e32 v96, v34
	s_add_i32 m0, s8, -12
	v_movrels_b32_e32 v95, v34
	s_add_i32 m0, s8, -9
	v_fma_f64 v[90:91], v[95:96], v[97:98], v[90:91]
	v_movrels_b32_e32 v96, v34
	s_add_i32 m0, s8, -10
	v_movrels_b32_e32 v95, v34
	s_add_i32 m0, s8, -7
	s_waitcnt lgkmcnt(0)
	s_delay_alu instid0(VALU_DEP_1)
	v_fma_f64 v[90:91], v[95:96], v[99:100], v[90:91]
	v_movrels_b32_e32 v96, v34
	s_add_i32 m0, s8, -8
	v_movrels_b32_e32 v95, v34
	s_add_i32 m0, s8, -5
	;; [unrolled: 2-line block ×4, first 2 shown]
	v_fma_f64 v[90:91], v[95:96], v[101:102], v[90:91]
	ds_load_2addr_b64 v[95:98], v105 offset0:4 offset1:5
	ds_load_2addr_b64 v[99:102], v105 offset0:6 offset1:7
	s_waitcnt lgkmcnt(1)
	v_fma_f64 v[90:91], v[103:104], v[95:96], v[90:91]
	v_movrels_b32_e32 v96, v34
	s_add_i32 m0, s8, -4
	v_movrels_b32_e32 v95, v34
	s_add_i32 m0, s8, -1
	s_delay_alu instid0(VALU_DEP_1)
	v_fma_f64 v[90:91], v[95:96], v[97:98], v[90:91]
	v_movrels_b32_e32 v96, v34
	s_add_i32 m0, s8, -2
	s_add_u32 s2, s2, 8
	v_movrels_b32_e32 v95, v34
	s_mov_b32 m0, s8
	s_addc_u32 s3, s3, 0
	s_add_i32 s8, s2, -7
	s_add_i32 s7, s7, 64
	s_waitcnt lgkmcnt(0)
	s_delay_alu instid0(VALU_DEP_3) | instskip(SKIP_2) | instid1(VALU_DEP_1)
	v_fma_f64 v[90:91], v[95:96], v[99:100], v[90:91]
	v_movrels_b32_e32 v96, v35
	v_movrels_b32_e32 v95, v34
	v_fma_f64 v[90:91], v[95:96], v[101:102], v[90:91]
	v_add_nc_u32_e32 v95, s2, v94
	s_delay_alu instid0(VALU_DEP_1) | instskip(SKIP_2) | instid1(SALU_CYCLE_1)
	v_cmp_eq_u32_e32 vcc_lo, 12, v95
	v_mov_b32_e32 v95, s8
	s_or_b32 s6, vcc_lo, s6
	s_and_not1_b32 exec_lo, exec_lo, s6
	s_cbranch_execnz .LBB75_91
; %bb.92:
	s_or_b32 exec_lo, exec_lo, s6
.LBB75_93:
	s_delay_alu instid0(SALU_CYCLE_1) | instskip(SKIP_3) | instid1(VALU_DEP_1)
	s_or_b32 exec_lo, exec_lo, s0
	v_and_b32_e32 v58, 7, v93
	s_mov_b32 s3, 0
	s_mov_b32 s2, exec_lo
	v_cmpx_ne_u32_e32 0, v58
	s_cbranch_execz .LBB75_97
; %bb.94:
	v_lshl_add_u32 v59, v95, 3, 0x60
	v_mov_b32_e32 v60, 0
.LBB75_95:                              ; =>This Inner Loop Header: Depth=1
	v_cmp_eq_u32_e32 vcc_lo, 1, v95
	v_cmp_eq_u32_e64 s0, 2, v95
	v_dual_cndmask_b32 v61, v35, v37 :: v_dual_add_nc_u32 v58, -1, v58
	v_cndmask_b32_e32 v62, v34, v36, vcc_lo
	v_cmp_eq_u32_e32 vcc_lo, 3, v95
	s_delay_alu instid0(VALU_DEP_3) | instskip(NEXT) | instid1(VALU_DEP_3)
	v_cndmask_b32_e64 v61, v61, v39, s0
	v_cndmask_b32_e64 v62, v62, v38, s0
	v_cmp_eq_u32_e64 s0, 4, v95
	s_delay_alu instid0(VALU_DEP_2) | instskip(SKIP_1) | instid1(VALU_DEP_2)
	v_dual_cndmask_b32 v61, v61, v41 :: v_dual_cndmask_b32 v62, v62, v40
	v_cmp_eq_u32_e32 vcc_lo, 5, v95
	v_cndmask_b32_e64 v61, v61, v43, s0
	s_delay_alu instid0(VALU_DEP_3) | instskip(SKIP_1) | instid1(VALU_DEP_2)
	v_cndmask_b32_e64 v62, v62, v42, s0
	v_cmp_eq_u32_e64 s0, 6, v95
	v_dual_cndmask_b32 v61, v61, v45 :: v_dual_cndmask_b32 v62, v62, v44
	v_cmp_eq_u32_e32 vcc_lo, 7, v95
	s_delay_alu instid0(VALU_DEP_2) | instskip(NEXT) | instid1(VALU_DEP_3)
	v_cndmask_b32_e64 v61, v61, v47, s0
	v_cndmask_b32_e64 v62, v62, v46, s0
	v_cmp_eq_u32_e64 s0, 8, v95
	s_delay_alu instid0(VALU_DEP_2)
	v_dual_cndmask_b32 v63, v61, v49 :: v_dual_cndmask_b32 v64, v62, v48
	ds_load_b64 v[61:62], v59
	v_cmp_eq_u32_e32 vcc_lo, 9, v95
	v_add_nc_u32_e32 v59, 8, v59
	v_cndmask_b32_e64 v63, v63, v51, s0
	v_cndmask_b32_e64 v64, v64, v50, s0
	v_cmp_eq_u32_e64 s0, 10, v95
	s_delay_alu instid0(VALU_DEP_2) | instskip(SKIP_1) | instid1(VALU_DEP_2)
	v_dual_cndmask_b32 v63, v63, v53 :: v_dual_cndmask_b32 v64, v64, v52
	v_cmp_eq_u32_e32 vcc_lo, 11, v95
	v_cndmask_b32_e64 v63, v63, v55, s0
	s_delay_alu instid0(VALU_DEP_3) | instskip(SKIP_1) | instid1(VALU_DEP_1)
	v_cndmask_b32_e64 v65, v64, v54, s0
	v_add_co_u32 v95, s0, v95, 1
	v_add_co_ci_u32_e64 v60, s0, 0, v60, s0
	s_delay_alu instid0(VALU_DEP_3) | instskip(SKIP_2) | instid1(VALU_DEP_2)
	v_dual_cndmask_b32 v64, v63, v57 :: v_dual_cndmask_b32 v63, v65, v56
	v_cmp_eq_u32_e32 vcc_lo, 0, v58
	s_waitcnt lgkmcnt(0)
	v_fma_f64 v[90:91], v[63:64], v[61:62], v[90:91]
	s_or_b32 s3, vcc_lo, s3
	s_delay_alu instid0(SALU_CYCLE_1)
	s_and_not1_b32 exec_lo, exec_lo, s3
	s_cbranch_execnz .LBB75_95
; %bb.96:
	s_or_b32 exec_lo, exec_lo, s3
.LBB75_97:
	s_delay_alu instid0(SALU_CYCLE_1)
	s_or_b32 exec_lo, exec_lo, s2
.LBB75_98:
	s_delay_alu instid0(SALU_CYCLE_1)
	s_or_b32 exec_lo, exec_lo, s5
	v_mov_b32_e32 v42, 0
	ds_load_b64 v[42:43], v42 offset:32
	s_waitcnt lgkmcnt(0)
	v_mul_f64 v[42:43], v[90:91], v[42:43]
.LBB75_99:
	s_or_b32 exec_lo, exec_lo, s4
	v_cmp_lt_u32_e64 s0, 3, v0
	ds_store_b64 v92, v[40:41]
	s_waitcnt lgkmcnt(0)
	s_barrier
	buffer_gl0_inv
	s_and_saveexec_b32 s4, s0
	s_cbranch_execz .LBB75_115
; %bb.100:
	s_and_not1_b32 vcc_lo, exec_lo, s14
	s_cbranch_vccnz .LBB75_102
; %bb.101:
	v_cmp_eq_u32_e32 vcc_lo, 1, v0
	v_dual_cndmask_b32 v90, v35, v37 :: v_dual_cndmask_b32 v91, v34, v36
	v_cmp_eq_u32_e32 vcc_lo, 2, v0
	s_delay_alu instid0(VALU_DEP_2) | instskip(SKIP_1) | instid1(VALU_DEP_2)
	v_dual_cndmask_b32 v90, v90, v39 :: v_dual_cndmask_b32 v91, v91, v38
	v_cmp_eq_u32_e32 vcc_lo, 3, v0
	v_dual_cndmask_b32 v90, v90, v41 :: v_dual_cndmask_b32 v91, v91, v40
	v_cmp_eq_u32_e32 vcc_lo, 4, v0
	s_delay_alu instid0(VALU_DEP_2) | instskip(SKIP_1) | instid1(VALU_DEP_2)
	v_dual_cndmask_b32 v90, v90, v43 :: v_dual_cndmask_b32 v91, v91, v42
	;; [unrolled: 5-line block ×3, first 2 shown]
	v_cmp_eq_u32_e32 vcc_lo, 7, v0
	v_dual_cndmask_b32 v90, v90, v49 :: v_dual_cndmask_b32 v91, v91, v48
	v_cmp_eq_u32_e32 vcc_lo, 8, v0
	s_delay_alu instid0(VALU_DEP_2) | instskip(SKIP_4) | instid1(VALU_DEP_2)
	v_dual_cndmask_b32 v93, v90, v51 :: v_dual_cndmask_b32 v94, v91, v50
	v_cmp_eq_u32_e32 vcc_lo, 9, v0
	ds_load_b64 v[90:91], v92
	v_dual_cndmask_b32 v93, v93, v53 :: v_dual_cndmask_b32 v94, v94, v52
	v_cmp_eq_u32_e32 vcc_lo, 10, v0
	v_cndmask_b32_e32 v93, v93, v55, vcc_lo
	s_delay_alu instid0(VALU_DEP_3) | instskip(SKIP_1) | instid1(VALU_DEP_2)
	v_cndmask_b32_e32 v95, v94, v54, vcc_lo
	v_cmp_eq_u32_e32 vcc_lo, 11, v0
	v_dual_cndmask_b32 v94, v93, v57 :: v_dual_cndmask_b32 v93, v95, v56
	s_waitcnt lgkmcnt(0)
	s_delay_alu instid0(VALU_DEP_1)
	v_mul_f64 v[90:91], v[93:94], v[90:91]
	s_cbranch_execz .LBB75_103
	s_branch .LBB75_104
.LBB75_102:
                                        ; implicit-def: $vgpr90_vgpr91
.LBB75_103:
	ds_load_b64 v[90:91], v92
.LBB75_104:
	s_and_saveexec_b32 s5, s1
	s_cbranch_execz .LBB75_114
; %bb.105:
	v_dual_mov_b32 v95, 4 :: v_dual_add_nc_u32 v94, -5, v0
	v_add_nc_u32_e32 v93, -4, v0
	s_mov_b32 s1, exec_lo
	s_delay_alu instid0(VALU_DEP_2)
	v_cmpx_lt_u32_e32 6, v94
	s_cbranch_execz .LBB75_109
; %bb.106:
	s_delay_alu instid0(VALU_DEP_2) | instskip(SKIP_3) | instid1(VALU_DEP_1)
	v_and_b32_e32 v94, -8, v93
	s_mov_b32 s6, 0
	s_mov_b64 s[2:3], 5
	s_movk_i32 s7, 0x80
	v_sub_nc_u32_e32 v94, 0, v94
.LBB75_107:                             ; =>This Inner Loop Header: Depth=1
	v_mov_b32_e32 v105, s7
	s_lshl_b32 s8, s2, 1
	s_delay_alu instid0(SALU_CYCLE_1)
	s_add_i32 m0, s8, -1
	s_add_i32 s9, s8, 3
	ds_load_b128 v[95:98], v105
	ds_load_b128 v[99:102], v105 offset:16
	v_movrels_b32_e32 v104, v34
	s_add_i32 m0, s8, -2
	s_add_i32 s10, s8, 2
	v_movrels_b32_e32 v103, v34
	s_mov_b32 m0, s8
	s_waitcnt lgkmcnt(1)
	s_delay_alu instid0(VALU_DEP_1) | instskip(SKIP_4) | instid1(VALU_DEP_1)
	v_fma_f64 v[90:91], v[103:104], v[95:96], v[90:91]
	v_movrels_b32_e32 v96, v35
	v_movrels_b32_e32 v95, v34
	s_mov_b32 m0, s9
	s_add_i32 s9, s8, 5
	v_fma_f64 v[90:91], v[95:96], v[97:98], v[90:91]
	v_movrels_b32_e32 v96, v34
	s_mov_b32 m0, s10
	s_add_i32 s10, s8, 4
	v_movrels_b32_e32 v95, v34
	s_mov_b32 m0, s9
	s_add_i32 s9, s8, 7
	s_waitcnt lgkmcnt(0)
	s_delay_alu instid0(VALU_DEP_1)
	v_fma_f64 v[90:91], v[95:96], v[99:100], v[90:91]
	v_movrels_b32_e32 v96, v34
	s_mov_b32 m0, s10
	s_add_i32 s10, s8, 6
	v_movrels_b32_e32 v95, v34
	s_mov_b32 m0, s9
	s_add_i32 s9, s8, 9
	v_movrels_b32_e32 v104, v34
	s_mov_b32 m0, s10
	s_add_i32 s10, s8, 8
	v_movrels_b32_e32 v103, v34
	s_mov_b32 m0, s9
	s_add_i32 s9, s8, 11
	v_fma_f64 v[90:91], v[95:96], v[101:102], v[90:91]
	ds_load_b128 v[95:98], v105 offset:32
	ds_load_b128 v[99:102], v105 offset:48
	s_waitcnt lgkmcnt(1)
	v_fma_f64 v[90:91], v[103:104], v[95:96], v[90:91]
	v_movrels_b32_e32 v96, v34
	s_mov_b32 m0, s10
	s_add_i32 s10, s8, 10
	v_movrels_b32_e32 v95, v34
	s_mov_b32 m0, s9
	s_add_i32 s9, s8, 13
	s_add_i32 s8, s8, 12
	s_add_u32 s2, s2, 8
	s_addc_u32 s3, s3, 0
	s_add_i32 s7, s7, 64
	s_delay_alu instid0(VALU_DEP_3)
	v_fma_f64 v[90:91], v[95:96], v[97:98], v[90:91]
	v_movrels_b32_e32 v96, v34
	s_mov_b32 m0, s10
	v_movrels_b32_e32 v95, v34
	s_mov_b32 m0, s9
	s_waitcnt lgkmcnt(0)
	s_delay_alu instid0(VALU_DEP_1) | instskip(SKIP_4) | instid1(VALU_DEP_1)
	v_fma_f64 v[90:91], v[95:96], v[99:100], v[90:91]
	v_movrels_b32_e32 v96, v34
	s_mov_b32 m0, s8
	s_add_i32 s8, s2, -1
	v_movrels_b32_e32 v95, v34
	v_fma_f64 v[90:91], v[95:96], v[101:102], v[90:91]
	v_add_nc_u32_e32 v95, s2, v94
	s_delay_alu instid0(VALU_DEP_1) | instskip(SKIP_2) | instid1(SALU_CYCLE_1)
	v_cmp_eq_u32_e32 vcc_lo, 5, v95
	v_mov_b32_e32 v95, s8
	s_or_b32 s6, vcc_lo, s6
	s_and_not1_b32 exec_lo, exec_lo, s6
	s_cbranch_execnz .LBB75_107
; %bb.108:
	s_or_b32 exec_lo, exec_lo, s6
.LBB75_109:
	s_delay_alu instid0(SALU_CYCLE_1) | instskip(SKIP_3) | instid1(VALU_DEP_1)
	s_or_b32 exec_lo, exec_lo, s1
	v_and_b32_e32 v58, 7, v93
	s_mov_b32 s3, 0
	s_mov_b32 s2, exec_lo
	v_cmpx_ne_u32_e32 0, v58
	s_cbranch_execz .LBB75_113
; %bb.110:
	v_lshl_add_u32 v59, v95, 3, 0x60
	v_mov_b32_e32 v60, 0
.LBB75_111:                             ; =>This Inner Loop Header: Depth=1
	v_cmp_eq_u32_e32 vcc_lo, 1, v95
	v_cmp_eq_u32_e64 s1, 2, v95
	v_dual_cndmask_b32 v61, v35, v37 :: v_dual_add_nc_u32 v58, -1, v58
	v_cndmask_b32_e32 v62, v34, v36, vcc_lo
	v_cmp_eq_u32_e32 vcc_lo, 3, v95
	s_delay_alu instid0(VALU_DEP_3) | instskip(NEXT) | instid1(VALU_DEP_3)
	v_cndmask_b32_e64 v61, v61, v39, s1
	v_cndmask_b32_e64 v62, v62, v38, s1
	v_cmp_eq_u32_e64 s1, 4, v95
	s_delay_alu instid0(VALU_DEP_2) | instskip(SKIP_1) | instid1(VALU_DEP_2)
	v_dual_cndmask_b32 v61, v61, v41 :: v_dual_cndmask_b32 v62, v62, v40
	v_cmp_eq_u32_e32 vcc_lo, 5, v95
	v_cndmask_b32_e64 v61, v61, v43, s1
	s_delay_alu instid0(VALU_DEP_3) | instskip(SKIP_1) | instid1(VALU_DEP_2)
	v_cndmask_b32_e64 v62, v62, v42, s1
	v_cmp_eq_u32_e64 s1, 6, v95
	v_dual_cndmask_b32 v61, v61, v45 :: v_dual_cndmask_b32 v62, v62, v44
	v_cmp_eq_u32_e32 vcc_lo, 7, v95
	s_delay_alu instid0(VALU_DEP_2) | instskip(NEXT) | instid1(VALU_DEP_3)
	v_cndmask_b32_e64 v61, v61, v47, s1
	v_cndmask_b32_e64 v62, v62, v46, s1
	v_cmp_eq_u32_e64 s1, 8, v95
	s_delay_alu instid0(VALU_DEP_2)
	v_dual_cndmask_b32 v63, v61, v49 :: v_dual_cndmask_b32 v64, v62, v48
	ds_load_b64 v[61:62], v59
	v_cmp_eq_u32_e32 vcc_lo, 9, v95
	v_add_nc_u32_e32 v59, 8, v59
	v_cndmask_b32_e64 v63, v63, v51, s1
	v_cndmask_b32_e64 v64, v64, v50, s1
	v_cmp_eq_u32_e64 s1, 10, v95
	s_delay_alu instid0(VALU_DEP_2) | instskip(SKIP_1) | instid1(VALU_DEP_2)
	v_dual_cndmask_b32 v63, v63, v53 :: v_dual_cndmask_b32 v64, v64, v52
	v_cmp_eq_u32_e32 vcc_lo, 11, v95
	v_cndmask_b32_e64 v63, v63, v55, s1
	s_delay_alu instid0(VALU_DEP_3) | instskip(SKIP_1) | instid1(VALU_DEP_1)
	v_cndmask_b32_e64 v65, v64, v54, s1
	v_add_co_u32 v95, s1, v95, 1
	v_add_co_ci_u32_e64 v60, s1, 0, v60, s1
	s_delay_alu instid0(VALU_DEP_3) | instskip(SKIP_2) | instid1(VALU_DEP_2)
	v_dual_cndmask_b32 v64, v63, v57 :: v_dual_cndmask_b32 v63, v65, v56
	v_cmp_eq_u32_e32 vcc_lo, 0, v58
	s_waitcnt lgkmcnt(0)
	v_fma_f64 v[90:91], v[63:64], v[61:62], v[90:91]
	s_or_b32 s3, vcc_lo, s3
	s_delay_alu instid0(SALU_CYCLE_1)
	s_and_not1_b32 exec_lo, exec_lo, s3
	s_cbranch_execnz .LBB75_111
; %bb.112:
	s_or_b32 exec_lo, exec_lo, s3
.LBB75_113:
	s_delay_alu instid0(SALU_CYCLE_1)
	s_or_b32 exec_lo, exec_lo, s2
.LBB75_114:
	s_delay_alu instid0(SALU_CYCLE_1)
	s_or_b32 exec_lo, exec_lo, s5
	v_mov_b32_e32 v40, 0
	ds_load_b64 v[40:41], v40 offset:24
	s_waitcnt lgkmcnt(0)
	v_mul_f64 v[40:41], v[90:91], v[40:41]
.LBB75_115:
	s_or_b32 exec_lo, exec_lo, s4
	v_cmp_lt_u32_e64 s1, 2, v0
	ds_store_b64 v92, v[38:39]
	s_waitcnt lgkmcnt(0)
	s_barrier
	buffer_gl0_inv
	s_and_saveexec_b32 s4, s1
	s_cbranch_execz .LBB75_131
; %bb.116:
	s_and_not1_b32 vcc_lo, exec_lo, s14
	s_cbranch_vccnz .LBB75_118
; %bb.117:
	v_cmp_eq_u32_e32 vcc_lo, 1, v0
	v_dual_cndmask_b32 v90, v35, v37 :: v_dual_cndmask_b32 v91, v34, v36
	v_cmp_eq_u32_e32 vcc_lo, 2, v0
	s_delay_alu instid0(VALU_DEP_2) | instskip(SKIP_1) | instid1(VALU_DEP_2)
	v_dual_cndmask_b32 v90, v90, v39 :: v_dual_cndmask_b32 v91, v91, v38
	v_cmp_eq_u32_e32 vcc_lo, 3, v0
	v_dual_cndmask_b32 v90, v90, v41 :: v_dual_cndmask_b32 v91, v91, v40
	v_cmp_eq_u32_e32 vcc_lo, 4, v0
	s_delay_alu instid0(VALU_DEP_2) | instskip(SKIP_1) | instid1(VALU_DEP_2)
	v_dual_cndmask_b32 v90, v90, v43 :: v_dual_cndmask_b32 v91, v91, v42
	;; [unrolled: 5-line block ×3, first 2 shown]
	v_cmp_eq_u32_e32 vcc_lo, 7, v0
	v_dual_cndmask_b32 v90, v90, v49 :: v_dual_cndmask_b32 v91, v91, v48
	v_cmp_eq_u32_e32 vcc_lo, 8, v0
	s_delay_alu instid0(VALU_DEP_2) | instskip(SKIP_4) | instid1(VALU_DEP_2)
	v_dual_cndmask_b32 v93, v90, v51 :: v_dual_cndmask_b32 v94, v91, v50
	v_cmp_eq_u32_e32 vcc_lo, 9, v0
	ds_load_b64 v[90:91], v92
	v_dual_cndmask_b32 v93, v93, v53 :: v_dual_cndmask_b32 v94, v94, v52
	v_cmp_eq_u32_e32 vcc_lo, 10, v0
	v_cndmask_b32_e32 v93, v93, v55, vcc_lo
	s_delay_alu instid0(VALU_DEP_3) | instskip(SKIP_1) | instid1(VALU_DEP_2)
	v_cndmask_b32_e32 v95, v94, v54, vcc_lo
	v_cmp_eq_u32_e32 vcc_lo, 11, v0
	v_dual_cndmask_b32 v94, v93, v57 :: v_dual_cndmask_b32 v93, v95, v56
	s_waitcnt lgkmcnt(0)
	s_delay_alu instid0(VALU_DEP_1)
	v_mul_f64 v[90:91], v[93:94], v[90:91]
	s_cbranch_execz .LBB75_119
	s_branch .LBB75_120
.LBB75_118:
                                        ; implicit-def: $vgpr90_vgpr91
.LBB75_119:
	ds_load_b64 v[90:91], v92
.LBB75_120:
	s_and_saveexec_b32 s5, s0
	s_cbranch_execz .LBB75_130
; %bb.121:
	v_dual_mov_b32 v95, 3 :: v_dual_add_nc_u32 v94, -4, v0
	v_add_nc_u32_e32 v93, -3, v0
	s_mov_b32 s0, exec_lo
	s_delay_alu instid0(VALU_DEP_2)
	v_cmpx_lt_u32_e32 6, v94
	s_cbranch_execz .LBB75_125
; %bb.122:
	s_delay_alu instid0(VALU_DEP_2) | instskip(SKIP_3) | instid1(VALU_DEP_1)
	v_and_b32_e32 v94, -8, v93
	s_mov_b32 s6, 0
	s_mov_b64 s[2:3], 10
	s_movk_i32 s7, 0x78
	v_sub_nc_u32_e32 v94, 0, v94
.LBB75_123:                             ; =>This Inner Loop Header: Depth=1
	v_mov_b32_e32 v105, s7
	s_lshl_b32 s8, s2, 1
	s_delay_alu instid0(SALU_CYCLE_1)
	s_add_i32 m0, s8, -13
	v_movrels_b32_e32 v104, v34
	ds_load_2addr_b64 v[95:98], v105 offset1:1
	ds_load_2addr_b64 v[99:102], v105 offset0:2 offset1:3
	s_add_i32 m0, s8, -14
	v_movrels_b32_e32 v103, v34
	s_add_i32 m0, s8, -11
	s_waitcnt lgkmcnt(1)
	s_delay_alu instid0(VALU_DEP_1) | instskip(SKIP_4) | instid1(VALU_DEP_1)
	v_fma_f64 v[90:91], v[103:104], v[95:96], v[90:91]
	v_movrels_b32_e32 v96, v34
	s_add_i32 m0, s8, -12
	v_movrels_b32_e32 v95, v34
	s_add_i32 m0, s8, -9
	v_fma_f64 v[90:91], v[95:96], v[97:98], v[90:91]
	v_movrels_b32_e32 v96, v34
	s_add_i32 m0, s8, -10
	v_movrels_b32_e32 v95, v34
	s_add_i32 m0, s8, -7
	s_waitcnt lgkmcnt(0)
	s_delay_alu instid0(VALU_DEP_1)
	v_fma_f64 v[90:91], v[95:96], v[99:100], v[90:91]
	v_movrels_b32_e32 v96, v34
	s_add_i32 m0, s8, -8
	v_movrels_b32_e32 v95, v34
	s_add_i32 m0, s8, -5
	v_movrels_b32_e32 v104, v34
	s_add_i32 m0, s8, -6
	v_movrels_b32_e32 v103, v34
	s_add_i32 m0, s8, -3
	v_fma_f64 v[90:91], v[95:96], v[101:102], v[90:91]
	ds_load_2addr_b64 v[95:98], v105 offset0:4 offset1:5
	ds_load_2addr_b64 v[99:102], v105 offset0:6 offset1:7
	s_waitcnt lgkmcnt(1)
	v_fma_f64 v[90:91], v[103:104], v[95:96], v[90:91]
	v_movrels_b32_e32 v96, v34
	s_add_i32 m0, s8, -4
	v_movrels_b32_e32 v95, v34
	s_add_i32 m0, s8, -1
	s_delay_alu instid0(VALU_DEP_1)
	v_fma_f64 v[90:91], v[95:96], v[97:98], v[90:91]
	v_movrels_b32_e32 v96, v34
	s_add_i32 m0, s8, -2
	s_add_u32 s2, s2, 8
	v_movrels_b32_e32 v95, v34
	s_mov_b32 m0, s8
	s_addc_u32 s3, s3, 0
	s_add_i32 s8, s2, -7
	s_add_i32 s7, s7, 64
	s_waitcnt lgkmcnt(0)
	s_delay_alu instid0(VALU_DEP_3) | instskip(SKIP_2) | instid1(VALU_DEP_1)
	v_fma_f64 v[90:91], v[95:96], v[99:100], v[90:91]
	v_movrels_b32_e32 v96, v35
	v_movrels_b32_e32 v95, v34
	v_fma_f64 v[90:91], v[95:96], v[101:102], v[90:91]
	v_add_nc_u32_e32 v95, s2, v94
	s_delay_alu instid0(VALU_DEP_1) | instskip(SKIP_2) | instid1(SALU_CYCLE_1)
	v_cmp_eq_u32_e32 vcc_lo, 10, v95
	v_mov_b32_e32 v95, s8
	s_or_b32 s6, vcc_lo, s6
	s_and_not1_b32 exec_lo, exec_lo, s6
	s_cbranch_execnz .LBB75_123
; %bb.124:
	s_or_b32 exec_lo, exec_lo, s6
.LBB75_125:
	s_delay_alu instid0(SALU_CYCLE_1) | instskip(SKIP_3) | instid1(VALU_DEP_1)
	s_or_b32 exec_lo, exec_lo, s0
	v_and_b32_e32 v58, 7, v93
	s_mov_b32 s3, 0
	s_mov_b32 s2, exec_lo
	v_cmpx_ne_u32_e32 0, v58
	s_cbranch_execz .LBB75_129
; %bb.126:
	v_lshl_add_u32 v59, v95, 3, 0x60
	v_mov_b32_e32 v60, 0
.LBB75_127:                             ; =>This Inner Loop Header: Depth=1
	v_cmp_eq_u32_e32 vcc_lo, 1, v95
	v_cmp_eq_u32_e64 s0, 2, v95
	v_dual_cndmask_b32 v61, v35, v37 :: v_dual_add_nc_u32 v58, -1, v58
	v_cndmask_b32_e32 v62, v34, v36, vcc_lo
	v_cmp_eq_u32_e32 vcc_lo, 3, v95
	s_delay_alu instid0(VALU_DEP_3) | instskip(NEXT) | instid1(VALU_DEP_3)
	v_cndmask_b32_e64 v61, v61, v39, s0
	v_cndmask_b32_e64 v62, v62, v38, s0
	v_cmp_eq_u32_e64 s0, 4, v95
	s_delay_alu instid0(VALU_DEP_2) | instskip(SKIP_1) | instid1(VALU_DEP_2)
	v_dual_cndmask_b32 v61, v61, v41 :: v_dual_cndmask_b32 v62, v62, v40
	v_cmp_eq_u32_e32 vcc_lo, 5, v95
	v_cndmask_b32_e64 v61, v61, v43, s0
	s_delay_alu instid0(VALU_DEP_3) | instskip(SKIP_1) | instid1(VALU_DEP_2)
	v_cndmask_b32_e64 v62, v62, v42, s0
	v_cmp_eq_u32_e64 s0, 6, v95
	v_dual_cndmask_b32 v61, v61, v45 :: v_dual_cndmask_b32 v62, v62, v44
	v_cmp_eq_u32_e32 vcc_lo, 7, v95
	s_delay_alu instid0(VALU_DEP_2) | instskip(NEXT) | instid1(VALU_DEP_3)
	v_cndmask_b32_e64 v61, v61, v47, s0
	v_cndmask_b32_e64 v62, v62, v46, s0
	v_cmp_eq_u32_e64 s0, 8, v95
	s_delay_alu instid0(VALU_DEP_2)
	v_dual_cndmask_b32 v63, v61, v49 :: v_dual_cndmask_b32 v64, v62, v48
	ds_load_b64 v[61:62], v59
	v_cmp_eq_u32_e32 vcc_lo, 9, v95
	v_add_nc_u32_e32 v59, 8, v59
	v_cndmask_b32_e64 v63, v63, v51, s0
	v_cndmask_b32_e64 v64, v64, v50, s0
	v_cmp_eq_u32_e64 s0, 10, v95
	s_delay_alu instid0(VALU_DEP_2) | instskip(SKIP_1) | instid1(VALU_DEP_2)
	v_dual_cndmask_b32 v63, v63, v53 :: v_dual_cndmask_b32 v64, v64, v52
	v_cmp_eq_u32_e32 vcc_lo, 11, v95
	v_cndmask_b32_e64 v63, v63, v55, s0
	s_delay_alu instid0(VALU_DEP_3) | instskip(SKIP_1) | instid1(VALU_DEP_1)
	v_cndmask_b32_e64 v65, v64, v54, s0
	v_add_co_u32 v95, s0, v95, 1
	v_add_co_ci_u32_e64 v60, s0, 0, v60, s0
	s_delay_alu instid0(VALU_DEP_3) | instskip(SKIP_2) | instid1(VALU_DEP_2)
	v_dual_cndmask_b32 v64, v63, v57 :: v_dual_cndmask_b32 v63, v65, v56
	v_cmp_eq_u32_e32 vcc_lo, 0, v58
	s_waitcnt lgkmcnt(0)
	v_fma_f64 v[90:91], v[63:64], v[61:62], v[90:91]
	s_or_b32 s3, vcc_lo, s3
	s_delay_alu instid0(SALU_CYCLE_1)
	s_and_not1_b32 exec_lo, exec_lo, s3
	s_cbranch_execnz .LBB75_127
; %bb.128:
	s_or_b32 exec_lo, exec_lo, s3
.LBB75_129:
	s_delay_alu instid0(SALU_CYCLE_1)
	s_or_b32 exec_lo, exec_lo, s2
.LBB75_130:
	s_delay_alu instid0(SALU_CYCLE_1)
	s_or_b32 exec_lo, exec_lo, s5
	v_mov_b32_e32 v38, 0
	ds_load_b64 v[38:39], v38 offset:16
	s_waitcnt lgkmcnt(0)
	v_mul_f64 v[38:39], v[90:91], v[38:39]
.LBB75_131:
	s_or_b32 exec_lo, exec_lo, s4
	v_cmp_lt_u32_e64 s0, 1, v0
	ds_store_b64 v92, v[36:37]
	s_waitcnt lgkmcnt(0)
	s_barrier
	buffer_gl0_inv
	s_and_saveexec_b32 s4, s0
	s_cbranch_execz .LBB75_147
; %bb.132:
	s_and_not1_b32 vcc_lo, exec_lo, s14
	s_cbranch_vccnz .LBB75_134
; %bb.133:
	v_cmp_eq_u32_e32 vcc_lo, 1, v0
	v_dual_cndmask_b32 v90, v35, v37 :: v_dual_cndmask_b32 v91, v34, v36
	v_cmp_eq_u32_e32 vcc_lo, 2, v0
	s_delay_alu instid0(VALU_DEP_2) | instskip(SKIP_1) | instid1(VALU_DEP_2)
	v_dual_cndmask_b32 v90, v90, v39 :: v_dual_cndmask_b32 v91, v91, v38
	v_cmp_eq_u32_e32 vcc_lo, 3, v0
	v_dual_cndmask_b32 v90, v90, v41 :: v_dual_cndmask_b32 v91, v91, v40
	v_cmp_eq_u32_e32 vcc_lo, 4, v0
	s_delay_alu instid0(VALU_DEP_2) | instskip(SKIP_1) | instid1(VALU_DEP_2)
	v_dual_cndmask_b32 v90, v90, v43 :: v_dual_cndmask_b32 v91, v91, v42
	;; [unrolled: 5-line block ×3, first 2 shown]
	v_cmp_eq_u32_e32 vcc_lo, 7, v0
	v_dual_cndmask_b32 v90, v90, v49 :: v_dual_cndmask_b32 v91, v91, v48
	v_cmp_eq_u32_e32 vcc_lo, 8, v0
	s_delay_alu instid0(VALU_DEP_2) | instskip(SKIP_4) | instid1(VALU_DEP_2)
	v_dual_cndmask_b32 v93, v90, v51 :: v_dual_cndmask_b32 v94, v91, v50
	v_cmp_eq_u32_e32 vcc_lo, 9, v0
	ds_load_b64 v[90:91], v92
	v_dual_cndmask_b32 v93, v93, v53 :: v_dual_cndmask_b32 v94, v94, v52
	v_cmp_eq_u32_e32 vcc_lo, 10, v0
	v_cndmask_b32_e32 v93, v93, v55, vcc_lo
	s_delay_alu instid0(VALU_DEP_3) | instskip(SKIP_1) | instid1(VALU_DEP_2)
	v_cndmask_b32_e32 v95, v94, v54, vcc_lo
	v_cmp_eq_u32_e32 vcc_lo, 11, v0
	v_dual_cndmask_b32 v94, v93, v57 :: v_dual_cndmask_b32 v93, v95, v56
	s_waitcnt lgkmcnt(0)
	s_delay_alu instid0(VALU_DEP_1)
	v_mul_f64 v[90:91], v[93:94], v[90:91]
	s_cbranch_execz .LBB75_135
	s_branch .LBB75_136
.LBB75_134:
                                        ; implicit-def: $vgpr90_vgpr91
.LBB75_135:
	ds_load_b64 v[90:91], v92
.LBB75_136:
	s_and_saveexec_b32 s5, s1
	s_cbranch_execz .LBB75_146
; %bb.137:
	v_add_nc_u32_e32 v94, -3, v0
	v_add_nc_u32_e32 v93, -2, v0
	s_delay_alu instid0(VALU_DEP_2)
	v_cmp_lt_u32_e32 vcc_lo, 6, v94
	v_mov_b32_e32 v94, 2
	s_and_saveexec_b32 s1, vcc_lo
	s_cbranch_execz .LBB75_141
; %bb.138:
	v_and_b32_e32 v94, -8, v93
	s_mov_b32 s6, 0
	s_mov_b64 s[2:3], 9
	s_movk_i32 s7, 0x70
	s_delay_alu instid0(VALU_DEP_1)
	v_sub_nc_u32_e32 v95, 0, v94
.LBB75_139:                             ; =>This Inner Loop Header: Depth=1
	v_mov_b32_e32 v94, s7
	s_lshl_b32 s8, s2, 1
	s_delay_alu instid0(SALU_CYCLE_1)
	s_add_i32 m0, s8, -13
	v_movrels_b32_e32 v105, v34
	ds_load_b128 v[96:99], v94
	ds_load_b128 v[100:103], v94 offset:16
	s_add_i32 m0, s8, -14
	v_movrels_b32_e32 v104, v34
	s_add_i32 m0, s8, -11
	s_waitcnt lgkmcnt(1)
	s_delay_alu instid0(VALU_DEP_1) | instskip(SKIP_4) | instid1(VALU_DEP_1)
	v_fma_f64 v[90:91], v[104:105], v[96:97], v[90:91]
	v_movrels_b32_e32 v97, v34
	s_add_i32 m0, s8, -12
	v_movrels_b32_e32 v96, v34
	s_add_i32 m0, s8, -9
	v_fma_f64 v[90:91], v[96:97], v[98:99], v[90:91]
	v_movrels_b32_e32 v97, v34
	s_add_i32 m0, s8, -10
	v_movrels_b32_e32 v96, v34
	s_add_i32 m0, s8, -7
	s_waitcnt lgkmcnt(0)
	s_delay_alu instid0(VALU_DEP_1)
	v_fma_f64 v[90:91], v[96:97], v[100:101], v[90:91]
	v_movrels_b32_e32 v97, v34
	s_add_i32 m0, s8, -8
	v_movrels_b32_e32 v96, v34
	s_add_i32 m0, s8, -5
	;; [unrolled: 2-line block ×4, first 2 shown]
	v_fma_f64 v[90:91], v[96:97], v[102:103], v[90:91]
	ds_load_b128 v[96:99], v94 offset:32
	ds_load_b128 v[100:103], v94 offset:48
	s_waitcnt lgkmcnt(1)
	v_fma_f64 v[90:91], v[104:105], v[96:97], v[90:91]
	v_movrels_b32_e32 v97, v34
	s_add_i32 m0, s8, -4
	v_movrels_b32_e32 v96, v34
	s_add_i32 m0, s8, -1
	s_delay_alu instid0(VALU_DEP_1)
	v_fma_f64 v[90:91], v[96:97], v[98:99], v[90:91]
	v_movrels_b32_e32 v97, v34
	s_add_i32 m0, s8, -2
	s_add_u32 s2, s2, 8
	v_movrels_b32_e32 v96, v34
	s_mov_b32 m0, s8
	v_add_nc_u32_e32 v94, s2, v95
	s_addc_u32 s3, s3, 0
	s_add_i32 s8, s2, -7
	s_add_i32 s7, s7, 64
	s_delay_alu instid0(VALU_DEP_1)
	v_cmp_eq_u32_e32 vcc_lo, 9, v94
	v_mov_b32_e32 v94, s8
	s_or_b32 s6, vcc_lo, s6
	s_waitcnt lgkmcnt(0)
	v_fma_f64 v[90:91], v[96:97], v[100:101], v[90:91]
	v_movrels_b32_e32 v97, v35
	v_movrels_b32_e32 v96, v34
	s_delay_alu instid0(VALU_DEP_1)
	v_fma_f64 v[90:91], v[96:97], v[102:103], v[90:91]
	s_and_not1_b32 exec_lo, exec_lo, s6
	s_cbranch_execnz .LBB75_139
; %bb.140:
	s_or_b32 exec_lo, exec_lo, s6
.LBB75_141:
	s_delay_alu instid0(SALU_CYCLE_1) | instskip(SKIP_3) | instid1(VALU_DEP_1)
	s_or_b32 exec_lo, exec_lo, s1
	v_and_b32_e32 v58, 7, v93
	s_mov_b32 s3, 0
	s_mov_b32 s2, exec_lo
	v_cmpx_ne_u32_e32 0, v58
	s_cbranch_execz .LBB75_145
; %bb.142:
	v_lshl_add_u32 v59, v94, 3, 0x60
	v_mov_b32_e32 v60, 0
.LBB75_143:                             ; =>This Inner Loop Header: Depth=1
	v_cmp_eq_u32_e32 vcc_lo, 1, v94
	v_cmp_eq_u32_e64 s1, 2, v94
	v_dual_cndmask_b32 v61, v35, v37 :: v_dual_add_nc_u32 v58, -1, v58
	v_cndmask_b32_e32 v62, v34, v36, vcc_lo
	v_cmp_eq_u32_e32 vcc_lo, 3, v94
	s_delay_alu instid0(VALU_DEP_3) | instskip(NEXT) | instid1(VALU_DEP_3)
	v_cndmask_b32_e64 v61, v61, v39, s1
	v_cndmask_b32_e64 v62, v62, v38, s1
	v_cmp_eq_u32_e64 s1, 4, v94
	s_delay_alu instid0(VALU_DEP_2) | instskip(SKIP_1) | instid1(VALU_DEP_2)
	v_dual_cndmask_b32 v61, v61, v41 :: v_dual_cndmask_b32 v62, v62, v40
	v_cmp_eq_u32_e32 vcc_lo, 5, v94
	v_cndmask_b32_e64 v61, v61, v43, s1
	s_delay_alu instid0(VALU_DEP_3) | instskip(SKIP_1) | instid1(VALU_DEP_2)
	v_cndmask_b32_e64 v62, v62, v42, s1
	v_cmp_eq_u32_e64 s1, 6, v94
	v_dual_cndmask_b32 v61, v61, v45 :: v_dual_cndmask_b32 v62, v62, v44
	v_cmp_eq_u32_e32 vcc_lo, 7, v94
	s_delay_alu instid0(VALU_DEP_2) | instskip(NEXT) | instid1(VALU_DEP_3)
	v_cndmask_b32_e64 v61, v61, v47, s1
	v_cndmask_b32_e64 v62, v62, v46, s1
	v_cmp_eq_u32_e64 s1, 8, v94
	s_delay_alu instid0(VALU_DEP_2)
	v_dual_cndmask_b32 v63, v61, v49 :: v_dual_cndmask_b32 v64, v62, v48
	ds_load_b64 v[61:62], v59
	v_cmp_eq_u32_e32 vcc_lo, 9, v94
	v_add_nc_u32_e32 v59, 8, v59
	v_cndmask_b32_e64 v63, v63, v51, s1
	v_cndmask_b32_e64 v64, v64, v50, s1
	v_cmp_eq_u32_e64 s1, 10, v94
	s_delay_alu instid0(VALU_DEP_2) | instskip(SKIP_1) | instid1(VALU_DEP_2)
	v_dual_cndmask_b32 v63, v63, v53 :: v_dual_cndmask_b32 v64, v64, v52
	v_cmp_eq_u32_e32 vcc_lo, 11, v94
	v_cndmask_b32_e64 v63, v63, v55, s1
	s_delay_alu instid0(VALU_DEP_3) | instskip(SKIP_1) | instid1(VALU_DEP_1)
	v_cndmask_b32_e64 v65, v64, v54, s1
	v_add_co_u32 v94, s1, v94, 1
	v_add_co_ci_u32_e64 v60, s1, 0, v60, s1
	s_delay_alu instid0(VALU_DEP_3) | instskip(SKIP_2) | instid1(VALU_DEP_2)
	v_dual_cndmask_b32 v64, v63, v57 :: v_dual_cndmask_b32 v63, v65, v56
	v_cmp_eq_u32_e32 vcc_lo, 0, v58
	s_waitcnt lgkmcnt(0)
	v_fma_f64 v[90:91], v[63:64], v[61:62], v[90:91]
	s_or_b32 s3, vcc_lo, s3
	s_delay_alu instid0(SALU_CYCLE_1)
	s_and_not1_b32 exec_lo, exec_lo, s3
	s_cbranch_execnz .LBB75_143
; %bb.144:
	s_or_b32 exec_lo, exec_lo, s3
.LBB75_145:
	s_delay_alu instid0(SALU_CYCLE_1)
	s_or_b32 exec_lo, exec_lo, s2
.LBB75_146:
	s_delay_alu instid0(SALU_CYCLE_1)
	s_or_b32 exec_lo, exec_lo, s5
	v_mov_b32_e32 v36, 0
	ds_load_b64 v[36:37], v36 offset:8
	s_waitcnt lgkmcnt(0)
	v_mul_f64 v[36:37], v[90:91], v[36:37]
.LBB75_147:
	s_or_b32 exec_lo, exec_lo, s4
	s_mov_b32 s2, 0
	s_mov_b32 s3, exec_lo
	ds_store_b64 v92, v[34:35]
	s_waitcnt lgkmcnt(0)
	s_barrier
	buffer_gl0_inv
	v_cmpx_ne_u32_e32 0, v0
	s_cbranch_execz .LBB75_163
; %bb.148:
	s_and_not1_b32 vcc_lo, exec_lo, s14
	s_cbranch_vccnz .LBB75_150
; %bb.149:
	v_cmp_eq_u32_e32 vcc_lo, 1, v0
	v_dual_cndmask_b32 v90, v35, v37 :: v_dual_cndmask_b32 v91, v34, v36
	v_cmp_eq_u32_e32 vcc_lo, 2, v0
	s_delay_alu instid0(VALU_DEP_2) | instskip(SKIP_1) | instid1(VALU_DEP_2)
	v_dual_cndmask_b32 v90, v90, v39 :: v_dual_cndmask_b32 v91, v91, v38
	v_cmp_eq_u32_e32 vcc_lo, 3, v0
	v_dual_cndmask_b32 v90, v90, v41 :: v_dual_cndmask_b32 v91, v91, v40
	v_cmp_eq_u32_e32 vcc_lo, 4, v0
	s_delay_alu instid0(VALU_DEP_2) | instskip(SKIP_1) | instid1(VALU_DEP_2)
	v_dual_cndmask_b32 v90, v90, v43 :: v_dual_cndmask_b32 v91, v91, v42
	;; [unrolled: 5-line block ×3, first 2 shown]
	v_cmp_eq_u32_e32 vcc_lo, 7, v0
	v_dual_cndmask_b32 v90, v90, v49 :: v_dual_cndmask_b32 v91, v91, v48
	v_cmp_eq_u32_e32 vcc_lo, 8, v0
	s_delay_alu instid0(VALU_DEP_2) | instskip(SKIP_4) | instid1(VALU_DEP_2)
	v_dual_cndmask_b32 v93, v90, v51 :: v_dual_cndmask_b32 v94, v91, v50
	v_cmp_eq_u32_e32 vcc_lo, 9, v0
	ds_load_b64 v[90:91], v92
	v_dual_cndmask_b32 v93, v93, v53 :: v_dual_cndmask_b32 v94, v94, v52
	v_cmp_eq_u32_e32 vcc_lo, 10, v0
	v_cndmask_b32_e32 v93, v93, v55, vcc_lo
	s_delay_alu instid0(VALU_DEP_3) | instskip(SKIP_1) | instid1(VALU_DEP_2)
	v_cndmask_b32_e32 v95, v94, v54, vcc_lo
	v_cmp_eq_u32_e32 vcc_lo, 11, v0
	v_dual_cndmask_b32 v94, v93, v57 :: v_dual_cndmask_b32 v93, v95, v56
	s_waitcnt lgkmcnt(0)
	s_delay_alu instid0(VALU_DEP_1)
	v_mul_f64 v[90:91], v[93:94], v[90:91]
	s_cbranch_execz .LBB75_151
	s_branch .LBB75_152
.LBB75_150:
                                        ; implicit-def: $vgpr90_vgpr91
.LBB75_151:
	ds_load_b64 v[90:91], v92
.LBB75_152:
	s_and_saveexec_b32 s4, s0
	s_cbranch_execz .LBB75_162
; %bb.153:
	v_dual_mov_b32 v95, 1 :: v_dual_add_nc_u32 v94, -2, v0
	v_add_nc_u32_e32 v93, -1, v0
	s_mov_b32 s5, exec_lo
	s_delay_alu instid0(VALU_DEP_2)
	v_cmpx_lt_u32_e32 6, v94
	s_cbranch_execz .LBB75_157
; %bb.154:
	s_delay_alu instid0(VALU_DEP_2) | instskip(SKIP_3) | instid1(VALU_DEP_1)
	v_and_b32_e32 v94, -8, v93
	s_mov_b32 s6, 0
	s_mov_b64 s[0:1], 8
	s_movk_i32 s7, 0x68
	v_sub_nc_u32_e32 v94, 0, v94
.LBB75_155:                             ; =>This Inner Loop Header: Depth=1
	v_mov_b32_e32 v105, s7
	s_lshl_b32 s8, s0, 1
	s_delay_alu instid0(SALU_CYCLE_1)
	s_add_i32 m0, s8, -13
	v_movrels_b32_e32 v104, v34
	ds_load_2addr_b64 v[95:98], v105 offset1:1
	ds_load_2addr_b64 v[99:102], v105 offset0:2 offset1:3
	s_add_i32 m0, s8, -14
	v_movrels_b32_e32 v103, v34
	s_add_i32 m0, s8, -11
	s_waitcnt lgkmcnt(1)
	s_delay_alu instid0(VALU_DEP_1) | instskip(SKIP_4) | instid1(VALU_DEP_1)
	v_fma_f64 v[90:91], v[103:104], v[95:96], v[90:91]
	v_movrels_b32_e32 v96, v34
	s_add_i32 m0, s8, -12
	v_movrels_b32_e32 v95, v34
	s_add_i32 m0, s8, -9
	v_fma_f64 v[90:91], v[95:96], v[97:98], v[90:91]
	v_movrels_b32_e32 v96, v34
	s_add_i32 m0, s8, -10
	v_movrels_b32_e32 v95, v34
	s_add_i32 m0, s8, -7
	s_waitcnt lgkmcnt(0)
	s_delay_alu instid0(VALU_DEP_1)
	v_fma_f64 v[90:91], v[95:96], v[99:100], v[90:91]
	v_movrels_b32_e32 v96, v34
	s_add_i32 m0, s8, -8
	v_movrels_b32_e32 v95, v34
	s_add_i32 m0, s8, -5
	;; [unrolled: 2-line block ×4, first 2 shown]
	v_fma_f64 v[90:91], v[95:96], v[101:102], v[90:91]
	ds_load_2addr_b64 v[95:98], v105 offset0:4 offset1:5
	ds_load_2addr_b64 v[99:102], v105 offset0:6 offset1:7
	s_waitcnt lgkmcnt(1)
	v_fma_f64 v[90:91], v[103:104], v[95:96], v[90:91]
	v_movrels_b32_e32 v96, v34
	s_add_i32 m0, s8, -4
	v_movrels_b32_e32 v95, v34
	s_add_i32 m0, s8, -1
	s_delay_alu instid0(VALU_DEP_1)
	v_fma_f64 v[90:91], v[95:96], v[97:98], v[90:91]
	v_movrels_b32_e32 v96, v34
	s_add_i32 m0, s8, -2
	s_add_u32 s0, s0, 8
	v_movrels_b32_e32 v95, v34
	s_mov_b32 m0, s8
	s_addc_u32 s1, s1, 0
	s_add_i32 s8, s0, -7
	s_add_i32 s7, s7, 64
	s_waitcnt lgkmcnt(0)
	s_delay_alu instid0(VALU_DEP_3) | instskip(SKIP_2) | instid1(VALU_DEP_1)
	v_fma_f64 v[90:91], v[95:96], v[99:100], v[90:91]
	v_movrels_b32_e32 v96, v35
	v_movrels_b32_e32 v95, v34
	v_fma_f64 v[90:91], v[95:96], v[101:102], v[90:91]
	v_add_nc_u32_e32 v95, s0, v94
	s_delay_alu instid0(VALU_DEP_1) | instskip(SKIP_2) | instid1(SALU_CYCLE_1)
	v_cmp_eq_u32_e32 vcc_lo, 8, v95
	v_mov_b32_e32 v95, s8
	s_or_b32 s6, vcc_lo, s6
	s_and_not1_b32 exec_lo, exec_lo, s6
	s_cbranch_execnz .LBB75_155
; %bb.156:
	s_or_b32 exec_lo, exec_lo, s6
.LBB75_157:
	s_delay_alu instid0(SALU_CYCLE_1) | instskip(SKIP_3) | instid1(VALU_DEP_1)
	s_or_b32 exec_lo, exec_lo, s5
	v_and_b32_e32 v58, 7, v93
	s_mov_b32 s5, 0
	s_mov_b32 s1, exec_lo
	v_cmpx_ne_u32_e32 0, v58
	s_cbranch_execz .LBB75_161
; %bb.158:
	v_lshl_add_u32 v59, v95, 3, 0x60
	v_mov_b32_e32 v60, 0
.LBB75_159:                             ; =>This Inner Loop Header: Depth=1
	v_cmp_eq_u32_e32 vcc_lo, 1, v95
	v_cmp_eq_u32_e64 s0, 2, v95
	v_dual_cndmask_b32 v61, v35, v37 :: v_dual_add_nc_u32 v58, -1, v58
	v_cndmask_b32_e32 v62, v34, v36, vcc_lo
	v_cmp_eq_u32_e32 vcc_lo, 3, v95
	s_delay_alu instid0(VALU_DEP_3) | instskip(NEXT) | instid1(VALU_DEP_3)
	v_cndmask_b32_e64 v61, v61, v39, s0
	v_cndmask_b32_e64 v62, v62, v38, s0
	v_cmp_eq_u32_e64 s0, 4, v95
	s_delay_alu instid0(VALU_DEP_2) | instskip(SKIP_1) | instid1(VALU_DEP_2)
	v_dual_cndmask_b32 v61, v61, v41 :: v_dual_cndmask_b32 v62, v62, v40
	v_cmp_eq_u32_e32 vcc_lo, 5, v95
	v_cndmask_b32_e64 v61, v61, v43, s0
	s_delay_alu instid0(VALU_DEP_3) | instskip(SKIP_1) | instid1(VALU_DEP_2)
	v_cndmask_b32_e64 v62, v62, v42, s0
	v_cmp_eq_u32_e64 s0, 6, v95
	v_dual_cndmask_b32 v61, v61, v45 :: v_dual_cndmask_b32 v62, v62, v44
	v_cmp_eq_u32_e32 vcc_lo, 7, v95
	s_delay_alu instid0(VALU_DEP_2) | instskip(NEXT) | instid1(VALU_DEP_3)
	v_cndmask_b32_e64 v61, v61, v47, s0
	v_cndmask_b32_e64 v62, v62, v46, s0
	v_cmp_eq_u32_e64 s0, 8, v95
	s_delay_alu instid0(VALU_DEP_2)
	v_dual_cndmask_b32 v63, v61, v49 :: v_dual_cndmask_b32 v64, v62, v48
	ds_load_b64 v[61:62], v59
	v_cmp_eq_u32_e32 vcc_lo, 9, v95
	v_add_nc_u32_e32 v59, 8, v59
	v_cndmask_b32_e64 v63, v63, v51, s0
	v_cndmask_b32_e64 v64, v64, v50, s0
	v_cmp_eq_u32_e64 s0, 10, v95
	s_delay_alu instid0(VALU_DEP_2) | instskip(SKIP_1) | instid1(VALU_DEP_2)
	v_dual_cndmask_b32 v63, v63, v53 :: v_dual_cndmask_b32 v64, v64, v52
	v_cmp_eq_u32_e32 vcc_lo, 11, v95
	v_cndmask_b32_e64 v63, v63, v55, s0
	s_delay_alu instid0(VALU_DEP_3) | instskip(SKIP_1) | instid1(VALU_DEP_1)
	v_cndmask_b32_e64 v65, v64, v54, s0
	v_add_co_u32 v95, s0, v95, 1
	v_add_co_ci_u32_e64 v60, s0, 0, v60, s0
	s_delay_alu instid0(VALU_DEP_3) | instskip(SKIP_2) | instid1(VALU_DEP_2)
	v_dual_cndmask_b32 v64, v63, v57 :: v_dual_cndmask_b32 v63, v65, v56
	v_cmp_eq_u32_e32 vcc_lo, 0, v58
	s_waitcnt lgkmcnt(0)
	v_fma_f64 v[90:91], v[63:64], v[61:62], v[90:91]
	s_or_b32 s5, vcc_lo, s5
	s_delay_alu instid0(SALU_CYCLE_1)
	s_and_not1_b32 exec_lo, exec_lo, s5
	s_cbranch_execnz .LBB75_159
; %bb.160:
	s_or_b32 exec_lo, exec_lo, s5
.LBB75_161:
	s_delay_alu instid0(SALU_CYCLE_1)
	s_or_b32 exec_lo, exec_lo, s1
.LBB75_162:
	s_delay_alu instid0(SALU_CYCLE_1)
	s_or_b32 exec_lo, exec_lo, s4
	v_mov_b32_e32 v34, 0
	ds_load_b64 v[34:35], v34
	s_waitcnt lgkmcnt(0)
	v_mul_f64 v[34:35], v[90:91], v[34:35]
.LBB75_163:
	s_or_b32 exec_lo, exec_lo, s3
	s_delay_alu instid0(SALU_CYCLE_1)
	s_and_b32 vcc_lo, exec_lo, s2
	s_cbranch_vccz .LBB75_281
.LBB75_164:
	v_cmp_eq_u32_e64 s0, 0, v0
	s_waitcnt vmcnt(11)
	ds_store_b64 v92, v[4:5]
	s_waitcnt vmcnt(0) lgkmcnt(0)
	s_barrier
	buffer_gl0_inv
	s_and_saveexec_b32 s1, s0
	s_cbranch_execz .LBB75_170
; %bb.165:
	s_and_b32 vcc_lo, exec_lo, s14
	s_cbranch_vccz .LBB75_167
; %bb.166:
	v_cmp_eq_u32_e32 vcc_lo, 1, v0
	v_dual_cndmask_b32 v5, v3, v5 :: v_dual_cndmask_b32 v4, v2, v4
	v_cmp_eq_u32_e32 vcc_lo, 2, v0
	s_delay_alu instid0(VALU_DEP_2) | instskip(SKIP_1) | instid1(VALU_DEP_2)
	v_dual_cndmask_b32 v5, v5, v7 :: v_dual_cndmask_b32 v4, v4, v6
	v_cmp_eq_u32_e32 vcc_lo, 3, v0
	v_dual_cndmask_b32 v5, v5, v9 :: v_dual_cndmask_b32 v4, v4, v8
	v_cmp_eq_u32_e32 vcc_lo, 4, v0
	s_delay_alu instid0(VALU_DEP_2) | instskip(SKIP_1) | instid1(VALU_DEP_2)
	v_dual_cndmask_b32 v5, v5, v11 :: v_dual_cndmask_b32 v4, v4, v10
	;; [unrolled: 5-line block ×3, first 2 shown]
	v_cmp_eq_u32_e32 vcc_lo, 7, v0
	v_dual_cndmask_b32 v5, v5, v17 :: v_dual_cndmask_b32 v4, v4, v16
	v_cmp_eq_u32_e32 vcc_lo, 8, v0
	s_delay_alu instid0(VALU_DEP_2) | instskip(SKIP_4) | instid1(VALU_DEP_2)
	v_dual_cndmask_b32 v26, v5, v19 :: v_dual_cndmask_b32 v27, v4, v18
	v_cmp_eq_u32_e32 vcc_lo, 9, v0
	ds_load_b64 v[4:5], v92
	v_dual_cndmask_b32 v26, v26, v21 :: v_dual_cndmask_b32 v27, v27, v20
	v_cmp_eq_u32_e32 vcc_lo, 10, v0
	v_cndmask_b32_e32 v26, v26, v23, vcc_lo
	s_delay_alu instid0(VALU_DEP_3) | instskip(SKIP_1) | instid1(VALU_DEP_2)
	v_cndmask_b32_e32 v28, v27, v22, vcc_lo
	v_cmp_eq_u32_e32 vcc_lo, 11, v0
	v_dual_cndmask_b32 v27, v26, v25 :: v_dual_cndmask_b32 v26, v28, v24
	s_waitcnt lgkmcnt(0)
	s_delay_alu instid0(VALU_DEP_1)
	v_mul_f64 v[4:5], v[26:27], v[4:5]
	s_cbranch_execz .LBB75_168
	s_branch .LBB75_169
.LBB75_167:
                                        ; implicit-def: $vgpr4_vgpr5
.LBB75_168:
	ds_load_b64 v[4:5], v92
.LBB75_169:
	v_mov_b32_e32 v26, 0
	ds_load_b64 v[26:27], v26 offset:8
	s_waitcnt lgkmcnt(0)
	v_mul_f64 v[4:5], v[4:5], v[26:27]
.LBB75_170:
	s_or_b32 exec_lo, exec_lo, s1
	v_add_nc_u32_e32 v35, 1, v0
	v_cndmask_b32_e64 v34, 0, 1, s14
	s_mov_b32 s1, exec_lo
	ds_store_b64 v92, v[6:7]
	s_waitcnt lgkmcnt(0)
	s_barrier
	buffer_gl0_inv
	v_cmpx_gt_u32_e32 2, v0
	s_cbranch_execz .LBB75_178
; %bb.171:
	s_and_not1_b32 vcc_lo, exec_lo, s14
	s_cbranch_vccnz .LBB75_173
; %bb.172:
	v_cmp_eq_u32_e32 vcc_lo, 1, v0
	v_dual_cndmask_b32 v26, v3, v5 :: v_dual_cndmask_b32 v27, v2, v4
	v_cmp_eq_u32_e32 vcc_lo, 2, v0
	s_delay_alu instid0(VALU_DEP_2) | instskip(SKIP_1) | instid1(VALU_DEP_2)
	v_dual_cndmask_b32 v26, v26, v7 :: v_dual_cndmask_b32 v27, v27, v6
	v_cmp_eq_u32_e32 vcc_lo, 3, v0
	v_dual_cndmask_b32 v26, v26, v9 :: v_dual_cndmask_b32 v27, v27, v8
	v_cmp_eq_u32_e32 vcc_lo, 4, v0
	s_delay_alu instid0(VALU_DEP_2) | instskip(SKIP_1) | instid1(VALU_DEP_2)
	v_dual_cndmask_b32 v26, v26, v11 :: v_dual_cndmask_b32 v27, v27, v10
	;; [unrolled: 5-line block ×3, first 2 shown]
	v_cmp_eq_u32_e32 vcc_lo, 7, v0
	v_dual_cndmask_b32 v26, v26, v17 :: v_dual_cndmask_b32 v27, v27, v16
	v_cmp_eq_u32_e32 vcc_lo, 8, v0
	s_delay_alu instid0(VALU_DEP_2) | instskip(SKIP_4) | instid1(VALU_DEP_2)
	v_dual_cndmask_b32 v28, v26, v19 :: v_dual_cndmask_b32 v29, v27, v18
	v_cmp_eq_u32_e32 vcc_lo, 9, v0
	ds_load_b64 v[26:27], v92
	v_dual_cndmask_b32 v28, v28, v21 :: v_dual_cndmask_b32 v29, v29, v20
	v_cmp_eq_u32_e32 vcc_lo, 10, v0
	v_cndmask_b32_e32 v28, v28, v23, vcc_lo
	s_delay_alu instid0(VALU_DEP_3) | instskip(SKIP_1) | instid1(VALU_DEP_2)
	v_cndmask_b32_e32 v30, v29, v22, vcc_lo
	v_cmp_eq_u32_e32 vcc_lo, 11, v0
	v_dual_cndmask_b32 v29, v28, v25 :: v_dual_cndmask_b32 v28, v30, v24
	s_waitcnt lgkmcnt(0)
	s_delay_alu instid0(VALU_DEP_1)
	v_mul_f64 v[26:27], v[28:29], v[26:27]
	s_cbranch_execz .LBB75_174
	s_branch .LBB75_175
.LBB75_173:
                                        ; implicit-def: $vgpr26_vgpr27
.LBB75_174:
	ds_load_b64 v[26:27], v92
.LBB75_175:
	s_and_saveexec_b32 s2, s0
	s_cbranch_execz .LBB75_177
; %bb.176:
	v_cmp_eq_u32_e32 vcc_lo, 1, v35
	v_dual_cndmask_b32 v28, v3, v5 :: v_dual_cndmask_b32 v29, v2, v4
	v_cmp_eq_u32_e32 vcc_lo, 2, v35
	s_delay_alu instid0(VALU_DEP_2) | instskip(SKIP_1) | instid1(VALU_DEP_2)
	v_dual_cndmask_b32 v7, v28, v7 :: v_dual_cndmask_b32 v6, v29, v6
	v_cmp_eq_u32_e32 vcc_lo, 3, v35
	v_dual_cndmask_b32 v7, v7, v9 :: v_dual_cndmask_b32 v6, v6, v8
	v_cmp_eq_u32_e32 vcc_lo, 4, v35
	s_delay_alu instid0(VALU_DEP_2) | instskip(SKIP_1) | instid1(VALU_DEP_2)
	v_dual_cndmask_b32 v7, v7, v11 :: v_dual_cndmask_b32 v6, v6, v10
	;; [unrolled: 5-line block ×3, first 2 shown]
	v_cmp_eq_u32_e32 vcc_lo, 7, v35
	v_dual_cndmask_b32 v7, v7, v17 :: v_dual_cndmask_b32 v6, v6, v16
	v_cmp_eq_u32_e32 vcc_lo, 8, v35
	s_delay_alu instid0(VALU_DEP_2) | instskip(SKIP_4) | instid1(VALU_DEP_2)
	v_dual_cndmask_b32 v28, v7, v19 :: v_dual_cndmask_b32 v29, v6, v18
	v_cmp_eq_u32_e32 vcc_lo, 9, v35
	ds_load_b64 v[6:7], v92 offset:8
	v_dual_cndmask_b32 v28, v28, v21 :: v_dual_cndmask_b32 v29, v29, v20
	v_cmp_eq_u32_e32 vcc_lo, 10, v35
	v_cndmask_b32_e32 v28, v28, v23, vcc_lo
	s_delay_alu instid0(VALU_DEP_3) | instskip(SKIP_1) | instid1(VALU_DEP_2)
	v_cndmask_b32_e32 v30, v29, v22, vcc_lo
	v_cmp_eq_u32_e32 vcc_lo, 11, v35
	v_dual_cndmask_b32 v29, v28, v25 :: v_dual_cndmask_b32 v28, v30, v24
	s_waitcnt lgkmcnt(0)
	s_delay_alu instid0(VALU_DEP_1)
	v_fma_f64 v[26:27], v[28:29], v[6:7], v[26:27]
.LBB75_177:
	s_or_b32 exec_lo, exec_lo, s2
	v_mov_b32_e32 v6, 0
	ds_load_b64 v[6:7], v6 offset:16
	s_waitcnt lgkmcnt(0)
	v_mul_f64 v[6:7], v[26:27], v[6:7]
.LBB75_178:
	s_or_b32 exec_lo, exec_lo, s1
	v_cmp_gt_u32_e64 s1, 3, v0
	ds_store_b64 v92, v[8:9]
	s_waitcnt lgkmcnt(0)
	s_barrier
	buffer_gl0_inv
	s_and_saveexec_b32 s2, s1
	s_cbranch_execz .LBB75_188
; %bb.179:
	v_cmp_ne_u32_e32 vcc_lo, 1, v34
	s_cbranch_vccnz .LBB75_181
; %bb.180:
	v_cmp_eq_u32_e32 vcc_lo, 1, v0
	v_dual_cndmask_b32 v26, v3, v5 :: v_dual_cndmask_b32 v27, v2, v4
	v_cmp_eq_u32_e32 vcc_lo, 2, v0
	s_delay_alu instid0(VALU_DEP_2) | instskip(SKIP_1) | instid1(VALU_DEP_2)
	v_dual_cndmask_b32 v26, v26, v7 :: v_dual_cndmask_b32 v27, v27, v6
	v_cmp_eq_u32_e32 vcc_lo, 3, v0
	v_dual_cndmask_b32 v26, v26, v9 :: v_dual_cndmask_b32 v27, v27, v8
	v_cmp_eq_u32_e32 vcc_lo, 4, v0
	s_delay_alu instid0(VALU_DEP_2) | instskip(SKIP_1) | instid1(VALU_DEP_2)
	v_dual_cndmask_b32 v26, v26, v11 :: v_dual_cndmask_b32 v27, v27, v10
	;; [unrolled: 5-line block ×3, first 2 shown]
	v_cmp_eq_u32_e32 vcc_lo, 7, v0
	v_dual_cndmask_b32 v26, v26, v17 :: v_dual_cndmask_b32 v27, v27, v16
	v_cmp_eq_u32_e32 vcc_lo, 8, v0
	s_delay_alu instid0(VALU_DEP_2) | instskip(SKIP_4) | instid1(VALU_DEP_2)
	v_dual_cndmask_b32 v28, v26, v19 :: v_dual_cndmask_b32 v29, v27, v18
	v_cmp_eq_u32_e32 vcc_lo, 9, v0
	ds_load_b64 v[26:27], v92
	v_dual_cndmask_b32 v28, v28, v21 :: v_dual_cndmask_b32 v29, v29, v20
	v_cmp_eq_u32_e32 vcc_lo, 10, v0
	v_cndmask_b32_e32 v28, v28, v23, vcc_lo
	s_delay_alu instid0(VALU_DEP_3) | instskip(SKIP_1) | instid1(VALU_DEP_2)
	v_cndmask_b32_e32 v30, v29, v22, vcc_lo
	v_cmp_eq_u32_e32 vcc_lo, 11, v0
	v_dual_cndmask_b32 v29, v28, v25 :: v_dual_cndmask_b32 v28, v30, v24
	s_waitcnt lgkmcnt(0)
	s_delay_alu instid0(VALU_DEP_1)
	v_mul_f64 v[26:27], v[28:29], v[26:27]
	s_cbranch_execz .LBB75_182
	s_branch .LBB75_183
.LBB75_181:
                                        ; implicit-def: $vgpr26_vgpr27
.LBB75_182:
	ds_load_b64 v[26:27], v92
.LBB75_183:
	s_mov_b32 s3, exec_lo
	v_cmpx_ne_u32_e32 2, v0
	s_cbranch_execz .LBB75_187
; %bb.184:
	v_cmp_eq_u32_e32 vcc_lo, 1, v35
	v_dual_cndmask_b32 v28, v3, v5 :: v_dual_cndmask_b32 v29, v2, v4
	v_cmp_eq_u32_e32 vcc_lo, 2, v35
	s_delay_alu instid0(VALU_DEP_2) | instskip(SKIP_1) | instid1(VALU_DEP_2)
	v_dual_cndmask_b32 v28, v28, v7 :: v_dual_cndmask_b32 v29, v29, v6
	v_cmp_eq_u32_e32 vcc_lo, 3, v35
	v_dual_cndmask_b32 v9, v28, v9 :: v_dual_cndmask_b32 v8, v29, v8
	v_cmp_eq_u32_e32 vcc_lo, 4, v35
	s_delay_alu instid0(VALU_DEP_2) | instskip(SKIP_1) | instid1(VALU_DEP_2)
	v_dual_cndmask_b32 v9, v9, v11 :: v_dual_cndmask_b32 v8, v8, v10
	v_cmp_eq_u32_e32 vcc_lo, 5, v35
	v_dual_cndmask_b32 v9, v9, v13 :: v_dual_cndmask_b32 v8, v8, v12
	v_cmp_eq_u32_e32 vcc_lo, 6, v35
	s_delay_alu instid0(VALU_DEP_2) | instskip(SKIP_1) | instid1(VALU_DEP_2)
	v_dual_cndmask_b32 v9, v9, v15 :: v_dual_cndmask_b32 v8, v8, v14
	v_cmp_eq_u32_e32 vcc_lo, 7, v35
	v_dual_cndmask_b32 v9, v9, v17 :: v_dual_cndmask_b32 v8, v8, v16
	v_cmp_eq_u32_e32 vcc_lo, 8, v35
	s_delay_alu instid0(VALU_DEP_2) | instskip(SKIP_4) | instid1(VALU_DEP_2)
	v_dual_cndmask_b32 v28, v9, v19 :: v_dual_cndmask_b32 v29, v8, v18
	v_cmp_eq_u32_e32 vcc_lo, 9, v35
	ds_load_b64 v[8:9], v92 offset:8
	v_dual_cndmask_b32 v28, v28, v21 :: v_dual_cndmask_b32 v29, v29, v20
	v_cmp_eq_u32_e32 vcc_lo, 10, v35
	v_cndmask_b32_e32 v28, v28, v23, vcc_lo
	s_delay_alu instid0(VALU_DEP_3) | instskip(SKIP_1) | instid1(VALU_DEP_2)
	v_cndmask_b32_e32 v30, v29, v22, vcc_lo
	v_cmp_eq_u32_e32 vcc_lo, 11, v35
	v_dual_cndmask_b32 v29, v28, v25 :: v_dual_cndmask_b32 v28, v30, v24
	s_waitcnt lgkmcnt(0)
	s_delay_alu instid0(VALU_DEP_1)
	v_fma_f64 v[26:27], v[28:29], v[8:9], v[26:27]
	s_and_saveexec_b32 s4, s0
	s_cbranch_execz .LBB75_186
; %bb.185:
	v_mov_b32_e32 v8, 0
	ds_load_b64 v[8:9], v8 offset:112
	s_waitcnt lgkmcnt(0)
	v_fma_f64 v[26:27], v[6:7], v[8:9], v[26:27]
.LBB75_186:
	s_or_b32 exec_lo, exec_lo, s4
.LBB75_187:
	s_delay_alu instid0(SALU_CYCLE_1)
	s_or_b32 exec_lo, exec_lo, s3
	v_mov_b32_e32 v8, 0
	ds_load_b64 v[8:9], v8 offset:24
	s_waitcnt lgkmcnt(0)
	v_mul_f64 v[8:9], v[26:27], v[8:9]
.LBB75_188:
	s_or_b32 exec_lo, exec_lo, s2
	s_delay_alu instid0(SALU_CYCLE_1)
	s_mov_b32 s3, exec_lo
	ds_store_b64 v92, v[10:11]
	s_waitcnt lgkmcnt(0)
	s_barrier
	buffer_gl0_inv
	v_cmpx_gt_u32_e32 4, v0
	s_cbranch_execz .LBB75_198
; %bb.189:
	v_cmp_ne_u32_e32 vcc_lo, 1, v34
	s_cbranch_vccnz .LBB75_191
; %bb.190:
	v_cmp_eq_u32_e32 vcc_lo, 1, v0
	v_dual_cndmask_b32 v26, v3, v5 :: v_dual_cndmask_b32 v27, v2, v4
	v_cmp_eq_u32_e32 vcc_lo, 2, v0
	s_delay_alu instid0(VALU_DEP_2) | instskip(SKIP_1) | instid1(VALU_DEP_2)
	v_dual_cndmask_b32 v26, v26, v7 :: v_dual_cndmask_b32 v27, v27, v6
	v_cmp_eq_u32_e32 vcc_lo, 3, v0
	v_dual_cndmask_b32 v26, v26, v9 :: v_dual_cndmask_b32 v27, v27, v8
	v_cmp_eq_u32_e32 vcc_lo, 4, v0
	s_delay_alu instid0(VALU_DEP_2) | instskip(SKIP_1) | instid1(VALU_DEP_2)
	v_dual_cndmask_b32 v26, v26, v11 :: v_dual_cndmask_b32 v27, v27, v10
	;; [unrolled: 5-line block ×3, first 2 shown]
	v_cmp_eq_u32_e32 vcc_lo, 7, v0
	v_dual_cndmask_b32 v26, v26, v17 :: v_dual_cndmask_b32 v27, v27, v16
	v_cmp_eq_u32_e32 vcc_lo, 8, v0
	s_delay_alu instid0(VALU_DEP_2) | instskip(SKIP_4) | instid1(VALU_DEP_2)
	v_dual_cndmask_b32 v28, v26, v19 :: v_dual_cndmask_b32 v29, v27, v18
	v_cmp_eq_u32_e32 vcc_lo, 9, v0
	ds_load_b64 v[26:27], v92
	v_dual_cndmask_b32 v28, v28, v21 :: v_dual_cndmask_b32 v29, v29, v20
	v_cmp_eq_u32_e32 vcc_lo, 10, v0
	v_cndmask_b32_e32 v28, v28, v23, vcc_lo
	s_delay_alu instid0(VALU_DEP_3) | instskip(SKIP_1) | instid1(VALU_DEP_2)
	v_cndmask_b32_e32 v30, v29, v22, vcc_lo
	v_cmp_eq_u32_e32 vcc_lo, 11, v0
	v_dual_cndmask_b32 v29, v28, v25 :: v_dual_cndmask_b32 v28, v30, v24
	s_waitcnt lgkmcnt(0)
	s_delay_alu instid0(VALU_DEP_1)
	v_mul_f64 v[26:27], v[28:29], v[26:27]
	s_cbranch_execz .LBB75_192
	s_branch .LBB75_193
.LBB75_191:
                                        ; implicit-def: $vgpr26_vgpr27
.LBB75_192:
	ds_load_b64 v[26:27], v92
.LBB75_193:
	s_mov_b32 s4, exec_lo
	v_cmpx_ne_u32_e32 3, v0
	s_cbranch_execz .LBB75_197
; %bb.194:
	v_lshl_add_u32 v30, v0, 3, 0x68
	v_dual_mov_b32 v29, v1 :: v_dual_mov_b32 v28, v0
	s_mov_b32 s5, 0
.LBB75_195:                             ; =>This Inner Loop Header: Depth=1
	s_delay_alu instid0(VALU_DEP_1) | instskip(NEXT) | instid1(VALU_DEP_2)
	v_add_co_u32 v28, vcc_lo, v28, 1
	v_add_co_ci_u32_e32 v29, vcc_lo, 0, v29, vcc_lo
	s_delay_alu instid0(VALU_DEP_2) | instskip(SKIP_3) | instid1(VALU_DEP_2)
	v_cmp_eq_u32_e32 vcc_lo, 1, v28
	v_cmp_eq_u32_e64 s2, 2, v28
	v_dual_cndmask_b32 v31, v3, v5 :: v_dual_cndmask_b32 v32, v2, v4
	v_cmp_eq_u32_e32 vcc_lo, 3, v28
	v_cndmask_b32_e64 v31, v31, v7, s2
	s_delay_alu instid0(VALU_DEP_3) | instskip(SKIP_1) | instid1(VALU_DEP_2)
	v_cndmask_b32_e64 v32, v32, v6, s2
	v_cmp_eq_u32_e64 s2, 4, v28
	v_dual_cndmask_b32 v31, v31, v9 :: v_dual_cndmask_b32 v32, v32, v8
	v_cmp_eq_u32_e32 vcc_lo, 5, v28
	s_delay_alu instid0(VALU_DEP_2) | instskip(NEXT) | instid1(VALU_DEP_3)
	v_cndmask_b32_e64 v31, v31, v11, s2
	v_cndmask_b32_e64 v32, v32, v10, s2
	v_cmp_eq_u32_e64 s2, 6, v28
	s_delay_alu instid0(VALU_DEP_2) | instskip(SKIP_1) | instid1(VALU_DEP_2)
	v_dual_cndmask_b32 v31, v31, v13 :: v_dual_cndmask_b32 v32, v32, v12
	v_cmp_eq_u32_e32 vcc_lo, 7, v28
	v_cndmask_b32_e64 v31, v31, v15, s2
	s_delay_alu instid0(VALU_DEP_3) | instskip(SKIP_1) | instid1(VALU_DEP_2)
	v_cndmask_b32_e64 v32, v32, v14, s2
	v_cmp_eq_u32_e64 s2, 8, v28
	v_dual_cndmask_b32 v33, v31, v17 :: v_dual_cndmask_b32 v36, v32, v16
	ds_load_b64 v[31:32], v30
	v_cmp_eq_u32_e32 vcc_lo, 9, v28
	v_add_nc_u32_e32 v30, 8, v30
	v_cndmask_b32_e64 v33, v33, v19, s2
	v_cndmask_b32_e64 v36, v36, v18, s2
	v_cmp_eq_u32_e64 s2, 10, v28
	s_delay_alu instid0(VALU_DEP_2) | instskip(SKIP_1) | instid1(VALU_DEP_2)
	v_dual_cndmask_b32 v33, v33, v21 :: v_dual_cndmask_b32 v36, v36, v20
	v_cmp_eq_u32_e32 vcc_lo, 11, v28
	v_cndmask_b32_e64 v33, v33, v23, s2
	s_delay_alu instid0(VALU_DEP_3) | instskip(NEXT) | instid1(VALU_DEP_1)
	v_cndmask_b32_e64 v36, v36, v22, s2
	v_dual_cndmask_b32 v37, v33, v25 :: v_dual_cndmask_b32 v36, v36, v24
	v_cmp_lt_u32_e32 vcc_lo, 2, v28
	s_waitcnt lgkmcnt(0)
	s_delay_alu instid0(VALU_DEP_2) | instskip(SKIP_1) | instid1(SALU_CYCLE_1)
	v_fma_f64 v[26:27], v[36:37], v[31:32], v[26:27]
	s_or_b32 s5, vcc_lo, s5
	s_and_not1_b32 exec_lo, exec_lo, s5
	s_cbranch_execnz .LBB75_195
; %bb.196:
	s_or_b32 exec_lo, exec_lo, s5
.LBB75_197:
	s_delay_alu instid0(SALU_CYCLE_1)
	s_or_b32 exec_lo, exec_lo, s4
	v_mov_b32_e32 v10, 0
	ds_load_b64 v[10:11], v10 offset:32
	s_waitcnt lgkmcnt(0)
	v_mul_f64 v[10:11], v[26:27], v[10:11]
.LBB75_198:
	s_or_b32 exec_lo, exec_lo, s3
	v_cmp_gt_u32_e64 s2, 5, v0
	ds_store_b64 v92, v[12:13]
	s_waitcnt lgkmcnt(0)
	s_barrier
	buffer_gl0_inv
	s_and_saveexec_b32 s4, s2
	s_cbranch_execz .LBB75_208
; %bb.199:
	v_cmp_ne_u32_e32 vcc_lo, 1, v34
	s_cbranch_vccnz .LBB75_201
; %bb.200:
	v_cmp_eq_u32_e32 vcc_lo, 1, v0
	v_dual_cndmask_b32 v26, v3, v5 :: v_dual_cndmask_b32 v27, v2, v4
	v_cmp_eq_u32_e32 vcc_lo, 2, v0
	s_delay_alu instid0(VALU_DEP_2) | instskip(SKIP_1) | instid1(VALU_DEP_2)
	v_dual_cndmask_b32 v26, v26, v7 :: v_dual_cndmask_b32 v27, v27, v6
	v_cmp_eq_u32_e32 vcc_lo, 3, v0
	v_dual_cndmask_b32 v26, v26, v9 :: v_dual_cndmask_b32 v27, v27, v8
	v_cmp_eq_u32_e32 vcc_lo, 4, v0
	s_delay_alu instid0(VALU_DEP_2) | instskip(SKIP_1) | instid1(VALU_DEP_2)
	v_dual_cndmask_b32 v26, v26, v11 :: v_dual_cndmask_b32 v27, v27, v10
	;; [unrolled: 5-line block ×3, first 2 shown]
	v_cmp_eq_u32_e32 vcc_lo, 7, v0
	v_dual_cndmask_b32 v26, v26, v17 :: v_dual_cndmask_b32 v27, v27, v16
	v_cmp_eq_u32_e32 vcc_lo, 8, v0
	s_delay_alu instid0(VALU_DEP_2) | instskip(SKIP_4) | instid1(VALU_DEP_2)
	v_dual_cndmask_b32 v28, v26, v19 :: v_dual_cndmask_b32 v29, v27, v18
	v_cmp_eq_u32_e32 vcc_lo, 9, v0
	ds_load_b64 v[26:27], v92
	v_dual_cndmask_b32 v28, v28, v21 :: v_dual_cndmask_b32 v29, v29, v20
	v_cmp_eq_u32_e32 vcc_lo, 10, v0
	v_cndmask_b32_e32 v28, v28, v23, vcc_lo
	s_delay_alu instid0(VALU_DEP_3) | instskip(SKIP_1) | instid1(VALU_DEP_2)
	v_cndmask_b32_e32 v30, v29, v22, vcc_lo
	v_cmp_eq_u32_e32 vcc_lo, 11, v0
	v_dual_cndmask_b32 v29, v28, v25 :: v_dual_cndmask_b32 v28, v30, v24
	s_waitcnt lgkmcnt(0)
	s_delay_alu instid0(VALU_DEP_1)
	v_mul_f64 v[26:27], v[28:29], v[26:27]
	s_cbranch_execz .LBB75_202
	s_branch .LBB75_203
.LBB75_201:
                                        ; implicit-def: $vgpr26_vgpr27
.LBB75_202:
	ds_load_b64 v[26:27], v92
.LBB75_203:
	s_mov_b32 s5, exec_lo
	v_cmpx_ne_u32_e32 4, v0
	s_cbranch_execz .LBB75_207
; %bb.204:
	v_lshl_add_u32 v30, v0, 3, 0x68
	v_dual_mov_b32 v29, v1 :: v_dual_mov_b32 v28, v0
	s_mov_b32 s6, 0
.LBB75_205:                             ; =>This Inner Loop Header: Depth=1
	s_delay_alu instid0(VALU_DEP_1) | instskip(NEXT) | instid1(VALU_DEP_2)
	v_add_co_u32 v28, vcc_lo, v28, 1
	v_add_co_ci_u32_e32 v29, vcc_lo, 0, v29, vcc_lo
	s_delay_alu instid0(VALU_DEP_2) | instskip(SKIP_3) | instid1(VALU_DEP_2)
	v_cmp_eq_u32_e32 vcc_lo, 1, v28
	v_cmp_eq_u32_e64 s3, 2, v28
	v_dual_cndmask_b32 v31, v3, v5 :: v_dual_cndmask_b32 v32, v2, v4
	v_cmp_eq_u32_e32 vcc_lo, 3, v28
	v_cndmask_b32_e64 v31, v31, v7, s3
	s_delay_alu instid0(VALU_DEP_3) | instskip(SKIP_1) | instid1(VALU_DEP_2)
	v_cndmask_b32_e64 v32, v32, v6, s3
	v_cmp_eq_u32_e64 s3, 4, v28
	v_dual_cndmask_b32 v31, v31, v9 :: v_dual_cndmask_b32 v32, v32, v8
	v_cmp_eq_u32_e32 vcc_lo, 5, v28
	s_delay_alu instid0(VALU_DEP_2) | instskip(NEXT) | instid1(VALU_DEP_3)
	v_cndmask_b32_e64 v31, v31, v11, s3
	v_cndmask_b32_e64 v32, v32, v10, s3
	v_cmp_eq_u32_e64 s3, 6, v28
	s_delay_alu instid0(VALU_DEP_2) | instskip(SKIP_1) | instid1(VALU_DEP_2)
	v_dual_cndmask_b32 v31, v31, v13 :: v_dual_cndmask_b32 v32, v32, v12
	v_cmp_eq_u32_e32 vcc_lo, 7, v28
	v_cndmask_b32_e64 v31, v31, v15, s3
	s_delay_alu instid0(VALU_DEP_3) | instskip(SKIP_1) | instid1(VALU_DEP_2)
	v_cndmask_b32_e64 v32, v32, v14, s3
	v_cmp_eq_u32_e64 s3, 8, v28
	v_dual_cndmask_b32 v33, v31, v17 :: v_dual_cndmask_b32 v36, v32, v16
	ds_load_b64 v[31:32], v30
	v_cmp_eq_u32_e32 vcc_lo, 9, v28
	v_add_nc_u32_e32 v30, 8, v30
	v_cndmask_b32_e64 v33, v33, v19, s3
	v_cndmask_b32_e64 v36, v36, v18, s3
	v_cmp_eq_u32_e64 s3, 10, v28
	s_delay_alu instid0(VALU_DEP_2) | instskip(SKIP_1) | instid1(VALU_DEP_2)
	v_dual_cndmask_b32 v33, v33, v21 :: v_dual_cndmask_b32 v36, v36, v20
	v_cmp_eq_u32_e32 vcc_lo, 11, v28
	v_cndmask_b32_e64 v33, v33, v23, s3
	s_delay_alu instid0(VALU_DEP_3) | instskip(NEXT) | instid1(VALU_DEP_1)
	v_cndmask_b32_e64 v36, v36, v22, s3
	v_dual_cndmask_b32 v37, v33, v25 :: v_dual_cndmask_b32 v36, v36, v24
	v_cmp_lt_u32_e32 vcc_lo, 3, v28
	s_waitcnt lgkmcnt(0)
	s_delay_alu instid0(VALU_DEP_2) | instskip(SKIP_1) | instid1(SALU_CYCLE_1)
	v_fma_f64 v[26:27], v[36:37], v[31:32], v[26:27]
	s_or_b32 s6, vcc_lo, s6
	s_and_not1_b32 exec_lo, exec_lo, s6
	s_cbranch_execnz .LBB75_205
; %bb.206:
	s_or_b32 exec_lo, exec_lo, s6
.LBB75_207:
	s_delay_alu instid0(SALU_CYCLE_1)
	s_or_b32 exec_lo, exec_lo, s5
	v_mov_b32_e32 v12, 0
	ds_load_b64 v[12:13], v12 offset:40
	s_waitcnt lgkmcnt(0)
	v_mul_f64 v[12:13], v[26:27], v[12:13]
.LBB75_208:
	s_or_b32 exec_lo, exec_lo, s4
	s_delay_alu instid0(SALU_CYCLE_1)
	s_mov_b32 s4, exec_lo
	ds_store_b64 v92, v[14:15]
	s_waitcnt lgkmcnt(0)
	s_barrier
	buffer_gl0_inv
	v_cmpx_gt_u32_e32 6, v0
	s_cbranch_execz .LBB75_218
; %bb.209:
	v_cmp_ne_u32_e32 vcc_lo, 1, v34
	s_cbranch_vccnz .LBB75_211
; %bb.210:
	v_cmp_eq_u32_e32 vcc_lo, 1, v0
	v_dual_cndmask_b32 v26, v3, v5 :: v_dual_cndmask_b32 v27, v2, v4
	v_cmp_eq_u32_e32 vcc_lo, 2, v0
	s_delay_alu instid0(VALU_DEP_2) | instskip(SKIP_1) | instid1(VALU_DEP_2)
	v_dual_cndmask_b32 v26, v26, v7 :: v_dual_cndmask_b32 v27, v27, v6
	v_cmp_eq_u32_e32 vcc_lo, 3, v0
	v_dual_cndmask_b32 v26, v26, v9 :: v_dual_cndmask_b32 v27, v27, v8
	v_cmp_eq_u32_e32 vcc_lo, 4, v0
	s_delay_alu instid0(VALU_DEP_2) | instskip(SKIP_1) | instid1(VALU_DEP_2)
	v_dual_cndmask_b32 v26, v26, v11 :: v_dual_cndmask_b32 v27, v27, v10
	;; [unrolled: 5-line block ×3, first 2 shown]
	v_cmp_eq_u32_e32 vcc_lo, 7, v0
	v_dual_cndmask_b32 v26, v26, v17 :: v_dual_cndmask_b32 v27, v27, v16
	v_cmp_eq_u32_e32 vcc_lo, 8, v0
	s_delay_alu instid0(VALU_DEP_2) | instskip(SKIP_4) | instid1(VALU_DEP_2)
	v_dual_cndmask_b32 v28, v26, v19 :: v_dual_cndmask_b32 v29, v27, v18
	v_cmp_eq_u32_e32 vcc_lo, 9, v0
	ds_load_b64 v[26:27], v92
	v_dual_cndmask_b32 v28, v28, v21 :: v_dual_cndmask_b32 v29, v29, v20
	v_cmp_eq_u32_e32 vcc_lo, 10, v0
	v_cndmask_b32_e32 v28, v28, v23, vcc_lo
	s_delay_alu instid0(VALU_DEP_3) | instskip(SKIP_1) | instid1(VALU_DEP_2)
	v_cndmask_b32_e32 v30, v29, v22, vcc_lo
	v_cmp_eq_u32_e32 vcc_lo, 11, v0
	v_dual_cndmask_b32 v29, v28, v25 :: v_dual_cndmask_b32 v28, v30, v24
	s_waitcnt lgkmcnt(0)
	s_delay_alu instid0(VALU_DEP_1)
	v_mul_f64 v[26:27], v[28:29], v[26:27]
	s_cbranch_execz .LBB75_212
	s_branch .LBB75_213
.LBB75_211:
                                        ; implicit-def: $vgpr26_vgpr27
.LBB75_212:
	ds_load_b64 v[26:27], v92
.LBB75_213:
	s_mov_b32 s5, exec_lo
	v_cmpx_ne_u32_e32 5, v0
	s_cbranch_execz .LBB75_217
; %bb.214:
	v_lshl_add_u32 v30, v0, 3, 0x68
	v_dual_mov_b32 v29, v1 :: v_dual_mov_b32 v28, v0
	s_mov_b32 s6, 0
.LBB75_215:                             ; =>This Inner Loop Header: Depth=1
	s_delay_alu instid0(VALU_DEP_1) | instskip(NEXT) | instid1(VALU_DEP_2)
	v_add_co_u32 v28, vcc_lo, v28, 1
	v_add_co_ci_u32_e32 v29, vcc_lo, 0, v29, vcc_lo
	s_delay_alu instid0(VALU_DEP_2) | instskip(SKIP_3) | instid1(VALU_DEP_2)
	v_cmp_eq_u32_e32 vcc_lo, 1, v28
	v_cmp_eq_u32_e64 s3, 2, v28
	v_dual_cndmask_b32 v31, v3, v5 :: v_dual_cndmask_b32 v32, v2, v4
	v_cmp_eq_u32_e32 vcc_lo, 3, v28
	v_cndmask_b32_e64 v31, v31, v7, s3
	s_delay_alu instid0(VALU_DEP_3) | instskip(SKIP_1) | instid1(VALU_DEP_2)
	v_cndmask_b32_e64 v32, v32, v6, s3
	v_cmp_eq_u32_e64 s3, 4, v28
	v_dual_cndmask_b32 v31, v31, v9 :: v_dual_cndmask_b32 v32, v32, v8
	v_cmp_eq_u32_e32 vcc_lo, 5, v28
	s_delay_alu instid0(VALU_DEP_2) | instskip(NEXT) | instid1(VALU_DEP_3)
	v_cndmask_b32_e64 v31, v31, v11, s3
	v_cndmask_b32_e64 v32, v32, v10, s3
	v_cmp_eq_u32_e64 s3, 6, v28
	s_delay_alu instid0(VALU_DEP_2) | instskip(SKIP_1) | instid1(VALU_DEP_2)
	v_dual_cndmask_b32 v31, v31, v13 :: v_dual_cndmask_b32 v32, v32, v12
	v_cmp_eq_u32_e32 vcc_lo, 7, v28
	v_cndmask_b32_e64 v31, v31, v15, s3
	s_delay_alu instid0(VALU_DEP_3) | instskip(SKIP_1) | instid1(VALU_DEP_2)
	v_cndmask_b32_e64 v32, v32, v14, s3
	v_cmp_eq_u32_e64 s3, 8, v28
	v_dual_cndmask_b32 v33, v31, v17 :: v_dual_cndmask_b32 v36, v32, v16
	ds_load_b64 v[31:32], v30
	v_cmp_eq_u32_e32 vcc_lo, 9, v28
	v_add_nc_u32_e32 v30, 8, v30
	v_cndmask_b32_e64 v33, v33, v19, s3
	v_cndmask_b32_e64 v36, v36, v18, s3
	v_cmp_eq_u32_e64 s3, 10, v28
	s_delay_alu instid0(VALU_DEP_2) | instskip(SKIP_1) | instid1(VALU_DEP_2)
	v_dual_cndmask_b32 v33, v33, v21 :: v_dual_cndmask_b32 v36, v36, v20
	v_cmp_eq_u32_e32 vcc_lo, 11, v28
	v_cndmask_b32_e64 v33, v33, v23, s3
	s_delay_alu instid0(VALU_DEP_3) | instskip(NEXT) | instid1(VALU_DEP_1)
	v_cndmask_b32_e64 v36, v36, v22, s3
	v_dual_cndmask_b32 v37, v33, v25 :: v_dual_cndmask_b32 v36, v36, v24
	v_cmp_lt_u32_e32 vcc_lo, 4, v28
	s_waitcnt lgkmcnt(0)
	s_delay_alu instid0(VALU_DEP_2) | instskip(SKIP_1) | instid1(SALU_CYCLE_1)
	v_fma_f64 v[26:27], v[36:37], v[31:32], v[26:27]
	s_or_b32 s6, vcc_lo, s6
	s_and_not1_b32 exec_lo, exec_lo, s6
	s_cbranch_execnz .LBB75_215
; %bb.216:
	s_or_b32 exec_lo, exec_lo, s6
.LBB75_217:
	s_delay_alu instid0(SALU_CYCLE_1)
	s_or_b32 exec_lo, exec_lo, s5
	v_mov_b32_e32 v14, 0
	ds_load_b64 v[14:15], v14 offset:48
	s_waitcnt lgkmcnt(0)
	v_mul_f64 v[14:15], v[26:27], v[14:15]
.LBB75_218:
	s_or_b32 exec_lo, exec_lo, s4
	v_cmp_gt_u32_e64 s3, 7, v0
	ds_store_b64 v92, v[16:17]
	s_waitcnt lgkmcnt(0)
	s_barrier
	buffer_gl0_inv
	s_and_saveexec_b32 s5, s3
	s_cbranch_execz .LBB75_228
; %bb.219:
	v_cmp_ne_u32_e32 vcc_lo, 1, v34
	s_cbranch_vccnz .LBB75_221
; %bb.220:
	v_cmp_eq_u32_e32 vcc_lo, 1, v0
	v_dual_cndmask_b32 v26, v3, v5 :: v_dual_cndmask_b32 v27, v2, v4
	v_cmp_eq_u32_e32 vcc_lo, 2, v0
	s_delay_alu instid0(VALU_DEP_2) | instskip(SKIP_1) | instid1(VALU_DEP_2)
	v_dual_cndmask_b32 v26, v26, v7 :: v_dual_cndmask_b32 v27, v27, v6
	v_cmp_eq_u32_e32 vcc_lo, 3, v0
	v_dual_cndmask_b32 v26, v26, v9 :: v_dual_cndmask_b32 v27, v27, v8
	v_cmp_eq_u32_e32 vcc_lo, 4, v0
	s_delay_alu instid0(VALU_DEP_2) | instskip(SKIP_1) | instid1(VALU_DEP_2)
	v_dual_cndmask_b32 v26, v26, v11 :: v_dual_cndmask_b32 v27, v27, v10
	v_cmp_eq_u32_e32 vcc_lo, 5, v0
	v_dual_cndmask_b32 v26, v26, v13 :: v_dual_cndmask_b32 v27, v27, v12
	v_cmp_eq_u32_e32 vcc_lo, 6, v0
	s_delay_alu instid0(VALU_DEP_2) | instskip(SKIP_1) | instid1(VALU_DEP_2)
	v_dual_cndmask_b32 v26, v26, v15 :: v_dual_cndmask_b32 v27, v27, v14
	v_cmp_eq_u32_e32 vcc_lo, 7, v0
	v_dual_cndmask_b32 v26, v26, v17 :: v_dual_cndmask_b32 v27, v27, v16
	v_cmp_eq_u32_e32 vcc_lo, 8, v0
	s_delay_alu instid0(VALU_DEP_2) | instskip(SKIP_4) | instid1(VALU_DEP_2)
	v_dual_cndmask_b32 v28, v26, v19 :: v_dual_cndmask_b32 v29, v27, v18
	v_cmp_eq_u32_e32 vcc_lo, 9, v0
	ds_load_b64 v[26:27], v92
	v_dual_cndmask_b32 v28, v28, v21 :: v_dual_cndmask_b32 v29, v29, v20
	v_cmp_eq_u32_e32 vcc_lo, 10, v0
	v_cndmask_b32_e32 v28, v28, v23, vcc_lo
	s_delay_alu instid0(VALU_DEP_3) | instskip(SKIP_1) | instid1(VALU_DEP_2)
	v_cndmask_b32_e32 v30, v29, v22, vcc_lo
	v_cmp_eq_u32_e32 vcc_lo, 11, v0
	v_dual_cndmask_b32 v29, v28, v25 :: v_dual_cndmask_b32 v28, v30, v24
	s_waitcnt lgkmcnt(0)
	s_delay_alu instid0(VALU_DEP_1)
	v_mul_f64 v[26:27], v[28:29], v[26:27]
	s_cbranch_execz .LBB75_222
	s_branch .LBB75_223
.LBB75_221:
                                        ; implicit-def: $vgpr26_vgpr27
.LBB75_222:
	ds_load_b64 v[26:27], v92
.LBB75_223:
	s_mov_b32 s6, exec_lo
	v_cmpx_ne_u32_e32 6, v0
	s_cbranch_execz .LBB75_227
; %bb.224:
	v_lshl_add_u32 v30, v0, 3, 0x68
	v_dual_mov_b32 v29, v1 :: v_dual_mov_b32 v28, v0
	s_mov_b32 s7, 0
.LBB75_225:                             ; =>This Inner Loop Header: Depth=1
	s_delay_alu instid0(VALU_DEP_1) | instskip(NEXT) | instid1(VALU_DEP_2)
	v_add_co_u32 v28, vcc_lo, v28, 1
	v_add_co_ci_u32_e32 v29, vcc_lo, 0, v29, vcc_lo
	s_delay_alu instid0(VALU_DEP_2) | instskip(SKIP_3) | instid1(VALU_DEP_2)
	v_cmp_eq_u32_e32 vcc_lo, 1, v28
	v_cmp_eq_u32_e64 s4, 2, v28
	v_dual_cndmask_b32 v31, v3, v5 :: v_dual_cndmask_b32 v32, v2, v4
	v_cmp_eq_u32_e32 vcc_lo, 3, v28
	v_cndmask_b32_e64 v31, v31, v7, s4
	s_delay_alu instid0(VALU_DEP_3) | instskip(SKIP_1) | instid1(VALU_DEP_2)
	v_cndmask_b32_e64 v32, v32, v6, s4
	v_cmp_eq_u32_e64 s4, 4, v28
	v_dual_cndmask_b32 v31, v31, v9 :: v_dual_cndmask_b32 v32, v32, v8
	v_cmp_eq_u32_e32 vcc_lo, 5, v28
	s_delay_alu instid0(VALU_DEP_2) | instskip(NEXT) | instid1(VALU_DEP_3)
	v_cndmask_b32_e64 v31, v31, v11, s4
	v_cndmask_b32_e64 v32, v32, v10, s4
	v_cmp_eq_u32_e64 s4, 6, v28
	s_delay_alu instid0(VALU_DEP_2) | instskip(SKIP_1) | instid1(VALU_DEP_2)
	v_dual_cndmask_b32 v31, v31, v13 :: v_dual_cndmask_b32 v32, v32, v12
	v_cmp_eq_u32_e32 vcc_lo, 7, v28
	v_cndmask_b32_e64 v31, v31, v15, s4
	s_delay_alu instid0(VALU_DEP_3) | instskip(SKIP_1) | instid1(VALU_DEP_2)
	v_cndmask_b32_e64 v32, v32, v14, s4
	v_cmp_eq_u32_e64 s4, 8, v28
	v_dual_cndmask_b32 v33, v31, v17 :: v_dual_cndmask_b32 v36, v32, v16
	ds_load_b64 v[31:32], v30
	v_cmp_eq_u32_e32 vcc_lo, 9, v28
	v_add_nc_u32_e32 v30, 8, v30
	v_cndmask_b32_e64 v33, v33, v19, s4
	v_cndmask_b32_e64 v36, v36, v18, s4
	v_cmp_eq_u32_e64 s4, 10, v28
	s_delay_alu instid0(VALU_DEP_2) | instskip(SKIP_1) | instid1(VALU_DEP_2)
	v_dual_cndmask_b32 v33, v33, v21 :: v_dual_cndmask_b32 v36, v36, v20
	v_cmp_eq_u32_e32 vcc_lo, 11, v28
	v_cndmask_b32_e64 v33, v33, v23, s4
	s_delay_alu instid0(VALU_DEP_3) | instskip(NEXT) | instid1(VALU_DEP_1)
	v_cndmask_b32_e64 v36, v36, v22, s4
	v_dual_cndmask_b32 v37, v33, v25 :: v_dual_cndmask_b32 v36, v36, v24
	v_cmp_lt_u32_e32 vcc_lo, 5, v28
	s_waitcnt lgkmcnt(0)
	s_delay_alu instid0(VALU_DEP_2) | instskip(SKIP_1) | instid1(SALU_CYCLE_1)
	v_fma_f64 v[26:27], v[36:37], v[31:32], v[26:27]
	s_or_b32 s7, vcc_lo, s7
	s_and_not1_b32 exec_lo, exec_lo, s7
	s_cbranch_execnz .LBB75_225
; %bb.226:
	s_or_b32 exec_lo, exec_lo, s7
.LBB75_227:
	s_delay_alu instid0(SALU_CYCLE_1)
	s_or_b32 exec_lo, exec_lo, s6
	v_mov_b32_e32 v16, 0
	ds_load_b64 v[16:17], v16 offset:56
	s_waitcnt lgkmcnt(0)
	v_mul_f64 v[16:17], v[26:27], v[16:17]
.LBB75_228:
	s_or_b32 exec_lo, exec_lo, s5
	s_delay_alu instid0(SALU_CYCLE_1)
	s_mov_b32 s5, exec_lo
	ds_store_b64 v92, v[18:19]
	s_waitcnt lgkmcnt(0)
	s_barrier
	buffer_gl0_inv
	v_cmpx_gt_u32_e32 8, v0
	s_cbranch_execz .LBB75_238
; %bb.229:
	v_cmp_ne_u32_e32 vcc_lo, 1, v34
	s_cbranch_vccnz .LBB75_231
; %bb.230:
	v_cmp_eq_u32_e32 vcc_lo, 1, v0
	v_dual_cndmask_b32 v26, v3, v5 :: v_dual_cndmask_b32 v27, v2, v4
	v_cmp_eq_u32_e32 vcc_lo, 2, v0
	s_delay_alu instid0(VALU_DEP_2) | instskip(SKIP_1) | instid1(VALU_DEP_2)
	v_dual_cndmask_b32 v26, v26, v7 :: v_dual_cndmask_b32 v27, v27, v6
	v_cmp_eq_u32_e32 vcc_lo, 3, v0
	v_dual_cndmask_b32 v26, v26, v9 :: v_dual_cndmask_b32 v27, v27, v8
	v_cmp_eq_u32_e32 vcc_lo, 4, v0
	s_delay_alu instid0(VALU_DEP_2) | instskip(SKIP_1) | instid1(VALU_DEP_2)
	v_dual_cndmask_b32 v26, v26, v11 :: v_dual_cndmask_b32 v27, v27, v10
	;; [unrolled: 5-line block ×3, first 2 shown]
	v_cmp_eq_u32_e32 vcc_lo, 7, v0
	v_dual_cndmask_b32 v26, v26, v17 :: v_dual_cndmask_b32 v27, v27, v16
	v_cmp_eq_u32_e32 vcc_lo, 8, v0
	s_delay_alu instid0(VALU_DEP_2) | instskip(SKIP_4) | instid1(VALU_DEP_2)
	v_dual_cndmask_b32 v28, v26, v19 :: v_dual_cndmask_b32 v29, v27, v18
	v_cmp_eq_u32_e32 vcc_lo, 9, v0
	ds_load_b64 v[26:27], v92
	v_dual_cndmask_b32 v28, v28, v21 :: v_dual_cndmask_b32 v29, v29, v20
	v_cmp_eq_u32_e32 vcc_lo, 10, v0
	v_cndmask_b32_e32 v28, v28, v23, vcc_lo
	s_delay_alu instid0(VALU_DEP_3) | instskip(SKIP_1) | instid1(VALU_DEP_2)
	v_cndmask_b32_e32 v30, v29, v22, vcc_lo
	v_cmp_eq_u32_e32 vcc_lo, 11, v0
	v_dual_cndmask_b32 v29, v28, v25 :: v_dual_cndmask_b32 v28, v30, v24
	s_waitcnt lgkmcnt(0)
	s_delay_alu instid0(VALU_DEP_1)
	v_mul_f64 v[26:27], v[28:29], v[26:27]
	s_cbranch_execz .LBB75_232
	s_branch .LBB75_233
.LBB75_231:
                                        ; implicit-def: $vgpr26_vgpr27
.LBB75_232:
	ds_load_b64 v[26:27], v92
.LBB75_233:
	s_mov_b32 s6, exec_lo
	v_cmpx_ne_u32_e32 7, v0
	s_cbranch_execz .LBB75_237
; %bb.234:
	v_lshl_add_u32 v30, v0, 3, 0x68
	v_dual_mov_b32 v29, v1 :: v_dual_mov_b32 v28, v0
	s_mov_b32 s7, 0
.LBB75_235:                             ; =>This Inner Loop Header: Depth=1
	s_delay_alu instid0(VALU_DEP_1) | instskip(NEXT) | instid1(VALU_DEP_2)
	v_add_co_u32 v28, vcc_lo, v28, 1
	v_add_co_ci_u32_e32 v29, vcc_lo, 0, v29, vcc_lo
	s_delay_alu instid0(VALU_DEP_2) | instskip(SKIP_3) | instid1(VALU_DEP_2)
	v_cmp_eq_u32_e32 vcc_lo, 1, v28
	v_cmp_eq_u32_e64 s4, 2, v28
	v_dual_cndmask_b32 v31, v3, v5 :: v_dual_cndmask_b32 v32, v2, v4
	v_cmp_eq_u32_e32 vcc_lo, 3, v28
	v_cndmask_b32_e64 v31, v31, v7, s4
	s_delay_alu instid0(VALU_DEP_3) | instskip(SKIP_1) | instid1(VALU_DEP_2)
	v_cndmask_b32_e64 v32, v32, v6, s4
	v_cmp_eq_u32_e64 s4, 4, v28
	v_dual_cndmask_b32 v31, v31, v9 :: v_dual_cndmask_b32 v32, v32, v8
	v_cmp_eq_u32_e32 vcc_lo, 5, v28
	s_delay_alu instid0(VALU_DEP_2) | instskip(NEXT) | instid1(VALU_DEP_3)
	v_cndmask_b32_e64 v31, v31, v11, s4
	v_cndmask_b32_e64 v32, v32, v10, s4
	v_cmp_eq_u32_e64 s4, 6, v28
	s_delay_alu instid0(VALU_DEP_2) | instskip(SKIP_1) | instid1(VALU_DEP_2)
	v_dual_cndmask_b32 v31, v31, v13 :: v_dual_cndmask_b32 v32, v32, v12
	v_cmp_eq_u32_e32 vcc_lo, 7, v28
	v_cndmask_b32_e64 v31, v31, v15, s4
	s_delay_alu instid0(VALU_DEP_3) | instskip(SKIP_1) | instid1(VALU_DEP_2)
	v_cndmask_b32_e64 v32, v32, v14, s4
	v_cmp_eq_u32_e64 s4, 8, v28
	v_dual_cndmask_b32 v33, v31, v17 :: v_dual_cndmask_b32 v36, v32, v16
	ds_load_b64 v[31:32], v30
	v_cmp_eq_u32_e32 vcc_lo, 9, v28
	v_add_nc_u32_e32 v30, 8, v30
	v_cndmask_b32_e64 v33, v33, v19, s4
	v_cndmask_b32_e64 v36, v36, v18, s4
	v_cmp_eq_u32_e64 s4, 10, v28
	s_delay_alu instid0(VALU_DEP_2) | instskip(SKIP_1) | instid1(VALU_DEP_2)
	v_dual_cndmask_b32 v33, v33, v21 :: v_dual_cndmask_b32 v36, v36, v20
	v_cmp_eq_u32_e32 vcc_lo, 11, v28
	v_cndmask_b32_e64 v33, v33, v23, s4
	s_delay_alu instid0(VALU_DEP_3) | instskip(NEXT) | instid1(VALU_DEP_1)
	v_cndmask_b32_e64 v36, v36, v22, s4
	v_dual_cndmask_b32 v37, v33, v25 :: v_dual_cndmask_b32 v36, v36, v24
	v_cmp_lt_u32_e32 vcc_lo, 6, v28
	s_waitcnt lgkmcnt(0)
	s_delay_alu instid0(VALU_DEP_2) | instskip(SKIP_1) | instid1(SALU_CYCLE_1)
	v_fma_f64 v[26:27], v[36:37], v[31:32], v[26:27]
	s_or_b32 s7, vcc_lo, s7
	s_and_not1_b32 exec_lo, exec_lo, s7
	s_cbranch_execnz .LBB75_235
; %bb.236:
	s_or_b32 exec_lo, exec_lo, s7
.LBB75_237:
	s_delay_alu instid0(SALU_CYCLE_1)
	s_or_b32 exec_lo, exec_lo, s6
	v_mov_b32_e32 v18, 0
	ds_load_b64 v[18:19], v18 offset:64
	s_waitcnt lgkmcnt(0)
	v_mul_f64 v[18:19], v[26:27], v[18:19]
.LBB75_238:
	s_or_b32 exec_lo, exec_lo, s5
	s_delay_alu instid0(SALU_CYCLE_1)
	s_mov_b32 s4, exec_lo
	ds_store_b64 v92, v[20:21]
	s_waitcnt lgkmcnt(0)
	s_barrier
	buffer_gl0_inv
	v_cmpx_gt_u32_e32 9, v0
	s_cbranch_execz .LBB75_260
; %bb.239:
	v_cmp_ne_u32_e32 vcc_lo, 1, v34
	s_cbranch_vccnz .LBB75_241
; %bb.240:
	v_cmp_eq_u32_e32 vcc_lo, 1, v0
	v_dual_cndmask_b32 v26, v3, v5 :: v_dual_cndmask_b32 v27, v2, v4
	v_cmp_eq_u32_e32 vcc_lo, 2, v0
	s_delay_alu instid0(VALU_DEP_2) | instskip(SKIP_1) | instid1(VALU_DEP_2)
	v_dual_cndmask_b32 v26, v26, v7 :: v_dual_cndmask_b32 v27, v27, v6
	v_cmp_eq_u32_e32 vcc_lo, 3, v0
	v_dual_cndmask_b32 v26, v26, v9 :: v_dual_cndmask_b32 v27, v27, v8
	v_cmp_eq_u32_e32 vcc_lo, 4, v0
	s_delay_alu instid0(VALU_DEP_2) | instskip(SKIP_1) | instid1(VALU_DEP_2)
	v_dual_cndmask_b32 v26, v26, v11 :: v_dual_cndmask_b32 v27, v27, v10
	;; [unrolled: 5-line block ×3, first 2 shown]
	v_cmp_eq_u32_e32 vcc_lo, 7, v0
	v_dual_cndmask_b32 v26, v26, v17 :: v_dual_cndmask_b32 v27, v27, v16
	v_cmp_eq_u32_e32 vcc_lo, 8, v0
	s_delay_alu instid0(VALU_DEP_2) | instskip(SKIP_4) | instid1(VALU_DEP_2)
	v_dual_cndmask_b32 v28, v26, v19 :: v_dual_cndmask_b32 v29, v27, v18
	v_cmp_eq_u32_e32 vcc_lo, 9, v0
	ds_load_b64 v[26:27], v92
	v_dual_cndmask_b32 v28, v28, v21 :: v_dual_cndmask_b32 v29, v29, v20
	v_cmp_eq_u32_e32 vcc_lo, 10, v0
	v_cndmask_b32_e32 v28, v28, v23, vcc_lo
	s_delay_alu instid0(VALU_DEP_3) | instskip(SKIP_1) | instid1(VALU_DEP_2)
	v_cndmask_b32_e32 v30, v29, v22, vcc_lo
	v_cmp_eq_u32_e32 vcc_lo, 11, v0
	v_dual_cndmask_b32 v29, v28, v25 :: v_dual_cndmask_b32 v28, v30, v24
	s_waitcnt lgkmcnt(0)
	s_delay_alu instid0(VALU_DEP_1)
	v_mul_f64 v[26:27], v[28:29], v[26:27]
	s_cbranch_execz .LBB75_242
	s_branch .LBB75_243
.LBB75_241:
                                        ; implicit-def: $vgpr26_vgpr27
.LBB75_242:
	ds_load_b64 v[26:27], v92
.LBB75_243:
	s_mov_b32 s5, exec_lo
	v_cmpx_ne_u32_e32 8, v0
	s_cbranch_execz .LBB75_259
; %bb.244:
	v_cmp_eq_u32_e32 vcc_lo, 1, v35
	v_dual_cndmask_b32 v28, v3, v5 :: v_dual_cndmask_b32 v29, v2, v4
	v_cmp_eq_u32_e32 vcc_lo, 2, v35
	s_delay_alu instid0(VALU_DEP_2) | instskip(SKIP_1) | instid1(VALU_DEP_2)
	v_dual_cndmask_b32 v28, v28, v7 :: v_dual_cndmask_b32 v29, v29, v6
	v_cmp_eq_u32_e32 vcc_lo, 3, v35
	v_dual_cndmask_b32 v28, v28, v9 :: v_dual_cndmask_b32 v29, v29, v8
	v_cmp_eq_u32_e32 vcc_lo, 4, v35
	s_delay_alu instid0(VALU_DEP_2) | instskip(SKIP_1) | instid1(VALU_DEP_2)
	v_dual_cndmask_b32 v28, v28, v11 :: v_dual_cndmask_b32 v29, v29, v10
	;; [unrolled: 5-line block ×3, first 2 shown]
	v_cmp_eq_u32_e32 vcc_lo, 7, v35
	v_dual_cndmask_b32 v28, v28, v17 :: v_dual_cndmask_b32 v29, v29, v16
	v_cmp_eq_u32_e32 vcc_lo, 8, v35
	s_delay_alu instid0(VALU_DEP_2) | instskip(SKIP_4) | instid1(VALU_DEP_2)
	v_dual_cndmask_b32 v30, v28, v19 :: v_dual_cndmask_b32 v31, v29, v18
	v_cmp_eq_u32_e32 vcc_lo, 9, v35
	ds_load_b64 v[28:29], v92 offset:8
	v_dual_cndmask_b32 v30, v30, v21 :: v_dual_cndmask_b32 v31, v31, v20
	v_cmp_eq_u32_e32 vcc_lo, 10, v35
	v_cndmask_b32_e32 v30, v30, v23, vcc_lo
	s_delay_alu instid0(VALU_DEP_3) | instskip(SKIP_1) | instid1(VALU_DEP_2)
	v_cndmask_b32_e32 v32, v31, v22, vcc_lo
	v_cmp_eq_u32_e32 vcc_lo, 11, v35
	v_dual_cndmask_b32 v31, v30, v25 :: v_dual_cndmask_b32 v30, v32, v24
	s_waitcnt lgkmcnt(0)
	s_delay_alu instid0(VALU_DEP_1)
	v_fma_f64 v[26:27], v[30:31], v[28:29], v[26:27]
	s_and_saveexec_b32 s6, s3
	s_cbranch_execz .LBB75_258
; %bb.245:
	v_add_nc_u32_e32 v30, 2, v0
	s_mov_b32 s3, exec_lo
	s_delay_alu instid0(VALU_DEP_1) | instskip(SKIP_2) | instid1(VALU_DEP_2)
	v_cmp_eq_u32_e32 vcc_lo, 1, v30
	v_dual_cndmask_b32 v28, v3, v5 :: v_dual_cndmask_b32 v29, v2, v4
	v_cmp_eq_u32_e32 vcc_lo, 2, v30
	v_dual_cndmask_b32 v29, v29, v6 :: v_dual_cndmask_b32 v28, v28, v7
	v_cmp_eq_u32_e32 vcc_lo, 3, v30
	s_delay_alu instid0(VALU_DEP_2) | instskip(SKIP_1) | instid1(VALU_DEP_2)
	v_dual_cndmask_b32 v29, v29, v8 :: v_dual_cndmask_b32 v28, v28, v9
	v_cmp_eq_u32_e32 vcc_lo, 4, v30
	v_dual_cndmask_b32 v29, v29, v10 :: v_dual_cndmask_b32 v28, v28, v11
	v_cmp_eq_u32_e32 vcc_lo, 5, v30
	s_delay_alu instid0(VALU_DEP_2) | instskip(SKIP_1) | instid1(VALU_DEP_2)
	;; [unrolled: 5-line block ×3, first 2 shown]
	v_dual_cndmask_b32 v29, v29, v16 :: v_dual_cndmask_b32 v28, v28, v17
	v_cmp_eq_u32_e32 vcc_lo, 8, v30
	v_dual_cndmask_b32 v31, v28, v19 :: v_dual_cndmask_b32 v32, v29, v18
	v_cmp_eq_u32_e32 vcc_lo, 9, v30
	ds_load_b64 v[28:29], v92 offset:16
	v_dual_cndmask_b32 v31, v31, v21 :: v_dual_cndmask_b32 v32, v32, v20
	v_cmp_eq_u32_e32 vcc_lo, 10, v30
	s_delay_alu instid0(VALU_DEP_2) | instskip(SKIP_1) | instid1(VALU_DEP_2)
	v_dual_cndmask_b32 v31, v31, v23 :: v_dual_cndmask_b32 v32, v32, v22
	v_cmp_eq_u32_e32 vcc_lo, 11, v30
	v_dual_cndmask_b32 v31, v31, v25 :: v_dual_cndmask_b32 v30, v32, v24
	s_waitcnt lgkmcnt(0)
	s_delay_alu instid0(VALU_DEP_1)
	v_fma_f64 v[26:27], v[30:31], v[28:29], v[26:27]
	v_cmpx_ne_u32_e32 6, v0
	s_cbranch_execz .LBB75_257
; %bb.246:
	v_add_nc_u32_e32 v30, 3, v0
	s_delay_alu instid0(VALU_DEP_1) | instskip(SKIP_2) | instid1(VALU_DEP_2)
	v_cmp_eq_u32_e32 vcc_lo, 1, v30
	v_dual_cndmask_b32 v28, v3, v5 :: v_dual_cndmask_b32 v29, v2, v4
	v_cmp_eq_u32_e32 vcc_lo, 2, v30
	v_dual_cndmask_b32 v29, v29, v6 :: v_dual_cndmask_b32 v28, v28, v7
	v_cmp_eq_u32_e32 vcc_lo, 3, v30
	s_delay_alu instid0(VALU_DEP_2) | instskip(SKIP_1) | instid1(VALU_DEP_2)
	v_dual_cndmask_b32 v29, v29, v8 :: v_dual_cndmask_b32 v28, v28, v9
	v_cmp_eq_u32_e32 vcc_lo, 4, v30
	v_dual_cndmask_b32 v29, v29, v10 :: v_dual_cndmask_b32 v28, v28, v11
	v_cmp_eq_u32_e32 vcc_lo, 5, v30
	s_delay_alu instid0(VALU_DEP_2) | instskip(SKIP_1) | instid1(VALU_DEP_2)
	v_dual_cndmask_b32 v29, v29, v12 :: v_dual_cndmask_b32 v28, v28, v13
	v_cmp_eq_u32_e32 vcc_lo, 6, v30
	v_dual_cndmask_b32 v29, v29, v14 :: v_dual_cndmask_b32 v28, v28, v15
	v_cmp_eq_u32_e32 vcc_lo, 7, v30
	s_delay_alu instid0(VALU_DEP_2) | instskip(SKIP_1) | instid1(VALU_DEP_2)
	v_dual_cndmask_b32 v29, v29, v16 :: v_dual_cndmask_b32 v28, v28, v17
	v_cmp_eq_u32_e32 vcc_lo, 8, v30
	v_dual_cndmask_b32 v31, v28, v19 :: v_dual_cndmask_b32 v32, v29, v18
	v_cmp_eq_u32_e32 vcc_lo, 9, v30
	ds_load_b64 v[28:29], v92 offset:24
	v_dual_cndmask_b32 v31, v31, v21 :: v_dual_cndmask_b32 v32, v32, v20
	v_cmp_eq_u32_e32 vcc_lo, 10, v30
	s_delay_alu instid0(VALU_DEP_2) | instskip(SKIP_1) | instid1(VALU_DEP_2)
	v_dual_cndmask_b32 v31, v31, v23 :: v_dual_cndmask_b32 v32, v32, v22
	v_cmp_eq_u32_e32 vcc_lo, 11, v30
	v_dual_cndmask_b32 v31, v31, v25 :: v_dual_cndmask_b32 v30, v32, v24
	s_waitcnt lgkmcnt(0)
	s_delay_alu instid0(VALU_DEP_1)
	v_fma_f64 v[26:27], v[30:31], v[28:29], v[26:27]
	s_and_saveexec_b32 s7, s2
	s_cbranch_execz .LBB75_256
; %bb.247:
	v_add_nc_u32_e32 v30, 4, v0
	s_mov_b32 s2, exec_lo
	s_delay_alu instid0(VALU_DEP_1) | instskip(SKIP_2) | instid1(VALU_DEP_2)
	v_cmp_eq_u32_e32 vcc_lo, 1, v30
	v_dual_cndmask_b32 v28, v3, v5 :: v_dual_cndmask_b32 v29, v2, v4
	v_cmp_eq_u32_e32 vcc_lo, 2, v30
	v_dual_cndmask_b32 v29, v29, v6 :: v_dual_cndmask_b32 v28, v28, v7
	v_cmp_eq_u32_e32 vcc_lo, 3, v30
	s_delay_alu instid0(VALU_DEP_2) | instskip(SKIP_1) | instid1(VALU_DEP_2)
	v_dual_cndmask_b32 v29, v29, v8 :: v_dual_cndmask_b32 v28, v28, v9
	v_cmp_eq_u32_e32 vcc_lo, 4, v30
	v_dual_cndmask_b32 v29, v29, v10 :: v_dual_cndmask_b32 v28, v28, v11
	v_cmp_eq_u32_e32 vcc_lo, 5, v30
	s_delay_alu instid0(VALU_DEP_2) | instskip(SKIP_1) | instid1(VALU_DEP_2)
	;; [unrolled: 5-line block ×3, first 2 shown]
	v_dual_cndmask_b32 v29, v29, v16 :: v_dual_cndmask_b32 v28, v28, v17
	v_cmp_eq_u32_e32 vcc_lo, 8, v30
	v_dual_cndmask_b32 v31, v28, v19 :: v_dual_cndmask_b32 v32, v29, v18
	v_cmp_eq_u32_e32 vcc_lo, 9, v30
	ds_load_b64 v[28:29], v92 offset:32
	v_dual_cndmask_b32 v31, v31, v21 :: v_dual_cndmask_b32 v32, v32, v20
	v_cmp_eq_u32_e32 vcc_lo, 10, v30
	s_delay_alu instid0(VALU_DEP_2) | instskip(SKIP_1) | instid1(VALU_DEP_2)
	v_dual_cndmask_b32 v31, v31, v23 :: v_dual_cndmask_b32 v32, v32, v22
	v_cmp_eq_u32_e32 vcc_lo, 11, v30
	v_dual_cndmask_b32 v31, v31, v25 :: v_dual_cndmask_b32 v30, v32, v24
	s_waitcnt lgkmcnt(0)
	s_delay_alu instid0(VALU_DEP_1)
	v_fma_f64 v[26:27], v[30:31], v[28:29], v[26:27]
	v_cmpx_ne_u32_e32 4, v0
	s_cbranch_execz .LBB75_255
; %bb.248:
	v_add_nc_u32_e32 v30, 5, v0
	s_delay_alu instid0(VALU_DEP_1) | instskip(SKIP_2) | instid1(VALU_DEP_2)
	v_cmp_eq_u32_e32 vcc_lo, 1, v30
	v_dual_cndmask_b32 v28, v3, v5 :: v_dual_cndmask_b32 v29, v2, v4
	v_cmp_eq_u32_e32 vcc_lo, 2, v30
	v_dual_cndmask_b32 v29, v29, v6 :: v_dual_cndmask_b32 v28, v28, v7
	v_cmp_eq_u32_e32 vcc_lo, 3, v30
	s_delay_alu instid0(VALU_DEP_2) | instskip(SKIP_1) | instid1(VALU_DEP_2)
	v_dual_cndmask_b32 v29, v29, v8 :: v_dual_cndmask_b32 v28, v28, v9
	v_cmp_eq_u32_e32 vcc_lo, 4, v30
	v_dual_cndmask_b32 v29, v29, v10 :: v_dual_cndmask_b32 v28, v28, v11
	v_cmp_eq_u32_e32 vcc_lo, 5, v30
	s_delay_alu instid0(VALU_DEP_2) | instskip(SKIP_1) | instid1(VALU_DEP_2)
	;; [unrolled: 5-line block ×3, first 2 shown]
	v_dual_cndmask_b32 v29, v29, v16 :: v_dual_cndmask_b32 v28, v28, v17
	v_cmp_eq_u32_e32 vcc_lo, 8, v30
	v_dual_cndmask_b32 v31, v28, v19 :: v_dual_cndmask_b32 v32, v29, v18
	v_cmp_eq_u32_e32 vcc_lo, 9, v30
	ds_load_b64 v[28:29], v92 offset:40
	v_dual_cndmask_b32 v31, v31, v21 :: v_dual_cndmask_b32 v32, v32, v20
	v_cmp_eq_u32_e32 vcc_lo, 10, v30
	s_delay_alu instid0(VALU_DEP_2) | instskip(SKIP_1) | instid1(VALU_DEP_2)
	v_dual_cndmask_b32 v31, v31, v23 :: v_dual_cndmask_b32 v32, v32, v22
	v_cmp_eq_u32_e32 vcc_lo, 11, v30
	v_dual_cndmask_b32 v31, v31, v25 :: v_dual_cndmask_b32 v30, v32, v24
	s_waitcnt lgkmcnt(0)
	s_delay_alu instid0(VALU_DEP_1)
	v_fma_f64 v[26:27], v[30:31], v[28:29], v[26:27]
	s_and_saveexec_b32 s8, s1
	s_cbranch_execz .LBB75_254
; %bb.249:
	v_add_nc_u32_e32 v30, 6, v0
	s_mov_b32 s1, exec_lo
	s_delay_alu instid0(VALU_DEP_1) | instskip(SKIP_2) | instid1(VALU_DEP_2)
	v_cmp_eq_u32_e32 vcc_lo, 1, v30
	v_dual_cndmask_b32 v28, v3, v5 :: v_dual_cndmask_b32 v29, v2, v4
	v_cmp_eq_u32_e32 vcc_lo, 2, v30
	v_dual_cndmask_b32 v29, v29, v6 :: v_dual_cndmask_b32 v28, v28, v7
	v_cmp_eq_u32_e32 vcc_lo, 3, v30
	s_delay_alu instid0(VALU_DEP_2) | instskip(SKIP_1) | instid1(VALU_DEP_2)
	v_dual_cndmask_b32 v29, v29, v8 :: v_dual_cndmask_b32 v28, v28, v9
	v_cmp_eq_u32_e32 vcc_lo, 4, v30
	v_dual_cndmask_b32 v29, v29, v10 :: v_dual_cndmask_b32 v28, v28, v11
	v_cmp_eq_u32_e32 vcc_lo, 5, v30
	s_delay_alu instid0(VALU_DEP_2) | instskip(SKIP_1) | instid1(VALU_DEP_2)
	;; [unrolled: 5-line block ×3, first 2 shown]
	v_dual_cndmask_b32 v29, v29, v16 :: v_dual_cndmask_b32 v28, v28, v17
	v_cmp_eq_u32_e32 vcc_lo, 8, v30
	v_dual_cndmask_b32 v31, v28, v19 :: v_dual_cndmask_b32 v32, v29, v18
	v_cmp_eq_u32_e32 vcc_lo, 9, v30
	ds_load_b64 v[28:29], v92 offset:48
	v_dual_cndmask_b32 v31, v31, v21 :: v_dual_cndmask_b32 v32, v32, v20
	v_cmp_eq_u32_e32 vcc_lo, 10, v30
	s_delay_alu instid0(VALU_DEP_2) | instskip(SKIP_1) | instid1(VALU_DEP_2)
	v_dual_cndmask_b32 v31, v31, v23 :: v_dual_cndmask_b32 v32, v32, v22
	v_cmp_eq_u32_e32 vcc_lo, 11, v30
	v_dual_cndmask_b32 v31, v31, v25 :: v_dual_cndmask_b32 v30, v32, v24
	s_waitcnt lgkmcnt(0)
	s_delay_alu instid0(VALU_DEP_1)
	v_fma_f64 v[26:27], v[30:31], v[28:29], v[26:27]
	v_cmpx_ne_u32_e32 2, v0
	s_cbranch_execz .LBB75_253
; %bb.250:
	v_add_nc_u32_e32 v30, 7, v0
	s_delay_alu instid0(VALU_DEP_1) | instskip(SKIP_2) | instid1(VALU_DEP_2)
	v_cmp_eq_u32_e32 vcc_lo, 1, v30
	v_dual_cndmask_b32 v28, v3, v5 :: v_dual_cndmask_b32 v29, v2, v4
	v_cmp_eq_u32_e32 vcc_lo, 2, v30
	v_dual_cndmask_b32 v29, v29, v6 :: v_dual_cndmask_b32 v28, v28, v7
	v_cmp_eq_u32_e32 vcc_lo, 3, v30
	s_delay_alu instid0(VALU_DEP_2) | instskip(SKIP_1) | instid1(VALU_DEP_2)
	v_dual_cndmask_b32 v29, v29, v8 :: v_dual_cndmask_b32 v28, v28, v9
	v_cmp_eq_u32_e32 vcc_lo, 4, v30
	v_dual_cndmask_b32 v29, v29, v10 :: v_dual_cndmask_b32 v28, v28, v11
	v_cmp_eq_u32_e32 vcc_lo, 5, v30
	s_delay_alu instid0(VALU_DEP_2) | instskip(SKIP_1) | instid1(VALU_DEP_2)
	;; [unrolled: 5-line block ×3, first 2 shown]
	v_dual_cndmask_b32 v29, v29, v16 :: v_dual_cndmask_b32 v28, v28, v17
	v_cmp_eq_u32_e32 vcc_lo, 8, v30
	v_dual_cndmask_b32 v31, v28, v19 :: v_dual_cndmask_b32 v32, v29, v18
	v_cmp_eq_u32_e32 vcc_lo, 9, v30
	ds_load_b64 v[28:29], v92 offset:56
	v_dual_cndmask_b32 v21, v31, v21 :: v_dual_cndmask_b32 v20, v32, v20
	v_cmp_eq_u32_e32 vcc_lo, 10, v30
	s_delay_alu instid0(VALU_DEP_2) | instskip(SKIP_1) | instid1(VALU_DEP_2)
	v_dual_cndmask_b32 v21, v21, v23 :: v_dual_cndmask_b32 v20, v20, v22
	v_cmp_eq_u32_e32 vcc_lo, 11, v30
	v_dual_cndmask_b32 v21, v21, v25 :: v_dual_cndmask_b32 v20, v20, v24
	s_waitcnt lgkmcnt(0)
	s_delay_alu instid0(VALU_DEP_1)
	v_fma_f64 v[26:27], v[20:21], v[28:29], v[26:27]
	s_and_saveexec_b32 s9, s0
	s_cbranch_execz .LBB75_252
; %bb.251:
	ds_load_b64 v[20:21], v92 offset:64
	s_waitcnt lgkmcnt(0)
	v_fma_f64 v[26:27], v[18:19], v[20:21], v[26:27]
.LBB75_252:
	s_or_b32 exec_lo, exec_lo, s9
.LBB75_253:
	s_delay_alu instid0(SALU_CYCLE_1)
	s_or_b32 exec_lo, exec_lo, s1
.LBB75_254:
	s_delay_alu instid0(SALU_CYCLE_1)
	s_or_b32 exec_lo, exec_lo, s8
.LBB75_255:
	s_delay_alu instid0(SALU_CYCLE_1)
	s_or_b32 exec_lo, exec_lo, s2
.LBB75_256:
	s_delay_alu instid0(SALU_CYCLE_1)
	s_or_b32 exec_lo, exec_lo, s7
.LBB75_257:
	s_delay_alu instid0(SALU_CYCLE_1)
	s_or_b32 exec_lo, exec_lo, s3
.LBB75_258:
	s_delay_alu instid0(SALU_CYCLE_1)
	s_or_b32 exec_lo, exec_lo, s6
.LBB75_259:
	s_delay_alu instid0(SALU_CYCLE_1)
	s_or_b32 exec_lo, exec_lo, s5
	v_mov_b32_e32 v20, 0
	ds_load_b64 v[20:21], v20 offset:72
	s_waitcnt lgkmcnt(0)
	v_mul_f64 v[20:21], v[26:27], v[20:21]
.LBB75_260:
	s_or_b32 exec_lo, exec_lo, s4
	v_cmp_gt_u32_e64 s0, 10, v0
	ds_store_b64 v92, v[22:23]
	s_waitcnt lgkmcnt(0)
	s_barrier
	buffer_gl0_inv
	s_and_saveexec_b32 s2, s0
	s_cbranch_execz .LBB75_270
; %bb.261:
	v_cmp_ne_u32_e32 vcc_lo, 1, v34
	s_cbranch_vccnz .LBB75_263
; %bb.262:
	v_cmp_eq_u32_e32 vcc_lo, 1, v0
	v_dual_cndmask_b32 v26, v3, v5 :: v_dual_cndmask_b32 v27, v2, v4
	v_cmp_eq_u32_e32 vcc_lo, 2, v0
	s_delay_alu instid0(VALU_DEP_2) | instskip(SKIP_1) | instid1(VALU_DEP_2)
	v_dual_cndmask_b32 v26, v26, v7 :: v_dual_cndmask_b32 v27, v27, v6
	v_cmp_eq_u32_e32 vcc_lo, 3, v0
	v_dual_cndmask_b32 v26, v26, v9 :: v_dual_cndmask_b32 v27, v27, v8
	v_cmp_eq_u32_e32 vcc_lo, 4, v0
	s_delay_alu instid0(VALU_DEP_2) | instskip(SKIP_1) | instid1(VALU_DEP_2)
	v_dual_cndmask_b32 v26, v26, v11 :: v_dual_cndmask_b32 v27, v27, v10
	;; [unrolled: 5-line block ×3, first 2 shown]
	v_cmp_eq_u32_e32 vcc_lo, 7, v0
	v_dual_cndmask_b32 v26, v26, v17 :: v_dual_cndmask_b32 v27, v27, v16
	v_cmp_eq_u32_e32 vcc_lo, 8, v0
	s_delay_alu instid0(VALU_DEP_2) | instskip(SKIP_4) | instid1(VALU_DEP_2)
	v_dual_cndmask_b32 v28, v26, v19 :: v_dual_cndmask_b32 v29, v27, v18
	v_cmp_eq_u32_e32 vcc_lo, 9, v0
	ds_load_b64 v[26:27], v92
	v_dual_cndmask_b32 v28, v28, v21 :: v_dual_cndmask_b32 v29, v29, v20
	v_cmp_eq_u32_e32 vcc_lo, 10, v0
	v_cndmask_b32_e32 v28, v28, v23, vcc_lo
	s_delay_alu instid0(VALU_DEP_3) | instskip(SKIP_1) | instid1(VALU_DEP_2)
	v_cndmask_b32_e32 v30, v29, v22, vcc_lo
	v_cmp_eq_u32_e32 vcc_lo, 11, v0
	v_dual_cndmask_b32 v29, v28, v25 :: v_dual_cndmask_b32 v28, v30, v24
	s_waitcnt lgkmcnt(0)
	s_delay_alu instid0(VALU_DEP_1)
	v_mul_f64 v[26:27], v[28:29], v[26:27]
	s_cbranch_execz .LBB75_264
	s_branch .LBB75_265
.LBB75_263:
                                        ; implicit-def: $vgpr26_vgpr27
.LBB75_264:
	ds_load_b64 v[26:27], v92
.LBB75_265:
	s_mov_b32 s3, exec_lo
	v_cmpx_ne_u32_e32 9, v0
	s_cbranch_execz .LBB75_269
; %bb.266:
	v_lshl_add_u32 v30, v0, 3, 0x68
	v_dual_mov_b32 v29, v1 :: v_dual_mov_b32 v28, v0
	s_mov_b32 s4, 0
.LBB75_267:                             ; =>This Inner Loop Header: Depth=1
	s_delay_alu instid0(VALU_DEP_1) | instskip(NEXT) | instid1(VALU_DEP_2)
	v_add_co_u32 v28, vcc_lo, v28, 1
	v_add_co_ci_u32_e32 v29, vcc_lo, 0, v29, vcc_lo
	s_delay_alu instid0(VALU_DEP_2) | instskip(SKIP_3) | instid1(VALU_DEP_2)
	v_cmp_eq_u32_e32 vcc_lo, 1, v28
	v_cmp_eq_u32_e64 s1, 2, v28
	v_dual_cndmask_b32 v31, v3, v5 :: v_dual_cndmask_b32 v32, v2, v4
	v_cmp_eq_u32_e32 vcc_lo, 3, v28
	v_cndmask_b32_e64 v31, v31, v7, s1
	s_delay_alu instid0(VALU_DEP_3) | instskip(SKIP_1) | instid1(VALU_DEP_2)
	v_cndmask_b32_e64 v32, v32, v6, s1
	v_cmp_eq_u32_e64 s1, 4, v28
	v_dual_cndmask_b32 v31, v31, v9 :: v_dual_cndmask_b32 v32, v32, v8
	v_cmp_eq_u32_e32 vcc_lo, 5, v28
	s_delay_alu instid0(VALU_DEP_2) | instskip(NEXT) | instid1(VALU_DEP_3)
	v_cndmask_b32_e64 v31, v31, v11, s1
	v_cndmask_b32_e64 v32, v32, v10, s1
	v_cmp_eq_u32_e64 s1, 6, v28
	s_delay_alu instid0(VALU_DEP_2) | instskip(SKIP_1) | instid1(VALU_DEP_2)
	v_dual_cndmask_b32 v31, v31, v13 :: v_dual_cndmask_b32 v32, v32, v12
	v_cmp_eq_u32_e32 vcc_lo, 7, v28
	v_cndmask_b32_e64 v31, v31, v15, s1
	s_delay_alu instid0(VALU_DEP_3) | instskip(SKIP_1) | instid1(VALU_DEP_3)
	v_cndmask_b32_e64 v32, v32, v14, s1
	v_cmp_eq_u32_e64 s1, 8, v28
	v_cndmask_b32_e32 v33, v31, v17, vcc_lo
	s_delay_alu instid0(VALU_DEP_3)
	v_cndmask_b32_e32 v35, v32, v16, vcc_lo
	ds_load_b64 v[31:32], v30
	v_cmp_eq_u32_e32 vcc_lo, 9, v28
	v_add_nc_u32_e32 v30, 8, v30
	v_cndmask_b32_e64 v33, v33, v19, s1
	v_cndmask_b32_e64 v35, v35, v18, s1
	v_cmp_eq_u32_e64 s1, 10, v28
	s_delay_alu instid0(VALU_DEP_3) | instskip(NEXT) | instid1(VALU_DEP_3)
	v_cndmask_b32_e32 v33, v33, v21, vcc_lo
	v_cndmask_b32_e32 v35, v35, v20, vcc_lo
	v_cmp_eq_u32_e32 vcc_lo, 11, v28
	s_delay_alu instid0(VALU_DEP_3) | instskip(NEXT) | instid1(VALU_DEP_3)
	v_cndmask_b32_e64 v33, v33, v23, s1
	v_cndmask_b32_e64 v35, v35, v22, s1
	s_delay_alu instid0(VALU_DEP_1) | instskip(SKIP_2) | instid1(VALU_DEP_2)
	v_dual_cndmask_b32 v36, v33, v25 :: v_dual_cndmask_b32 v35, v35, v24
	v_cmp_lt_u32_e32 vcc_lo, 8, v28
	s_waitcnt lgkmcnt(0)
	v_fma_f64 v[26:27], v[35:36], v[31:32], v[26:27]
	s_or_b32 s4, vcc_lo, s4
	s_delay_alu instid0(SALU_CYCLE_1)
	s_and_not1_b32 exec_lo, exec_lo, s4
	s_cbranch_execnz .LBB75_267
; %bb.268:
	s_or_b32 exec_lo, exec_lo, s4
.LBB75_269:
	s_delay_alu instid0(SALU_CYCLE_1)
	s_or_b32 exec_lo, exec_lo, s3
	v_mov_b32_e32 v22, 0
	ds_load_b64 v[22:23], v22 offset:80
	s_waitcnt lgkmcnt(0)
	v_mul_f64 v[22:23], v[26:27], v[22:23]
.LBB75_270:
	s_or_b32 exec_lo, exec_lo, s2
	s_delay_alu instid0(SALU_CYCLE_1)
	s_mov_b32 s1, exec_lo
	ds_store_b64 v92, v[24:25]
	s_waitcnt lgkmcnt(0)
	s_barrier
	buffer_gl0_inv
	v_cmpx_ne_u32_e32 11, v0
	s_cbranch_execz .LBB75_280
; %bb.271:
	v_cmp_ne_u32_e32 vcc_lo, 1, v34
	s_cbranch_vccnz .LBB75_273
; %bb.272:
	v_cmp_eq_u32_e32 vcc_lo, 1, v0
	v_dual_cndmask_b32 v26, v3, v5 :: v_dual_cndmask_b32 v27, v2, v4
	v_cmp_eq_u32_e32 vcc_lo, 2, v0
	s_delay_alu instid0(VALU_DEP_2) | instskip(SKIP_1) | instid1(VALU_DEP_2)
	v_dual_cndmask_b32 v26, v26, v7 :: v_dual_cndmask_b32 v27, v27, v6
	v_cmp_eq_u32_e32 vcc_lo, 3, v0
	v_dual_cndmask_b32 v26, v26, v9 :: v_dual_cndmask_b32 v27, v27, v8
	v_cmp_eq_u32_e32 vcc_lo, 4, v0
	s_delay_alu instid0(VALU_DEP_2) | instskip(SKIP_1) | instid1(VALU_DEP_2)
	v_dual_cndmask_b32 v26, v26, v11 :: v_dual_cndmask_b32 v27, v27, v10
	;; [unrolled: 5-line block ×3, first 2 shown]
	v_cmp_eq_u32_e32 vcc_lo, 7, v0
	v_dual_cndmask_b32 v26, v26, v17 :: v_dual_cndmask_b32 v27, v27, v16
	v_cmp_eq_u32_e32 vcc_lo, 8, v0
	s_delay_alu instid0(VALU_DEP_2) | instskip(SKIP_4) | instid1(VALU_DEP_2)
	v_dual_cndmask_b32 v28, v26, v19 :: v_dual_cndmask_b32 v29, v27, v18
	v_cmp_eq_u32_e32 vcc_lo, 9, v0
	ds_load_b64 v[26:27], v92
	v_dual_cndmask_b32 v28, v28, v21 :: v_dual_cndmask_b32 v29, v29, v20
	v_cmp_eq_u32_e32 vcc_lo, 10, v0
	v_cndmask_b32_e32 v28, v28, v23, vcc_lo
	s_delay_alu instid0(VALU_DEP_3) | instskip(SKIP_1) | instid1(VALU_DEP_2)
	v_cndmask_b32_e32 v30, v29, v22, vcc_lo
	v_cmp_eq_u32_e32 vcc_lo, 11, v0
	v_dual_cndmask_b32 v29, v28, v25 :: v_dual_cndmask_b32 v28, v30, v24
	s_waitcnt lgkmcnt(0)
	s_delay_alu instid0(VALU_DEP_1)
	v_mul_f64 v[26:27], v[28:29], v[26:27]
	s_cbranch_execz .LBB75_274
	s_branch .LBB75_275
.LBB75_273:
                                        ; implicit-def: $vgpr26_vgpr27
.LBB75_274:
	ds_load_b64 v[26:27], v92
.LBB75_275:
	s_and_saveexec_b32 s2, s0
	s_cbranch_execz .LBB75_279
; %bb.276:
	v_lshl_add_u32 v28, v0, 3, 0x68
	s_mov_b32 s3, 0
.LBB75_277:                             ; =>This Inner Loop Header: Depth=1
	v_add_co_u32 v0, vcc_lo, v0, 1
	v_add_co_ci_u32_e32 v1, vcc_lo, 0, v1, vcc_lo
	s_delay_alu instid0(VALU_DEP_2) | instskip(SKIP_3) | instid1(VALU_DEP_2)
	v_cmp_eq_u32_e32 vcc_lo, 1, v0
	v_cmp_eq_u32_e64 s0, 2, v0
	v_dual_cndmask_b32 v29, v3, v5 :: v_dual_cndmask_b32 v30, v2, v4
	v_cmp_eq_u32_e32 vcc_lo, 3, v0
	v_cndmask_b32_e64 v29, v29, v7, s0
	s_delay_alu instid0(VALU_DEP_3) | instskip(SKIP_1) | instid1(VALU_DEP_2)
	v_cndmask_b32_e64 v30, v30, v6, s0
	v_cmp_eq_u32_e64 s0, 4, v0
	v_dual_cndmask_b32 v29, v29, v9 :: v_dual_cndmask_b32 v30, v30, v8
	v_cmp_eq_u32_e32 vcc_lo, 5, v0
	s_delay_alu instid0(VALU_DEP_2) | instskip(NEXT) | instid1(VALU_DEP_3)
	v_cndmask_b32_e64 v29, v29, v11, s0
	v_cndmask_b32_e64 v30, v30, v10, s0
	v_cmp_eq_u32_e64 s0, 6, v0
	s_delay_alu instid0(VALU_DEP_2) | instskip(SKIP_1) | instid1(VALU_DEP_2)
	v_dual_cndmask_b32 v29, v29, v13 :: v_dual_cndmask_b32 v30, v30, v12
	v_cmp_eq_u32_e32 vcc_lo, 7, v0
	v_cndmask_b32_e64 v29, v29, v15, s0
	s_delay_alu instid0(VALU_DEP_3) | instskip(SKIP_1) | instid1(VALU_DEP_2)
	v_cndmask_b32_e64 v30, v30, v14, s0
	v_cmp_eq_u32_e64 s0, 8, v0
	v_dual_cndmask_b32 v31, v29, v17 :: v_dual_cndmask_b32 v32, v30, v16
	ds_load_b64 v[29:30], v28
	v_cmp_eq_u32_e32 vcc_lo, 9, v0
	v_add_nc_u32_e32 v28, 8, v28
	v_cndmask_b32_e64 v31, v31, v19, s0
	v_cndmask_b32_e64 v32, v32, v18, s0
	v_cmp_eq_u32_e64 s0, 10, v0
	s_delay_alu instid0(VALU_DEP_2) | instskip(SKIP_1) | instid1(VALU_DEP_2)
	v_dual_cndmask_b32 v31, v31, v21 :: v_dual_cndmask_b32 v32, v32, v20
	v_cmp_eq_u32_e32 vcc_lo, 11, v0
	v_cndmask_b32_e64 v31, v31, v23, s0
	s_delay_alu instid0(VALU_DEP_3) | instskip(NEXT) | instid1(VALU_DEP_1)
	v_cndmask_b32_e64 v33, v32, v22, s0
	v_dual_cndmask_b32 v32, v31, v25 :: v_dual_cndmask_b32 v31, v33, v24
	v_cmp_lt_u32_e32 vcc_lo, 9, v0
	s_waitcnt lgkmcnt(0)
	s_delay_alu instid0(VALU_DEP_2) | instskip(SKIP_1) | instid1(SALU_CYCLE_1)
	v_fma_f64 v[26:27], v[31:32], v[29:30], v[26:27]
	s_or_b32 s3, vcc_lo, s3
	s_and_not1_b32 exec_lo, exec_lo, s3
	s_cbranch_execnz .LBB75_277
; %bb.278:
	s_or_b32 exec_lo, exec_lo, s3
.LBB75_279:
	s_delay_alu instid0(SALU_CYCLE_1)
	s_or_b32 exec_lo, exec_lo, s2
	v_mov_b32_e32 v0, 0
	ds_load_b64 v[0:1], v0 offset:88
	s_waitcnt lgkmcnt(0)
	v_mul_f64 v[24:25], v[26:27], v[0:1]
.LBB75_280:
	s_or_b32 exec_lo, exec_lo, s1
	v_dual_mov_b32 v65, v33 :: v_dual_mov_b32 v64, v32
	v_dual_mov_b32 v63, v31 :: v_dual_mov_b32 v62, v30
	;; [unrolled: 1-line block ×16, first 2 shown]
.LBB75_281:
	s_clause 0xb
	global_store_b64 v[72:73], v[34:35], off
	global_store_b64 v[74:75], v[36:37], off
	;; [unrolled: 1-line block ×12, first 2 shown]
.LBB75_282:
	s_nop 0
	s_sendmsg sendmsg(MSG_DEALLOC_VGPRS)
	s_endpgm
	.section	.rodata,"a",@progbits
	.p2align	6, 0x0
	.amdhsa_kernel _ZN9rocsolver6v33100L18trti2_kernel_smallILi12EdPKPdEEv13rocblas_fill_17rocblas_diagonal_T1_iil
		.amdhsa_group_segment_fixed_size 192
		.amdhsa_private_segment_fixed_size 0
		.amdhsa_kernarg_size 32
		.amdhsa_user_sgpr_count 15
		.amdhsa_user_sgpr_dispatch_ptr 0
		.amdhsa_user_sgpr_queue_ptr 0
		.amdhsa_user_sgpr_kernarg_segment_ptr 1
		.amdhsa_user_sgpr_dispatch_id 0
		.amdhsa_user_sgpr_private_segment_size 0
		.amdhsa_wavefront_size32 1
		.amdhsa_uses_dynamic_stack 0
		.amdhsa_enable_private_segment 0
		.amdhsa_system_sgpr_workgroup_id_x 1
		.amdhsa_system_sgpr_workgroup_id_y 0
		.amdhsa_system_sgpr_workgroup_id_z 0
		.amdhsa_system_sgpr_workgroup_info 0
		.amdhsa_system_vgpr_workitem_id 0
		.amdhsa_next_free_vgpr 106
		.amdhsa_next_free_sgpr 16
		.amdhsa_reserve_vcc 1
		.amdhsa_float_round_mode_32 0
		.amdhsa_float_round_mode_16_64 0
		.amdhsa_float_denorm_mode_32 3
		.amdhsa_float_denorm_mode_16_64 3
		.amdhsa_dx10_clamp 1
		.amdhsa_ieee_mode 1
		.amdhsa_fp16_overflow 0
		.amdhsa_workgroup_processor_mode 1
		.amdhsa_memory_ordered 1
		.amdhsa_forward_progress 0
		.amdhsa_shared_vgpr_count 0
		.amdhsa_exception_fp_ieee_invalid_op 0
		.amdhsa_exception_fp_denorm_src 0
		.amdhsa_exception_fp_ieee_div_zero 0
		.amdhsa_exception_fp_ieee_overflow 0
		.amdhsa_exception_fp_ieee_underflow 0
		.amdhsa_exception_fp_ieee_inexact 0
		.amdhsa_exception_int_div_zero 0
	.end_amdhsa_kernel
	.section	.text._ZN9rocsolver6v33100L18trti2_kernel_smallILi12EdPKPdEEv13rocblas_fill_17rocblas_diagonal_T1_iil,"axG",@progbits,_ZN9rocsolver6v33100L18trti2_kernel_smallILi12EdPKPdEEv13rocblas_fill_17rocblas_diagonal_T1_iil,comdat
.Lfunc_end75:
	.size	_ZN9rocsolver6v33100L18trti2_kernel_smallILi12EdPKPdEEv13rocblas_fill_17rocblas_diagonal_T1_iil, .Lfunc_end75-_ZN9rocsolver6v33100L18trti2_kernel_smallILi12EdPKPdEEv13rocblas_fill_17rocblas_diagonal_T1_iil
                                        ; -- End function
	.section	.AMDGPU.csdata,"",@progbits
; Kernel info:
; codeLenInByte = 18332
; NumSgprs: 18
; NumVgprs: 106
; ScratchSize: 0
; MemoryBound: 0
; FloatMode: 240
; IeeeMode: 1
; LDSByteSize: 192 bytes/workgroup (compile time only)
; SGPRBlocks: 2
; VGPRBlocks: 13
; NumSGPRsForWavesPerEU: 18
; NumVGPRsForWavesPerEU: 106
; Occupancy: 12
; WaveLimiterHint : 1
; COMPUTE_PGM_RSRC2:SCRATCH_EN: 0
; COMPUTE_PGM_RSRC2:USER_SGPR: 15
; COMPUTE_PGM_RSRC2:TRAP_HANDLER: 0
; COMPUTE_PGM_RSRC2:TGID_X_EN: 1
; COMPUTE_PGM_RSRC2:TGID_Y_EN: 0
; COMPUTE_PGM_RSRC2:TGID_Z_EN: 0
; COMPUTE_PGM_RSRC2:TIDIG_COMP_CNT: 0
	.section	.text._ZN9rocsolver6v33100L18trti2_kernel_smallILi13EdPKPdEEv13rocblas_fill_17rocblas_diagonal_T1_iil,"axG",@progbits,_ZN9rocsolver6v33100L18trti2_kernel_smallILi13EdPKPdEEv13rocblas_fill_17rocblas_diagonal_T1_iil,comdat
	.globl	_ZN9rocsolver6v33100L18trti2_kernel_smallILi13EdPKPdEEv13rocblas_fill_17rocblas_diagonal_T1_iil ; -- Begin function _ZN9rocsolver6v33100L18trti2_kernel_smallILi13EdPKPdEEv13rocblas_fill_17rocblas_diagonal_T1_iil
	.p2align	8
	.type	_ZN9rocsolver6v33100L18trti2_kernel_smallILi13EdPKPdEEv13rocblas_fill_17rocblas_diagonal_T1_iil,@function
_ZN9rocsolver6v33100L18trti2_kernel_smallILi13EdPKPdEEv13rocblas_fill_17rocblas_diagonal_T1_iil: ; @_ZN9rocsolver6v33100L18trti2_kernel_smallILi13EdPKPdEEv13rocblas_fill_17rocblas_diagonal_T1_iil
; %bb.0:
	s_mov_b32 s2, exec_lo
	v_cmpx_gt_u32_e32 13, v0
	s_cbranch_execz .LBB76_308
; %bb.1:
	s_clause 0x1
	s_load_b64 s[2:3], s[0:1], 0x10
	s_load_b128 s[16:19], s[0:1], 0x0
	s_mov_b32 s4, s15
	s_ashr_i32 s5, s15, 31
	v_lshlrev_b32_e32 v36, 3, v0
	s_lshl_b64 s[0:1], s[4:5], 3
	v_mov_b32_e32 v34, 0
	v_mov_b32_e32 v35, 0xbff00000
	s_waitcnt lgkmcnt(0)
	s_ashr_i32 s5, s2, 31
	s_add_u32 s0, s18, s0
	s_addc_u32 s1, s19, s1
	v_add3_u32 v1, s3, s3, v0
	s_load_b64 s[0:1], s[0:1], 0x0
	s_mov_b32 s4, s2
	s_mov_b32 s6, s3
	s_lshl_b64 s[4:5], s[4:5], 3
	v_add_nc_u32_e32 v3, s3, v1
	v_ashrrev_i32_e32 v2, 31, v1
	s_delay_alu instid0(VALU_DEP_2) | instskip(SKIP_1) | instid1(VALU_DEP_3)
	v_add_nc_u32_e32 v5, s3, v3
	v_ashrrev_i32_e32 v4, 31, v3
	v_lshlrev_b64 v[9:10], 3, v[1:2]
	v_mov_b32_e32 v1, 0
	s_delay_alu instid0(VALU_DEP_4) | instskip(SKIP_2) | instid1(VALU_DEP_3)
	v_ashrrev_i32_e32 v6, 31, v5
	v_add_nc_u32_e32 v7, s3, v5
	v_lshlrev_b64 v[11:12], 3, v[3:4]
	v_lshlrev_b64 v[4:5], 3, v[5:6]
	s_waitcnt lgkmcnt(0)
	s_add_u32 s0, s0, s4
	v_add_nc_u32_e32 v6, s3, v7
	s_addc_u32 s1, s1, s5
	v_add_co_u32 v70, vcc_lo, s0, v9
	v_ashrrev_i32_e32 v8, 31, v7
	v_add_co_u32 v72, s2, s0, v36
	s_ashr_i32 s7, s3, 31
	v_add_co_ci_u32_e32 v71, vcc_lo, s1, v10, vcc_lo
	v_add_co_ci_u32_e64 v73, null, s1, 0, s2
	v_add_co_u32 v68, vcc_lo, s0, v11
	v_add_nc_u32_e32 v15, s3, v6
	s_lshl_b64 s[4:5], s[6:7], 3
	v_add_co_ci_u32_e32 v69, vcc_lo, s1, v12, vcc_lo
	v_lshlrev_b64 v[13:14], 3, v[7:8]
	v_ashrrev_i32_e32 v7, 31, v6
	v_add_co_u32 v74, vcc_lo, v72, s4
	v_add_co_ci_u32_e32 v75, vcc_lo, s5, v73, vcc_lo
	v_add_co_u32 v66, vcc_lo, s0, v4
	v_ashrrev_i32_e32 v16, 31, v15
	v_add_nc_u32_e32 v12, s3, v15
	v_add_co_ci_u32_e32 v67, vcc_lo, s1, v5, vcc_lo
	v_lshlrev_b64 v[17:18], 3, v[6:7]
	v_add_co_u32 v76, vcc_lo, s0, v13
	v_add_co_ci_u32_e32 v77, vcc_lo, s1, v14, vcc_lo
	v_lshlrev_b64 v[14:15], 3, v[15:16]
	v_add_nc_u32_e32 v16, s3, v12
	v_ashrrev_i32_e32 v13, 31, v12
	v_add_co_u32 v78, vcc_lo, s0, v17
	v_add_co_ci_u32_e32 v79, vcc_lo, s1, v18, vcc_lo
	s_delay_alu instid0(VALU_DEP_4)
	v_ashrrev_i32_e32 v17, 31, v16
	v_add_nc_u32_e32 v18, s3, v16
	v_lshlrev_b64 v[12:13], 3, v[12:13]
	v_add_co_u32 v80, vcc_lo, s0, v14
	v_add_co_ci_u32_e32 v81, vcc_lo, s1, v15, vcc_lo
	v_lshlrev_b64 v[14:15], 3, v[16:17]
	v_ashrrev_i32_e32 v19, 31, v18
	v_add_nc_u32_e32 v16, s3, v18
	v_add_co_u32 v82, vcc_lo, s0, v12
	v_add_co_ci_u32_e32 v83, vcc_lo, s1, v13, vcc_lo
	s_delay_alu instid0(VALU_DEP_4) | instskip(NEXT) | instid1(VALU_DEP_4)
	v_lshlrev_b64 v[12:13], 3, v[18:19]
	v_add_nc_u32_e32 v18, s3, v16
	v_ashrrev_i32_e32 v17, 31, v16
	v_add_co_u32 v90, vcc_lo, s0, v14
	v_add_co_ci_u32_e32 v91, vcc_lo, s1, v15, vcc_lo
	s_delay_alu instid0(VALU_DEP_4) | instskip(NEXT) | instid1(VALU_DEP_4)
	v_ashrrev_i32_e32 v19, 31, v18
	v_lshlrev_b64 v[14:15], 3, v[16:17]
	v_add_co_u32 v86, vcc_lo, s0, v12
	v_add_co_ci_u32_e32 v87, vcc_lo, s1, v13, vcc_lo
	s_delay_alu instid0(VALU_DEP_4) | instskip(NEXT) | instid1(VALU_DEP_4)
	v_lshlrev_b64 v[12:13], 3, v[18:19]
	v_add_co_u32 v88, vcc_lo, s0, v14
	v_add_co_ci_u32_e32 v89, vcc_lo, s1, v15, vcc_lo
	global_load_b64 v[2:3], v36, s[0:1]
	v_add_co_u32 v84, vcc_lo, s0, v12
	s_clause 0x3
	global_load_b64 v[4:5], v[74:75], off
	global_load_b64 v[6:7], v[70:71], off
	global_load_b64 v[8:9], v[68:69], off
	global_load_b64 v[10:11], v[66:67], off
	v_add_co_ci_u32_e32 v85, vcc_lo, s1, v13, vcc_lo
	s_clause 0x7
	global_load_b64 v[12:13], v[76:77], off
	global_load_b64 v[14:15], v[78:79], off
	;; [unrolled: 1-line block ×8, first 2 shown]
	v_cmp_eq_u32_e64 s0, 0, v0
	s_cmpk_lg_i32 s17, 0x84
	s_cselect_b32 s13, -1, 0
	s_cmpk_eq_i32 s17, 0x84
	s_cbranch_scc1 .LBB76_3
; %bb.2:
	v_cmp_eq_u32_e64 s1, 1, v0
	v_cmp_eq_u32_e64 s2, 2, v0
	;; [unrolled: 1-line block ×5, first 2 shown]
	s_waitcnt vmcnt(11)
	v_cndmask_b32_e64 v28, v3, v5, s1
	v_cndmask_b32_e64 v29, v2, v4, s1
	v_cmp_eq_u32_e64 s6, 6, v0
	v_cmp_eq_u32_e64 s7, 7, v0
	;; [unrolled: 1-line block ×3, first 2 shown]
	s_waitcnt vmcnt(10)
	v_cndmask_b32_e64 v28, v28, v7, s2
	v_cndmask_b32_e64 v29, v29, v6, s2
	v_cmp_eq_u32_e64 s9, 9, v0
	v_cmp_eq_u32_e64 s10, 10, v0
	v_cmp_eq_u32_e64 s11, 11, v0
	s_waitcnt vmcnt(9)
	v_cndmask_b32_e64 v28, v28, v9, s3
	v_cndmask_b32_e64 v29, v29, v8, s3
	v_cmp_eq_u32_e64 s12, 12, v0
	s_waitcnt vmcnt(8)
	s_delay_alu instid0(VALU_DEP_3) | instskip(NEXT) | instid1(VALU_DEP_3)
	v_cndmask_b32_e64 v28, v28, v11, s4
	v_cndmask_b32_e64 v29, v29, v10, s4
	s_waitcnt vmcnt(7)
	s_delay_alu instid0(VALU_DEP_2) | instskip(NEXT) | instid1(VALU_DEP_2)
	v_cndmask_b32_e64 v28, v28, v13, s5
	v_cndmask_b32_e64 v29, v29, v12, s5
	s_waitcnt vmcnt(6)
	s_delay_alu instid0(VALU_DEP_2) | instskip(NEXT) | instid1(VALU_DEP_2)
	;; [unrolled: 4-line block ×8, first 2 shown]
	v_cndmask_b32_e64 v29, v28, v27, s12
	v_cndmask_b32_e64 v28, v30, v26, s12
	s_delay_alu instid0(VALU_DEP_1) | instskip(SKIP_1) | instid1(VALU_DEP_2)
	v_div_scale_f64 v[30:31], null, v[28:29], v[28:29], 1.0
	v_div_scale_f64 v[37:38], vcc_lo, 1.0, v[28:29], 1.0
	v_rcp_f64_e32 v[32:33], v[30:31]
	s_waitcnt_depctr 0xfff
	v_fma_f64 v[34:35], -v[30:31], v[32:33], 1.0
	s_delay_alu instid0(VALU_DEP_1) | instskip(NEXT) | instid1(VALU_DEP_1)
	v_fma_f64 v[32:33], v[32:33], v[34:35], v[32:33]
	v_fma_f64 v[34:35], -v[30:31], v[32:33], 1.0
	s_delay_alu instid0(VALU_DEP_1) | instskip(NEXT) | instid1(VALU_DEP_1)
	v_fma_f64 v[32:33], v[32:33], v[34:35], v[32:33]
	v_mul_f64 v[34:35], v[37:38], v[32:33]
	s_delay_alu instid0(VALU_DEP_1) | instskip(NEXT) | instid1(VALU_DEP_1)
	v_fma_f64 v[30:31], -v[30:31], v[34:35], v[37:38]
	v_div_fmas_f64 v[30:31], v[30:31], v[32:33], v[34:35]
	s_delay_alu instid0(VALU_DEP_1) | instskip(NEXT) | instid1(VALU_DEP_1)
	v_div_fixup_f64 v[34:35], v[30:31], v[28:29], 1.0
	v_cndmask_b32_e64 v27, v27, v35, s12
	s_delay_alu instid0(VALU_DEP_2)
	v_cndmask_b32_e64 v26, v26, v34, s12
	v_cndmask_b32_e64 v25, v25, v35, s11
	;; [unrolled: 1-line block ×25, first 2 shown]
	v_xor_b32_e32 v35, 0x80000000, v35
.LBB76_3:
	v_add_nc_u32_e32 v94, 0x70, v36
	s_cmpk_eq_i32 s16, 0x79
	ds_store_b64 v36, v[34:35]
	s_cbranch_scc1 .LBB76_7
; %bb.4:
	s_waitcnt vmcnt(0)
	v_dual_mov_b32 v65, v33 :: v_dual_mov_b32 v64, v32
	v_dual_mov_b32 v63, v31 :: v_dual_mov_b32 v62, v30
	;; [unrolled: 1-line block ×16, first 2 shown]
	v_cmp_eq_u32_e64 s1, 12, v0
	ds_store_b64 v94, v[24:25]
	s_waitcnt lgkmcnt(0)
	s_barrier
	buffer_gl0_inv
	s_and_saveexec_b32 s0, s1
	s_cbranch_execz .LBB76_11
; %bb.5:
	s_and_b32 vcc_lo, exec_lo, s13
	s_cbranch_vccz .LBB76_8
; %bb.6:
	v_cmp_eq_u32_e32 vcc_lo, 1, v0
	v_dual_cndmask_b32 v34, v3, v5 :: v_dual_cndmask_b32 v35, v2, v4
	v_cmp_eq_u32_e32 vcc_lo, 2, v0
	s_delay_alu instid0(VALU_DEP_2) | instskip(SKIP_1) | instid1(VALU_DEP_2)
	v_dual_cndmask_b32 v34, v34, v7 :: v_dual_cndmask_b32 v35, v35, v6
	v_cmp_eq_u32_e32 vcc_lo, 3, v0
	v_dual_cndmask_b32 v34, v34, v9 :: v_dual_cndmask_b32 v35, v35, v8
	v_cmp_eq_u32_e32 vcc_lo, 4, v0
	s_delay_alu instid0(VALU_DEP_2) | instskip(SKIP_1) | instid1(VALU_DEP_2)
	v_dual_cndmask_b32 v34, v34, v11 :: v_dual_cndmask_b32 v35, v35, v10
	;; [unrolled: 5-line block ×4, first 2 shown]
	v_cmp_eq_u32_e32 vcc_lo, 9, v0
	v_dual_cndmask_b32 v36, v34, v21 :: v_dual_cndmask_b32 v37, v35, v20
	v_cmp_eq_u32_e32 vcc_lo, 10, v0
	ds_load_b64 v[34:35], v94
	v_dual_cndmask_b32 v36, v36, v23 :: v_dual_cndmask_b32 v37, v37, v22
	v_cmp_eq_u32_e32 vcc_lo, 11, v0
	s_delay_alu instid0(VALU_DEP_2) | instskip(NEXT) | instid1(VALU_DEP_3)
	v_cndmask_b32_e32 v36, v36, v25, vcc_lo
	v_cndmask_b32_e32 v38, v37, v24, vcc_lo
	v_cmp_eq_u32_e32 vcc_lo, 12, v0
	s_delay_alu instid0(VALU_DEP_2) | instskip(SKIP_1) | instid1(VALU_DEP_1)
	v_dual_cndmask_b32 v37, v36, v27 :: v_dual_cndmask_b32 v36, v38, v26
	s_waitcnt lgkmcnt(0)
	v_mul_f64 v[34:35], v[36:37], v[34:35]
	s_cbranch_execz .LBB76_9
	s_branch .LBB76_10
.LBB76_7:
                                        ; implicit-def: $vgpr34_vgpr35_vgpr36_vgpr37_vgpr38_vgpr39_vgpr40_vgpr41_vgpr42_vgpr43_vgpr44_vgpr45_vgpr46_vgpr47_vgpr48_vgpr49_vgpr50_vgpr51_vgpr52_vgpr53_vgpr54_vgpr55_vgpr56_vgpr57_vgpr58_vgpr59_vgpr60_vgpr61_vgpr62_vgpr63_vgpr64_vgpr65
	s_cbranch_execnz .LBB76_180
	s_branch .LBB76_307
.LBB76_8:
                                        ; implicit-def: $vgpr34_vgpr35
.LBB76_9:
	ds_load_b64 v[34:35], v94
.LBB76_10:
	v_mov_b32_e32 v36, 0
	v_dual_mov_b32 v38, v6 :: v_dual_mov_b32 v41, v9
	v_dual_mov_b32 v40, v8 :: v_dual_mov_b32 v43, v11
	ds_load_b64 v[36:37], v36 offset:88
	v_dual_mov_b32 v42, v10 :: v_dual_mov_b32 v45, v13
	v_dual_mov_b32 v44, v12 :: v_dual_mov_b32 v47, v15
	;; [unrolled: 1-line block ×8, first 2 shown]
	s_waitcnt lgkmcnt(0)
	v_mul_f64 v[56:57], v[34:35], v[36:37]
	v_dual_mov_b32 v34, v2 :: v_dual_mov_b32 v37, v5
	v_dual_mov_b32 v35, v3 :: v_dual_mov_b32 v36, v4
.LBB76_11:
	s_or_b32 exec_lo, exec_lo, s0
	v_cmp_lt_u32_e64 s0, 10, v0
	ds_store_b64 v94, v[54:55]
	s_waitcnt lgkmcnt(0)
	s_barrier
	buffer_gl0_inv
	s_and_saveexec_b32 s2, s0
	s_cbranch_execz .LBB76_19
; %bb.12:
	s_and_not1_b32 vcc_lo, exec_lo, s13
	s_cbranch_vccnz .LBB76_14
; %bb.13:
	v_cmp_eq_u32_e32 vcc_lo, 1, v0
	v_dual_cndmask_b32 v60, v35, v37 :: v_dual_cndmask_b32 v61, v34, v36
	v_cmp_eq_u32_e32 vcc_lo, 2, v0
	s_delay_alu instid0(VALU_DEP_2) | instskip(SKIP_1) | instid1(VALU_DEP_2)
	v_dual_cndmask_b32 v60, v60, v39 :: v_dual_cndmask_b32 v61, v61, v38
	v_cmp_eq_u32_e32 vcc_lo, 3, v0
	v_dual_cndmask_b32 v60, v60, v41 :: v_dual_cndmask_b32 v61, v61, v40
	v_cmp_eq_u32_e32 vcc_lo, 4, v0
	s_delay_alu instid0(VALU_DEP_2) | instskip(SKIP_1) | instid1(VALU_DEP_2)
	v_dual_cndmask_b32 v60, v60, v43 :: v_dual_cndmask_b32 v61, v61, v42
	;; [unrolled: 5-line block ×4, first 2 shown]
	v_cmp_eq_u32_e32 vcc_lo, 9, v0
	v_dual_cndmask_b32 v62, v60, v53 :: v_dual_cndmask_b32 v63, v61, v52
	v_cmp_eq_u32_e32 vcc_lo, 10, v0
	ds_load_b64 v[60:61], v94
	v_dual_cndmask_b32 v55, v62, v55 :: v_dual_cndmask_b32 v54, v63, v54
	v_cmp_eq_u32_e32 vcc_lo, 11, v0
	s_delay_alu instid0(VALU_DEP_2) | instskip(SKIP_1) | instid1(VALU_DEP_2)
	v_dual_cndmask_b32 v55, v55, v57 :: v_dual_cndmask_b32 v54, v54, v56
	v_cmp_eq_u32_e32 vcc_lo, 12, v0
	v_dual_cndmask_b32 v55, v55, v59 :: v_dual_cndmask_b32 v54, v54, v58
	s_waitcnt lgkmcnt(0)
	s_delay_alu instid0(VALU_DEP_1)
	v_mul_f64 v[54:55], v[54:55], v[60:61]
	s_cbranch_execz .LBB76_15
	s_branch .LBB76_16
.LBB76_14:
                                        ; implicit-def: $vgpr54_vgpr55
.LBB76_15:
	ds_load_b64 v[54:55], v94
.LBB76_16:
	s_and_saveexec_b32 s3, s1
	s_cbranch_execz .LBB76_18
; %bb.17:
	v_mov_b32_e32 v60, 0
	ds_load_b64 v[60:61], v60 offset:200
	s_waitcnt lgkmcnt(0)
	v_fma_f64 v[54:55], v[56:57], v[60:61], v[54:55]
.LBB76_18:
	s_or_b32 exec_lo, exec_lo, s3
	v_mov_b32_e32 v60, 0
	ds_load_b64 v[60:61], v60 offset:80
	s_waitcnt lgkmcnt(0)
	v_mul_f64 v[54:55], v[54:55], v[60:61]
.LBB76_19:
	s_or_b32 exec_lo, exec_lo, s2
	v_cmp_lt_u32_e64 s1, 9, v0
	ds_store_b64 v94, v[52:53]
	s_waitcnt lgkmcnt(0)
	s_barrier
	buffer_gl0_inv
	s_and_saveexec_b32 s4, s1
	s_cbranch_execz .LBB76_35
; %bb.20:
	s_and_not1_b32 vcc_lo, exec_lo, s13
	s_cbranch_vccnz .LBB76_22
; %bb.21:
	v_cmp_eq_u32_e32 vcc_lo, 1, v0
	v_dual_cndmask_b32 v92, v35, v37 :: v_dual_cndmask_b32 v93, v34, v36
	v_cmp_eq_u32_e32 vcc_lo, 2, v0
	s_delay_alu instid0(VALU_DEP_2) | instskip(SKIP_1) | instid1(VALU_DEP_2)
	v_dual_cndmask_b32 v92, v92, v39 :: v_dual_cndmask_b32 v93, v93, v38
	v_cmp_eq_u32_e32 vcc_lo, 3, v0
	v_dual_cndmask_b32 v92, v92, v41 :: v_dual_cndmask_b32 v93, v93, v40
	v_cmp_eq_u32_e32 vcc_lo, 4, v0
	s_delay_alu instid0(VALU_DEP_2) | instskip(SKIP_1) | instid1(VALU_DEP_2)
	v_dual_cndmask_b32 v92, v92, v43 :: v_dual_cndmask_b32 v93, v93, v42
	;; [unrolled: 5-line block ×4, first 2 shown]
	v_cmp_eq_u32_e32 vcc_lo, 9, v0
	v_dual_cndmask_b32 v95, v92, v53 :: v_dual_cndmask_b32 v96, v93, v52
	v_cmp_eq_u32_e32 vcc_lo, 10, v0
	ds_load_b64 v[92:93], v94
	v_dual_cndmask_b32 v95, v95, v55 :: v_dual_cndmask_b32 v96, v96, v54
	v_cmp_eq_u32_e32 vcc_lo, 11, v0
	s_delay_alu instid0(VALU_DEP_2) | instskip(NEXT) | instid1(VALU_DEP_3)
	v_cndmask_b32_e32 v95, v95, v57, vcc_lo
	v_cndmask_b32_e32 v97, v96, v56, vcc_lo
	v_cmp_eq_u32_e32 vcc_lo, 12, v0
	s_delay_alu instid0(VALU_DEP_2) | instskip(SKIP_1) | instid1(VALU_DEP_1)
	v_dual_cndmask_b32 v96, v95, v59 :: v_dual_cndmask_b32 v95, v97, v58
	s_waitcnt lgkmcnt(0)
	v_mul_f64 v[92:93], v[95:96], v[92:93]
	s_cbranch_execz .LBB76_23
	s_branch .LBB76_24
.LBB76_22:
                                        ; implicit-def: $vgpr92_vgpr93
.LBB76_23:
	ds_load_b64 v[92:93], v94
.LBB76_24:
	s_and_saveexec_b32 s5, s0
	s_cbranch_execz .LBB76_34
; %bb.25:
	v_add_nc_u32_e32 v96, -11, v0
	v_add_nc_u32_e32 v95, -10, v0
	s_delay_alu instid0(VALU_DEP_2)
	v_cmp_lt_u32_e32 vcc_lo, 6, v96
	v_mov_b32_e32 v96, 10
	s_and_saveexec_b32 s0, vcc_lo
	s_cbranch_execz .LBB76_29
; %bb.26:
	v_and_b32_e32 v96, -8, v95
	s_mov_b32 s6, 0
	s_mov_b64 s[2:3], 17
	s_movk_i32 s7, 0xc0
	s_delay_alu instid0(VALU_DEP_1)
	v_sub_nc_u32_e32 v97, 0, v96
.LBB76_27:                              ; =>This Inner Loop Header: Depth=1
	v_mov_b32_e32 v96, s7
	s_lshl_b32 s8, s2, 1
	s_delay_alu instid0(SALU_CYCLE_1)
	s_add_i32 m0, s8, -13
	v_movrels_b32_e32 v107, v34
	ds_load_b128 v[98:101], v96
	ds_load_b128 v[102:105], v96 offset:16
	s_add_i32 m0, s8, -14
	v_movrels_b32_e32 v106, v34
	s_add_i32 m0, s8, -11
	s_waitcnt lgkmcnt(1)
	s_delay_alu instid0(VALU_DEP_1) | instskip(SKIP_4) | instid1(VALU_DEP_1)
	v_fma_f64 v[92:93], v[106:107], v[98:99], v[92:93]
	v_movrels_b32_e32 v99, v34
	s_add_i32 m0, s8, -12
	v_movrels_b32_e32 v98, v34
	s_add_i32 m0, s8, -9
	v_fma_f64 v[92:93], v[98:99], v[100:101], v[92:93]
	v_movrels_b32_e32 v99, v34
	s_add_i32 m0, s8, -10
	v_movrels_b32_e32 v98, v34
	s_add_i32 m0, s8, -7
	s_waitcnt lgkmcnt(0)
	s_delay_alu instid0(VALU_DEP_1)
	v_fma_f64 v[92:93], v[98:99], v[102:103], v[92:93]
	v_movrels_b32_e32 v99, v34
	s_add_i32 m0, s8, -8
	v_movrels_b32_e32 v98, v34
	s_add_i32 m0, s8, -5
	;; [unrolled: 2-line block ×4, first 2 shown]
	v_fma_f64 v[92:93], v[98:99], v[104:105], v[92:93]
	ds_load_b128 v[98:101], v96 offset:32
	ds_load_b128 v[102:105], v96 offset:48
	s_waitcnt lgkmcnt(1)
	v_fma_f64 v[92:93], v[106:107], v[98:99], v[92:93]
	v_movrels_b32_e32 v99, v34
	s_add_i32 m0, s8, -4
	v_movrels_b32_e32 v98, v34
	s_add_i32 m0, s8, -1
	s_delay_alu instid0(VALU_DEP_1)
	v_fma_f64 v[92:93], v[98:99], v[100:101], v[92:93]
	v_movrels_b32_e32 v99, v34
	s_add_i32 m0, s8, -2
	s_add_u32 s2, s2, 8
	v_movrels_b32_e32 v98, v34
	s_mov_b32 m0, s8
	v_add_nc_u32_e32 v96, s2, v97
	s_addc_u32 s3, s3, 0
	s_add_i32 s8, s2, -7
	s_add_i32 s7, s7, 64
	s_delay_alu instid0(VALU_DEP_1)
	v_cmp_eq_u32_e32 vcc_lo, 17, v96
	v_mov_b32_e32 v96, s8
	s_or_b32 s6, vcc_lo, s6
	s_waitcnt lgkmcnt(0)
	v_fma_f64 v[92:93], v[98:99], v[102:103], v[92:93]
	v_movrels_b32_e32 v99, v35
	v_movrels_b32_e32 v98, v34
	s_delay_alu instid0(VALU_DEP_1)
	v_fma_f64 v[92:93], v[98:99], v[104:105], v[92:93]
	s_and_not1_b32 exec_lo, exec_lo, s6
	s_cbranch_execnz .LBB76_27
; %bb.28:
	s_or_b32 exec_lo, exec_lo, s6
.LBB76_29:
	s_delay_alu instid0(SALU_CYCLE_1) | instskip(SKIP_3) | instid1(VALU_DEP_1)
	s_or_b32 exec_lo, exec_lo, s0
	v_and_b32_e32 v60, 7, v95
	s_mov_b32 s3, 0
	s_mov_b32 s2, exec_lo
	v_cmpx_ne_u32_e32 0, v60
	s_cbranch_execz .LBB76_33
; %bb.30:
	v_lshl_add_u32 v61, v96, 3, 0x70
	v_mov_b32_e32 v62, 0
.LBB76_31:                              ; =>This Inner Loop Header: Depth=1
	v_cmp_eq_u32_e32 vcc_lo, 1, v96
	v_cmp_eq_u32_e64 s0, 2, v96
	v_dual_cndmask_b32 v63, v35, v37 :: v_dual_add_nc_u32 v60, -1, v60
	v_cndmask_b32_e32 v64, v34, v36, vcc_lo
	v_cmp_eq_u32_e32 vcc_lo, 3, v96
	s_delay_alu instid0(VALU_DEP_3) | instskip(NEXT) | instid1(VALU_DEP_3)
	v_cndmask_b32_e64 v63, v63, v39, s0
	v_cndmask_b32_e64 v64, v64, v38, s0
	v_cmp_eq_u32_e64 s0, 4, v96
	s_delay_alu instid0(VALU_DEP_2) | instskip(SKIP_1) | instid1(VALU_DEP_2)
	v_dual_cndmask_b32 v63, v63, v41 :: v_dual_cndmask_b32 v64, v64, v40
	v_cmp_eq_u32_e32 vcc_lo, 5, v96
	v_cndmask_b32_e64 v63, v63, v43, s0
	s_delay_alu instid0(VALU_DEP_3) | instskip(SKIP_1) | instid1(VALU_DEP_2)
	v_cndmask_b32_e64 v64, v64, v42, s0
	v_cmp_eq_u32_e64 s0, 6, v96
	v_dual_cndmask_b32 v63, v63, v45 :: v_dual_cndmask_b32 v64, v64, v44
	v_cmp_eq_u32_e32 vcc_lo, 7, v96
	s_delay_alu instid0(VALU_DEP_2) | instskip(NEXT) | instid1(VALU_DEP_3)
	v_cndmask_b32_e64 v63, v63, v47, s0
	v_cndmask_b32_e64 v64, v64, v46, s0
	v_cmp_eq_u32_e64 s0, 8, v96
	s_delay_alu instid0(VALU_DEP_2) | instskip(SKIP_1) | instid1(VALU_DEP_2)
	v_dual_cndmask_b32 v63, v63, v49 :: v_dual_cndmask_b32 v64, v64, v48
	v_cmp_eq_u32_e32 vcc_lo, 9, v96
	v_cndmask_b32_e64 v65, v63, v51, s0
	s_delay_alu instid0(VALU_DEP_3)
	v_cndmask_b32_e64 v95, v64, v50, s0
	ds_load_b64 v[63:64], v61
	v_cmp_eq_u32_e64 s0, 10, v96
	v_add_nc_u32_e32 v61, 8, v61
	v_cndmask_b32_e32 v65, v65, v53, vcc_lo
	v_cndmask_b32_e32 v95, v95, v52, vcc_lo
	v_cmp_eq_u32_e32 vcc_lo, 11, v96
	s_delay_alu instid0(VALU_DEP_3) | instskip(NEXT) | instid1(VALU_DEP_3)
	v_cndmask_b32_e64 v65, v65, v55, s0
	v_cndmask_b32_e64 v95, v95, v54, s0
	v_cmp_eq_u32_e64 s0, 12, v96
	s_delay_alu instid0(VALU_DEP_3) | instskip(NEXT) | instid1(VALU_DEP_3)
	v_cndmask_b32_e32 v65, v65, v57, vcc_lo
	v_cndmask_b32_e32 v95, v95, v56, vcc_lo
	v_cmp_eq_u32_e32 vcc_lo, 0, v60
	s_delay_alu instid0(VALU_DEP_3) | instskip(NEXT) | instid1(VALU_DEP_3)
	v_cndmask_b32_e64 v98, v65, v59, s0
	v_cndmask_b32_e64 v97, v95, v58, s0
	v_add_co_u32 v96, s0, v96, 1
	s_delay_alu instid0(VALU_DEP_1) | instskip(SKIP_1) | instid1(VALU_DEP_3)
	v_add_co_ci_u32_e64 v62, s0, 0, v62, s0
	s_waitcnt lgkmcnt(0)
	v_fma_f64 v[92:93], v[97:98], v[63:64], v[92:93]
	s_or_b32 s3, vcc_lo, s3
	s_delay_alu instid0(SALU_CYCLE_1)
	s_and_not1_b32 exec_lo, exec_lo, s3
	s_cbranch_execnz .LBB76_31
; %bb.32:
	s_or_b32 exec_lo, exec_lo, s3
.LBB76_33:
	s_delay_alu instid0(SALU_CYCLE_1)
	s_or_b32 exec_lo, exec_lo, s2
.LBB76_34:
	s_delay_alu instid0(SALU_CYCLE_1)
	s_or_b32 exec_lo, exec_lo, s5
	v_mov_b32_e32 v52, 0
	ds_load_b64 v[52:53], v52 offset:72
	s_waitcnt lgkmcnt(0)
	v_mul_f64 v[52:53], v[92:93], v[52:53]
.LBB76_35:
	s_or_b32 exec_lo, exec_lo, s4
	v_cmp_lt_u32_e64 s0, 8, v0
	ds_store_b64 v94, v[50:51]
	s_waitcnt lgkmcnt(0)
	s_barrier
	buffer_gl0_inv
	s_and_saveexec_b32 s4, s0
	s_cbranch_execz .LBB76_51
; %bb.36:
	s_and_not1_b32 vcc_lo, exec_lo, s13
	s_cbranch_vccnz .LBB76_38
; %bb.37:
	v_cmp_eq_u32_e32 vcc_lo, 1, v0
	v_dual_cndmask_b32 v92, v35, v37 :: v_dual_cndmask_b32 v93, v34, v36
	v_cmp_eq_u32_e32 vcc_lo, 2, v0
	s_delay_alu instid0(VALU_DEP_2) | instskip(SKIP_1) | instid1(VALU_DEP_2)
	v_dual_cndmask_b32 v92, v92, v39 :: v_dual_cndmask_b32 v93, v93, v38
	v_cmp_eq_u32_e32 vcc_lo, 3, v0
	v_dual_cndmask_b32 v92, v92, v41 :: v_dual_cndmask_b32 v93, v93, v40
	v_cmp_eq_u32_e32 vcc_lo, 4, v0
	s_delay_alu instid0(VALU_DEP_2) | instskip(SKIP_1) | instid1(VALU_DEP_2)
	v_dual_cndmask_b32 v92, v92, v43 :: v_dual_cndmask_b32 v93, v93, v42
	;; [unrolled: 5-line block ×4, first 2 shown]
	v_cmp_eq_u32_e32 vcc_lo, 9, v0
	v_dual_cndmask_b32 v95, v92, v53 :: v_dual_cndmask_b32 v96, v93, v52
	v_cmp_eq_u32_e32 vcc_lo, 10, v0
	ds_load_b64 v[92:93], v94
	v_dual_cndmask_b32 v95, v95, v55 :: v_dual_cndmask_b32 v96, v96, v54
	v_cmp_eq_u32_e32 vcc_lo, 11, v0
	s_delay_alu instid0(VALU_DEP_2) | instskip(NEXT) | instid1(VALU_DEP_3)
	v_cndmask_b32_e32 v95, v95, v57, vcc_lo
	v_cndmask_b32_e32 v97, v96, v56, vcc_lo
	v_cmp_eq_u32_e32 vcc_lo, 12, v0
	s_delay_alu instid0(VALU_DEP_2) | instskip(SKIP_1) | instid1(VALU_DEP_1)
	v_dual_cndmask_b32 v96, v95, v59 :: v_dual_cndmask_b32 v95, v97, v58
	s_waitcnt lgkmcnt(0)
	v_mul_f64 v[92:93], v[95:96], v[92:93]
	s_cbranch_execz .LBB76_39
	s_branch .LBB76_40
.LBB76_38:
                                        ; implicit-def: $vgpr92_vgpr93
.LBB76_39:
	ds_load_b64 v[92:93], v94
.LBB76_40:
	s_and_saveexec_b32 s5, s1
	s_cbranch_execz .LBB76_50
; %bb.41:
	v_dual_mov_b32 v97, 9 :: v_dual_add_nc_u32 v96, -10, v0
	v_add_nc_u32_e32 v95, -9, v0
	s_mov_b32 s1, exec_lo
	s_delay_alu instid0(VALU_DEP_2)
	v_cmpx_lt_u32_e32 6, v96
	s_cbranch_execz .LBB76_45
; %bb.42:
	s_delay_alu instid0(VALU_DEP_2) | instskip(SKIP_3) | instid1(VALU_DEP_1)
	v_and_b32_e32 v96, -8, v95
	s_mov_b32 s6, 0
	s_mov_b64 s[2:3], 16
	s_movk_i32 s7, 0xb8
	v_sub_nc_u32_e32 v96, 0, v96
.LBB76_43:                              ; =>This Inner Loop Header: Depth=1
	v_mov_b32_e32 v107, s7
	s_lshl_b32 s8, s2, 1
	s_delay_alu instid0(SALU_CYCLE_1)
	s_add_i32 m0, s8, -13
	v_movrels_b32_e32 v106, v34
	ds_load_2addr_b64 v[97:100], v107 offset1:1
	ds_load_2addr_b64 v[101:104], v107 offset0:2 offset1:3
	s_add_i32 m0, s8, -14
	v_movrels_b32_e32 v105, v34
	s_add_i32 m0, s8, -11
	s_waitcnt lgkmcnt(1)
	s_delay_alu instid0(VALU_DEP_1) | instskip(SKIP_4) | instid1(VALU_DEP_1)
	v_fma_f64 v[92:93], v[105:106], v[97:98], v[92:93]
	v_movrels_b32_e32 v98, v34
	s_add_i32 m0, s8, -12
	v_movrels_b32_e32 v97, v34
	s_add_i32 m0, s8, -9
	v_fma_f64 v[92:93], v[97:98], v[99:100], v[92:93]
	v_movrels_b32_e32 v98, v34
	s_add_i32 m0, s8, -10
	v_movrels_b32_e32 v97, v34
	s_add_i32 m0, s8, -7
	s_waitcnt lgkmcnt(0)
	s_delay_alu instid0(VALU_DEP_1)
	v_fma_f64 v[92:93], v[97:98], v[101:102], v[92:93]
	v_movrels_b32_e32 v98, v34
	s_add_i32 m0, s8, -8
	v_movrels_b32_e32 v97, v34
	s_add_i32 m0, s8, -5
	;; [unrolled: 2-line block ×4, first 2 shown]
	v_fma_f64 v[92:93], v[97:98], v[103:104], v[92:93]
	ds_load_2addr_b64 v[97:100], v107 offset0:4 offset1:5
	ds_load_2addr_b64 v[101:104], v107 offset0:6 offset1:7
	s_waitcnt lgkmcnt(1)
	v_fma_f64 v[92:93], v[105:106], v[97:98], v[92:93]
	v_movrels_b32_e32 v98, v34
	s_add_i32 m0, s8, -4
	v_movrels_b32_e32 v97, v34
	s_add_i32 m0, s8, -1
	s_delay_alu instid0(VALU_DEP_1)
	v_fma_f64 v[92:93], v[97:98], v[99:100], v[92:93]
	v_movrels_b32_e32 v98, v34
	s_add_i32 m0, s8, -2
	s_add_u32 s2, s2, 8
	v_movrels_b32_e32 v97, v34
	s_mov_b32 m0, s8
	s_addc_u32 s3, s3, 0
	s_add_i32 s8, s2, -7
	s_add_i32 s7, s7, 64
	s_waitcnt lgkmcnt(0)
	s_delay_alu instid0(VALU_DEP_3) | instskip(SKIP_2) | instid1(VALU_DEP_1)
	v_fma_f64 v[92:93], v[97:98], v[101:102], v[92:93]
	v_movrels_b32_e32 v98, v35
	v_movrels_b32_e32 v97, v34
	v_fma_f64 v[92:93], v[97:98], v[103:104], v[92:93]
	v_add_nc_u32_e32 v97, s2, v96
	s_delay_alu instid0(VALU_DEP_1) | instskip(SKIP_2) | instid1(SALU_CYCLE_1)
	v_cmp_eq_u32_e32 vcc_lo, 16, v97
	v_mov_b32_e32 v97, s8
	s_or_b32 s6, vcc_lo, s6
	s_and_not1_b32 exec_lo, exec_lo, s6
	s_cbranch_execnz .LBB76_43
; %bb.44:
	s_or_b32 exec_lo, exec_lo, s6
.LBB76_45:
	s_delay_alu instid0(SALU_CYCLE_1) | instskip(SKIP_3) | instid1(VALU_DEP_1)
	s_or_b32 exec_lo, exec_lo, s1
	v_and_b32_e32 v60, 7, v95
	s_mov_b32 s3, 0
	s_mov_b32 s2, exec_lo
	v_cmpx_ne_u32_e32 0, v60
	s_cbranch_execz .LBB76_49
; %bb.46:
	v_lshl_add_u32 v61, v97, 3, 0x70
	v_mov_b32_e32 v62, 0
.LBB76_47:                              ; =>This Inner Loop Header: Depth=1
	v_cmp_eq_u32_e32 vcc_lo, 1, v97
	v_cmp_eq_u32_e64 s1, 2, v97
	v_dual_cndmask_b32 v63, v35, v37 :: v_dual_add_nc_u32 v60, -1, v60
	v_cndmask_b32_e32 v64, v34, v36, vcc_lo
	v_cmp_eq_u32_e32 vcc_lo, 3, v97
	s_delay_alu instid0(VALU_DEP_3) | instskip(NEXT) | instid1(VALU_DEP_3)
	v_cndmask_b32_e64 v63, v63, v39, s1
	v_cndmask_b32_e64 v64, v64, v38, s1
	v_cmp_eq_u32_e64 s1, 4, v97
	s_delay_alu instid0(VALU_DEP_2) | instskip(SKIP_1) | instid1(VALU_DEP_2)
	v_dual_cndmask_b32 v63, v63, v41 :: v_dual_cndmask_b32 v64, v64, v40
	v_cmp_eq_u32_e32 vcc_lo, 5, v97
	v_cndmask_b32_e64 v63, v63, v43, s1
	s_delay_alu instid0(VALU_DEP_3) | instskip(SKIP_1) | instid1(VALU_DEP_2)
	v_cndmask_b32_e64 v64, v64, v42, s1
	v_cmp_eq_u32_e64 s1, 6, v97
	v_dual_cndmask_b32 v63, v63, v45 :: v_dual_cndmask_b32 v64, v64, v44
	v_cmp_eq_u32_e32 vcc_lo, 7, v97
	s_delay_alu instid0(VALU_DEP_2) | instskip(NEXT) | instid1(VALU_DEP_3)
	v_cndmask_b32_e64 v63, v63, v47, s1
	v_cndmask_b32_e64 v64, v64, v46, s1
	v_cmp_eq_u32_e64 s1, 8, v97
	s_delay_alu instid0(VALU_DEP_2) | instskip(SKIP_1) | instid1(VALU_DEP_2)
	v_dual_cndmask_b32 v63, v63, v49 :: v_dual_cndmask_b32 v64, v64, v48
	v_cmp_eq_u32_e32 vcc_lo, 9, v97
	v_cndmask_b32_e64 v65, v63, v51, s1
	s_delay_alu instid0(VALU_DEP_3)
	v_cndmask_b32_e64 v95, v64, v50, s1
	ds_load_b64 v[63:64], v61
	v_cmp_eq_u32_e64 s1, 10, v97
	v_add_nc_u32_e32 v61, 8, v61
	v_cndmask_b32_e32 v65, v65, v53, vcc_lo
	v_cndmask_b32_e32 v95, v95, v52, vcc_lo
	v_cmp_eq_u32_e32 vcc_lo, 11, v97
	s_delay_alu instid0(VALU_DEP_3) | instskip(NEXT) | instid1(VALU_DEP_3)
	v_cndmask_b32_e64 v65, v65, v55, s1
	v_cndmask_b32_e64 v95, v95, v54, s1
	v_cmp_eq_u32_e64 s1, 12, v97
	s_delay_alu instid0(VALU_DEP_3) | instskip(NEXT) | instid1(VALU_DEP_3)
	v_cndmask_b32_e32 v65, v65, v57, vcc_lo
	v_cndmask_b32_e32 v95, v95, v56, vcc_lo
	v_cmp_eq_u32_e32 vcc_lo, 0, v60
	s_delay_alu instid0(VALU_DEP_3) | instskip(NEXT) | instid1(VALU_DEP_3)
	v_cndmask_b32_e64 v96, v65, v59, s1
	v_cndmask_b32_e64 v95, v95, v58, s1
	v_add_co_u32 v97, s1, v97, 1
	s_delay_alu instid0(VALU_DEP_1) | instskip(SKIP_1) | instid1(VALU_DEP_3)
	v_add_co_ci_u32_e64 v62, s1, 0, v62, s1
	s_waitcnt lgkmcnt(0)
	v_fma_f64 v[92:93], v[95:96], v[63:64], v[92:93]
	s_or_b32 s3, vcc_lo, s3
	s_delay_alu instid0(SALU_CYCLE_1)
	s_and_not1_b32 exec_lo, exec_lo, s3
	s_cbranch_execnz .LBB76_47
; %bb.48:
	s_or_b32 exec_lo, exec_lo, s3
.LBB76_49:
	s_delay_alu instid0(SALU_CYCLE_1)
	s_or_b32 exec_lo, exec_lo, s2
.LBB76_50:
	s_delay_alu instid0(SALU_CYCLE_1)
	s_or_b32 exec_lo, exec_lo, s5
	v_mov_b32_e32 v50, 0
	ds_load_b64 v[50:51], v50 offset:64
	s_waitcnt lgkmcnt(0)
	v_mul_f64 v[50:51], v[92:93], v[50:51]
.LBB76_51:
	s_or_b32 exec_lo, exec_lo, s4
	v_cmp_lt_u32_e64 s1, 7, v0
	ds_store_b64 v94, v[48:49]
	s_waitcnt lgkmcnt(0)
	s_barrier
	buffer_gl0_inv
	s_and_saveexec_b32 s4, s1
	s_cbranch_execz .LBB76_67
; %bb.52:
	s_and_not1_b32 vcc_lo, exec_lo, s13
	s_cbranch_vccnz .LBB76_54
; %bb.53:
	v_cmp_eq_u32_e32 vcc_lo, 1, v0
	v_dual_cndmask_b32 v92, v35, v37 :: v_dual_cndmask_b32 v93, v34, v36
	v_cmp_eq_u32_e32 vcc_lo, 2, v0
	s_delay_alu instid0(VALU_DEP_2) | instskip(SKIP_1) | instid1(VALU_DEP_2)
	v_dual_cndmask_b32 v92, v92, v39 :: v_dual_cndmask_b32 v93, v93, v38
	v_cmp_eq_u32_e32 vcc_lo, 3, v0
	v_dual_cndmask_b32 v92, v92, v41 :: v_dual_cndmask_b32 v93, v93, v40
	v_cmp_eq_u32_e32 vcc_lo, 4, v0
	s_delay_alu instid0(VALU_DEP_2) | instskip(SKIP_1) | instid1(VALU_DEP_2)
	v_dual_cndmask_b32 v92, v92, v43 :: v_dual_cndmask_b32 v93, v93, v42
	;; [unrolled: 5-line block ×4, first 2 shown]
	v_cmp_eq_u32_e32 vcc_lo, 9, v0
	v_dual_cndmask_b32 v95, v92, v53 :: v_dual_cndmask_b32 v96, v93, v52
	v_cmp_eq_u32_e32 vcc_lo, 10, v0
	ds_load_b64 v[92:93], v94
	v_dual_cndmask_b32 v95, v95, v55 :: v_dual_cndmask_b32 v96, v96, v54
	v_cmp_eq_u32_e32 vcc_lo, 11, v0
	s_delay_alu instid0(VALU_DEP_2) | instskip(NEXT) | instid1(VALU_DEP_3)
	v_cndmask_b32_e32 v95, v95, v57, vcc_lo
	v_cndmask_b32_e32 v97, v96, v56, vcc_lo
	v_cmp_eq_u32_e32 vcc_lo, 12, v0
	s_delay_alu instid0(VALU_DEP_2) | instskip(SKIP_1) | instid1(VALU_DEP_1)
	v_dual_cndmask_b32 v96, v95, v59 :: v_dual_cndmask_b32 v95, v97, v58
	s_waitcnt lgkmcnt(0)
	v_mul_f64 v[92:93], v[95:96], v[92:93]
	s_cbranch_execz .LBB76_55
	s_branch .LBB76_56
.LBB76_54:
                                        ; implicit-def: $vgpr92_vgpr93
.LBB76_55:
	ds_load_b64 v[92:93], v94
.LBB76_56:
	s_and_saveexec_b32 s5, s0
	s_cbranch_execz .LBB76_66
; %bb.57:
	v_add_nc_u32_e32 v95, -9, v0
	s_delay_alu instid0(VALU_DEP_1)
	v_cmp_lt_u32_e32 vcc_lo, 6, v95
	v_mov_b32_e32 v95, 8
	s_and_saveexec_b32 s0, vcc_lo
	s_cbranch_execz .LBB76_61
; %bb.58:
	v_and_b32_e32 v95, 8, v0
	s_mov_b32 s6, 0
	s_mov_b64 s[2:3], 15
	s_movk_i32 s7, 0xb0
	s_delay_alu instid0(VALU_DEP_1)
	v_sub_nc_u32_e32 v96, 0, v95
.LBB76_59:                              ; =>This Inner Loop Header: Depth=1
	v_mov_b32_e32 v95, s7
	s_lshl_b32 s8, s2, 1
	s_delay_alu instid0(SALU_CYCLE_1)
	s_add_i32 m0, s8, -13
	v_movrels_b32_e32 v106, v34
	ds_load_b128 v[97:100], v95
	ds_load_b128 v[101:104], v95 offset:16
	s_add_i32 m0, s8, -14
	v_movrels_b32_e32 v105, v34
	s_add_i32 m0, s8, -11
	s_waitcnt lgkmcnt(1)
	s_delay_alu instid0(VALU_DEP_1) | instskip(SKIP_4) | instid1(VALU_DEP_1)
	v_fma_f64 v[92:93], v[105:106], v[97:98], v[92:93]
	v_movrels_b32_e32 v98, v34
	s_add_i32 m0, s8, -12
	v_movrels_b32_e32 v97, v34
	s_add_i32 m0, s8, -9
	v_fma_f64 v[92:93], v[97:98], v[99:100], v[92:93]
	v_movrels_b32_e32 v98, v34
	s_add_i32 m0, s8, -10
	v_movrels_b32_e32 v97, v34
	s_add_i32 m0, s8, -7
	s_waitcnt lgkmcnt(0)
	s_delay_alu instid0(VALU_DEP_1)
	v_fma_f64 v[92:93], v[97:98], v[101:102], v[92:93]
	v_movrels_b32_e32 v98, v34
	s_add_i32 m0, s8, -8
	v_movrels_b32_e32 v97, v34
	s_add_i32 m0, s8, -5
	;; [unrolled: 2-line block ×4, first 2 shown]
	v_fma_f64 v[92:93], v[97:98], v[103:104], v[92:93]
	ds_load_b128 v[97:100], v95 offset:32
	ds_load_b128 v[101:104], v95 offset:48
	s_waitcnt lgkmcnt(1)
	v_fma_f64 v[92:93], v[105:106], v[97:98], v[92:93]
	v_movrels_b32_e32 v98, v34
	s_add_i32 m0, s8, -4
	v_movrels_b32_e32 v97, v34
	s_add_i32 m0, s8, -1
	s_delay_alu instid0(VALU_DEP_1)
	v_fma_f64 v[92:93], v[97:98], v[99:100], v[92:93]
	v_movrels_b32_e32 v98, v34
	s_add_i32 m0, s8, -2
	s_add_u32 s2, s2, 8
	v_movrels_b32_e32 v97, v34
	s_mov_b32 m0, s8
	v_add_nc_u32_e32 v95, s2, v96
	s_addc_u32 s3, s3, 0
	s_add_i32 s8, s2, -7
	s_add_i32 s7, s7, 64
	s_delay_alu instid0(VALU_DEP_1)
	v_cmp_eq_u32_e32 vcc_lo, 7, v95
	v_mov_b32_e32 v95, s8
	s_or_b32 s6, vcc_lo, s6
	s_waitcnt lgkmcnt(0)
	v_fma_f64 v[92:93], v[97:98], v[101:102], v[92:93]
	v_movrels_b32_e32 v98, v35
	v_movrels_b32_e32 v97, v34
	s_delay_alu instid0(VALU_DEP_1)
	v_fma_f64 v[92:93], v[97:98], v[103:104], v[92:93]
	s_and_not1_b32 exec_lo, exec_lo, s6
	s_cbranch_execnz .LBB76_59
; %bb.60:
	s_or_b32 exec_lo, exec_lo, s6
.LBB76_61:
	s_delay_alu instid0(SALU_CYCLE_1) | instskip(SKIP_3) | instid1(VALU_DEP_1)
	s_or_b32 exec_lo, exec_lo, s0
	v_and_b32_e32 v60, 7, v0
	s_mov_b32 s3, 0
	s_mov_b32 s2, exec_lo
	v_cmpx_ne_u32_e32 0, v60
	s_cbranch_execz .LBB76_65
; %bb.62:
	v_lshl_add_u32 v61, v95, 3, 0x70
	v_mov_b32_e32 v62, 0
.LBB76_63:                              ; =>This Inner Loop Header: Depth=1
	v_cmp_eq_u32_e32 vcc_lo, 1, v95
	v_cmp_eq_u32_e64 s0, 2, v95
	v_dual_cndmask_b32 v63, v35, v37 :: v_dual_add_nc_u32 v60, -1, v60
	v_cndmask_b32_e32 v64, v34, v36, vcc_lo
	v_cmp_eq_u32_e32 vcc_lo, 3, v95
	s_delay_alu instid0(VALU_DEP_3) | instskip(NEXT) | instid1(VALU_DEP_3)
	v_cndmask_b32_e64 v63, v63, v39, s0
	v_cndmask_b32_e64 v64, v64, v38, s0
	v_cmp_eq_u32_e64 s0, 4, v95
	s_delay_alu instid0(VALU_DEP_2) | instskip(SKIP_1) | instid1(VALU_DEP_2)
	v_dual_cndmask_b32 v63, v63, v41 :: v_dual_cndmask_b32 v64, v64, v40
	v_cmp_eq_u32_e32 vcc_lo, 5, v95
	v_cndmask_b32_e64 v63, v63, v43, s0
	s_delay_alu instid0(VALU_DEP_3) | instskip(SKIP_1) | instid1(VALU_DEP_2)
	v_cndmask_b32_e64 v64, v64, v42, s0
	v_cmp_eq_u32_e64 s0, 6, v95
	v_dual_cndmask_b32 v63, v63, v45 :: v_dual_cndmask_b32 v64, v64, v44
	v_cmp_eq_u32_e32 vcc_lo, 7, v95
	s_delay_alu instid0(VALU_DEP_2) | instskip(NEXT) | instid1(VALU_DEP_3)
	v_cndmask_b32_e64 v63, v63, v47, s0
	v_cndmask_b32_e64 v64, v64, v46, s0
	v_cmp_eq_u32_e64 s0, 8, v95
	s_delay_alu instid0(VALU_DEP_2) | instskip(SKIP_1) | instid1(VALU_DEP_2)
	v_dual_cndmask_b32 v63, v63, v49 :: v_dual_cndmask_b32 v64, v64, v48
	v_cmp_eq_u32_e32 vcc_lo, 9, v95
	v_cndmask_b32_e64 v65, v63, v51, s0
	s_delay_alu instid0(VALU_DEP_3)
	v_cndmask_b32_e64 v96, v64, v50, s0
	ds_load_b64 v[63:64], v61
	v_cmp_eq_u32_e64 s0, 10, v95
	v_add_nc_u32_e32 v61, 8, v61
	v_dual_cndmask_b32 v65, v65, v53 :: v_dual_cndmask_b32 v96, v96, v52
	v_cmp_eq_u32_e32 vcc_lo, 11, v95
	s_delay_alu instid0(VALU_DEP_2) | instskip(NEXT) | instid1(VALU_DEP_3)
	v_cndmask_b32_e64 v65, v65, v55, s0
	v_cndmask_b32_e64 v96, v96, v54, s0
	v_cmp_eq_u32_e64 s0, 12, v95
	s_delay_alu instid0(VALU_DEP_2) | instskip(SKIP_1) | instid1(VALU_DEP_2)
	v_dual_cndmask_b32 v65, v65, v57 :: v_dual_cndmask_b32 v96, v96, v56
	v_cmp_eq_u32_e32 vcc_lo, 0, v60
	v_cndmask_b32_e64 v97, v65, v59, s0
	s_delay_alu instid0(VALU_DEP_3) | instskip(SKIP_1) | instid1(VALU_DEP_1)
	v_cndmask_b32_e64 v96, v96, v58, s0
	v_add_co_u32 v95, s0, v95, 1
	v_add_co_ci_u32_e64 v62, s0, 0, v62, s0
	s_waitcnt lgkmcnt(0)
	s_delay_alu instid0(VALU_DEP_3) | instskip(SKIP_1) | instid1(SALU_CYCLE_1)
	v_fma_f64 v[92:93], v[96:97], v[63:64], v[92:93]
	s_or_b32 s3, vcc_lo, s3
	s_and_not1_b32 exec_lo, exec_lo, s3
	s_cbranch_execnz .LBB76_63
; %bb.64:
	s_or_b32 exec_lo, exec_lo, s3
.LBB76_65:
	s_delay_alu instid0(SALU_CYCLE_1)
	s_or_b32 exec_lo, exec_lo, s2
.LBB76_66:
	s_delay_alu instid0(SALU_CYCLE_1)
	s_or_b32 exec_lo, exec_lo, s5
	v_mov_b32_e32 v48, 0
	ds_load_b64 v[48:49], v48 offset:56
	s_waitcnt lgkmcnt(0)
	v_mul_f64 v[48:49], v[92:93], v[48:49]
.LBB76_67:
	s_or_b32 exec_lo, exec_lo, s4
	v_cmp_lt_u32_e64 s0, 6, v0
	ds_store_b64 v94, v[46:47]
	s_waitcnt lgkmcnt(0)
	s_barrier
	buffer_gl0_inv
	s_and_saveexec_b32 s4, s0
	s_cbranch_execz .LBB76_83
; %bb.68:
	s_and_not1_b32 vcc_lo, exec_lo, s13
	s_cbranch_vccnz .LBB76_70
; %bb.69:
	v_cmp_eq_u32_e32 vcc_lo, 1, v0
	v_dual_cndmask_b32 v92, v35, v37 :: v_dual_cndmask_b32 v93, v34, v36
	v_cmp_eq_u32_e32 vcc_lo, 2, v0
	s_delay_alu instid0(VALU_DEP_2) | instskip(SKIP_1) | instid1(VALU_DEP_2)
	v_dual_cndmask_b32 v92, v92, v39 :: v_dual_cndmask_b32 v93, v93, v38
	v_cmp_eq_u32_e32 vcc_lo, 3, v0
	v_dual_cndmask_b32 v92, v92, v41 :: v_dual_cndmask_b32 v93, v93, v40
	v_cmp_eq_u32_e32 vcc_lo, 4, v0
	s_delay_alu instid0(VALU_DEP_2) | instskip(SKIP_1) | instid1(VALU_DEP_2)
	v_dual_cndmask_b32 v92, v92, v43 :: v_dual_cndmask_b32 v93, v93, v42
	;; [unrolled: 5-line block ×4, first 2 shown]
	v_cmp_eq_u32_e32 vcc_lo, 9, v0
	v_dual_cndmask_b32 v95, v92, v53 :: v_dual_cndmask_b32 v96, v93, v52
	v_cmp_eq_u32_e32 vcc_lo, 10, v0
	ds_load_b64 v[92:93], v94
	v_dual_cndmask_b32 v95, v95, v55 :: v_dual_cndmask_b32 v96, v96, v54
	v_cmp_eq_u32_e32 vcc_lo, 11, v0
	s_delay_alu instid0(VALU_DEP_2) | instskip(NEXT) | instid1(VALU_DEP_3)
	v_cndmask_b32_e32 v95, v95, v57, vcc_lo
	v_cndmask_b32_e32 v97, v96, v56, vcc_lo
	v_cmp_eq_u32_e32 vcc_lo, 12, v0
	s_delay_alu instid0(VALU_DEP_2) | instskip(SKIP_1) | instid1(VALU_DEP_1)
	v_dual_cndmask_b32 v96, v95, v59 :: v_dual_cndmask_b32 v95, v97, v58
	s_waitcnt lgkmcnt(0)
	v_mul_f64 v[92:93], v[95:96], v[92:93]
	s_cbranch_execz .LBB76_71
	s_branch .LBB76_72
.LBB76_70:
                                        ; implicit-def: $vgpr92_vgpr93
.LBB76_71:
	ds_load_b64 v[92:93], v94
.LBB76_72:
	s_and_saveexec_b32 s5, s1
	s_cbranch_execz .LBB76_82
; %bb.73:
	v_dual_mov_b32 v97, 7 :: v_dual_add_nc_u32 v96, -8, v0
	v_add_nc_u32_e32 v95, -7, v0
	s_mov_b32 s1, exec_lo
	s_delay_alu instid0(VALU_DEP_2)
	v_cmpx_lt_u32_e32 6, v96
	s_cbranch_execz .LBB76_77
; %bb.74:
	s_delay_alu instid0(VALU_DEP_2) | instskip(SKIP_3) | instid1(VALU_DEP_1)
	v_and_b32_e32 v96, -8, v95
	s_mov_b32 s6, 0
	s_mov_b64 s[2:3], 14
	s_movk_i32 s7, 0xa8
	v_sub_nc_u32_e32 v96, 0, v96
.LBB76_75:                              ; =>This Inner Loop Header: Depth=1
	v_mov_b32_e32 v107, s7
	s_lshl_b32 s8, s2, 1
	s_delay_alu instid0(SALU_CYCLE_1)
	s_add_i32 m0, s8, -13
	v_movrels_b32_e32 v106, v34
	ds_load_2addr_b64 v[97:100], v107 offset1:1
	ds_load_2addr_b64 v[101:104], v107 offset0:2 offset1:3
	s_add_i32 m0, s8, -14
	v_movrels_b32_e32 v105, v34
	s_add_i32 m0, s8, -11
	s_waitcnt lgkmcnt(1)
	s_delay_alu instid0(VALU_DEP_1) | instskip(SKIP_4) | instid1(VALU_DEP_1)
	v_fma_f64 v[92:93], v[105:106], v[97:98], v[92:93]
	v_movrels_b32_e32 v98, v34
	s_add_i32 m0, s8, -12
	v_movrels_b32_e32 v97, v34
	s_add_i32 m0, s8, -9
	v_fma_f64 v[92:93], v[97:98], v[99:100], v[92:93]
	v_movrels_b32_e32 v98, v34
	s_add_i32 m0, s8, -10
	v_movrels_b32_e32 v97, v34
	s_add_i32 m0, s8, -7
	s_waitcnt lgkmcnt(0)
	s_delay_alu instid0(VALU_DEP_1)
	v_fma_f64 v[92:93], v[97:98], v[101:102], v[92:93]
	v_movrels_b32_e32 v98, v34
	s_add_i32 m0, s8, -8
	v_movrels_b32_e32 v97, v34
	s_add_i32 m0, s8, -5
	;; [unrolled: 2-line block ×4, first 2 shown]
	v_fma_f64 v[92:93], v[97:98], v[103:104], v[92:93]
	ds_load_2addr_b64 v[97:100], v107 offset0:4 offset1:5
	ds_load_2addr_b64 v[101:104], v107 offset0:6 offset1:7
	s_waitcnt lgkmcnt(1)
	v_fma_f64 v[92:93], v[105:106], v[97:98], v[92:93]
	v_movrels_b32_e32 v98, v34
	s_add_i32 m0, s8, -4
	v_movrels_b32_e32 v97, v34
	s_add_i32 m0, s8, -1
	s_delay_alu instid0(VALU_DEP_1)
	v_fma_f64 v[92:93], v[97:98], v[99:100], v[92:93]
	v_movrels_b32_e32 v98, v34
	s_add_i32 m0, s8, -2
	s_add_u32 s2, s2, 8
	v_movrels_b32_e32 v97, v34
	s_mov_b32 m0, s8
	s_addc_u32 s3, s3, 0
	s_add_i32 s8, s2, -7
	s_add_i32 s7, s7, 64
	s_waitcnt lgkmcnt(0)
	s_delay_alu instid0(VALU_DEP_3) | instskip(SKIP_2) | instid1(VALU_DEP_1)
	v_fma_f64 v[92:93], v[97:98], v[101:102], v[92:93]
	v_movrels_b32_e32 v98, v35
	v_movrels_b32_e32 v97, v34
	v_fma_f64 v[92:93], v[97:98], v[103:104], v[92:93]
	v_add_nc_u32_e32 v97, s2, v96
	s_delay_alu instid0(VALU_DEP_1) | instskip(SKIP_2) | instid1(SALU_CYCLE_1)
	v_cmp_eq_u32_e32 vcc_lo, 14, v97
	v_mov_b32_e32 v97, s8
	s_or_b32 s6, vcc_lo, s6
	s_and_not1_b32 exec_lo, exec_lo, s6
	s_cbranch_execnz .LBB76_75
; %bb.76:
	s_or_b32 exec_lo, exec_lo, s6
.LBB76_77:
	s_delay_alu instid0(SALU_CYCLE_1) | instskip(SKIP_3) | instid1(VALU_DEP_1)
	s_or_b32 exec_lo, exec_lo, s1
	v_and_b32_e32 v60, 7, v95
	s_mov_b32 s3, 0
	s_mov_b32 s2, exec_lo
	v_cmpx_ne_u32_e32 0, v60
	s_cbranch_execz .LBB76_81
; %bb.78:
	v_lshl_add_u32 v61, v97, 3, 0x70
	v_mov_b32_e32 v62, 0
.LBB76_79:                              ; =>This Inner Loop Header: Depth=1
	v_cmp_eq_u32_e32 vcc_lo, 1, v97
	v_cmp_eq_u32_e64 s1, 2, v97
	v_dual_cndmask_b32 v63, v35, v37 :: v_dual_add_nc_u32 v60, -1, v60
	v_cndmask_b32_e32 v64, v34, v36, vcc_lo
	v_cmp_eq_u32_e32 vcc_lo, 3, v97
	s_delay_alu instid0(VALU_DEP_3) | instskip(NEXT) | instid1(VALU_DEP_3)
	v_cndmask_b32_e64 v63, v63, v39, s1
	v_cndmask_b32_e64 v64, v64, v38, s1
	v_cmp_eq_u32_e64 s1, 4, v97
	s_delay_alu instid0(VALU_DEP_2) | instskip(SKIP_1) | instid1(VALU_DEP_2)
	v_dual_cndmask_b32 v63, v63, v41 :: v_dual_cndmask_b32 v64, v64, v40
	v_cmp_eq_u32_e32 vcc_lo, 5, v97
	v_cndmask_b32_e64 v63, v63, v43, s1
	s_delay_alu instid0(VALU_DEP_3) | instskip(SKIP_1) | instid1(VALU_DEP_2)
	v_cndmask_b32_e64 v64, v64, v42, s1
	v_cmp_eq_u32_e64 s1, 6, v97
	v_dual_cndmask_b32 v63, v63, v45 :: v_dual_cndmask_b32 v64, v64, v44
	v_cmp_eq_u32_e32 vcc_lo, 7, v97
	s_delay_alu instid0(VALU_DEP_2) | instskip(NEXT) | instid1(VALU_DEP_3)
	v_cndmask_b32_e64 v63, v63, v47, s1
	v_cndmask_b32_e64 v64, v64, v46, s1
	v_cmp_eq_u32_e64 s1, 8, v97
	s_delay_alu instid0(VALU_DEP_2) | instskip(SKIP_1) | instid1(VALU_DEP_2)
	v_dual_cndmask_b32 v63, v63, v49 :: v_dual_cndmask_b32 v64, v64, v48
	v_cmp_eq_u32_e32 vcc_lo, 9, v97
	v_cndmask_b32_e64 v65, v63, v51, s1
	s_delay_alu instid0(VALU_DEP_3)
	v_cndmask_b32_e64 v95, v64, v50, s1
	ds_load_b64 v[63:64], v61
	v_cmp_eq_u32_e64 s1, 10, v97
	v_add_nc_u32_e32 v61, 8, v61
	v_cndmask_b32_e32 v65, v65, v53, vcc_lo
	v_cndmask_b32_e32 v95, v95, v52, vcc_lo
	v_cmp_eq_u32_e32 vcc_lo, 11, v97
	s_delay_alu instid0(VALU_DEP_3) | instskip(NEXT) | instid1(VALU_DEP_3)
	v_cndmask_b32_e64 v65, v65, v55, s1
	v_cndmask_b32_e64 v95, v95, v54, s1
	v_cmp_eq_u32_e64 s1, 12, v97
	s_delay_alu instid0(VALU_DEP_3) | instskip(NEXT) | instid1(VALU_DEP_3)
	v_cndmask_b32_e32 v65, v65, v57, vcc_lo
	v_cndmask_b32_e32 v95, v95, v56, vcc_lo
	v_cmp_eq_u32_e32 vcc_lo, 0, v60
	s_delay_alu instid0(VALU_DEP_3) | instskip(NEXT) | instid1(VALU_DEP_3)
	v_cndmask_b32_e64 v96, v65, v59, s1
	v_cndmask_b32_e64 v95, v95, v58, s1
	v_add_co_u32 v97, s1, v97, 1
	s_delay_alu instid0(VALU_DEP_1) | instskip(SKIP_1) | instid1(VALU_DEP_3)
	v_add_co_ci_u32_e64 v62, s1, 0, v62, s1
	s_waitcnt lgkmcnt(0)
	v_fma_f64 v[92:93], v[95:96], v[63:64], v[92:93]
	s_or_b32 s3, vcc_lo, s3
	s_delay_alu instid0(SALU_CYCLE_1)
	s_and_not1_b32 exec_lo, exec_lo, s3
	s_cbranch_execnz .LBB76_79
; %bb.80:
	s_or_b32 exec_lo, exec_lo, s3
.LBB76_81:
	s_delay_alu instid0(SALU_CYCLE_1)
	s_or_b32 exec_lo, exec_lo, s2
.LBB76_82:
	s_delay_alu instid0(SALU_CYCLE_1)
	s_or_b32 exec_lo, exec_lo, s5
	v_mov_b32_e32 v46, 0
	ds_load_b64 v[46:47], v46 offset:48
	s_waitcnt lgkmcnt(0)
	v_mul_f64 v[46:47], v[92:93], v[46:47]
.LBB76_83:
	s_or_b32 exec_lo, exec_lo, s4
	v_cmp_lt_u32_e64 s2, 5, v0
	ds_store_b64 v94, v[44:45]
	s_waitcnt lgkmcnt(0)
	s_barrier
	buffer_gl0_inv
	s_and_saveexec_b32 s3, s2
	s_cbranch_execz .LBB76_99
; %bb.84:
	s_and_not1_b32 vcc_lo, exec_lo, s13
	s_cbranch_vccnz .LBB76_86
; %bb.85:
	v_cmp_eq_u32_e32 vcc_lo, 1, v0
	v_dual_cndmask_b32 v92, v35, v37 :: v_dual_cndmask_b32 v93, v34, v36
	v_cmp_eq_u32_e32 vcc_lo, 2, v0
	s_delay_alu instid0(VALU_DEP_2) | instskip(SKIP_1) | instid1(VALU_DEP_2)
	v_dual_cndmask_b32 v92, v92, v39 :: v_dual_cndmask_b32 v93, v93, v38
	v_cmp_eq_u32_e32 vcc_lo, 3, v0
	v_dual_cndmask_b32 v92, v92, v41 :: v_dual_cndmask_b32 v93, v93, v40
	v_cmp_eq_u32_e32 vcc_lo, 4, v0
	s_delay_alu instid0(VALU_DEP_2) | instskip(SKIP_1) | instid1(VALU_DEP_2)
	v_dual_cndmask_b32 v92, v92, v43 :: v_dual_cndmask_b32 v93, v93, v42
	;; [unrolled: 5-line block ×4, first 2 shown]
	v_cmp_eq_u32_e32 vcc_lo, 9, v0
	v_dual_cndmask_b32 v95, v92, v53 :: v_dual_cndmask_b32 v96, v93, v52
	v_cmp_eq_u32_e32 vcc_lo, 10, v0
	ds_load_b64 v[92:93], v94
	v_dual_cndmask_b32 v95, v95, v55 :: v_dual_cndmask_b32 v96, v96, v54
	v_cmp_eq_u32_e32 vcc_lo, 11, v0
	s_delay_alu instid0(VALU_DEP_2) | instskip(NEXT) | instid1(VALU_DEP_3)
	v_cndmask_b32_e32 v95, v95, v57, vcc_lo
	v_cndmask_b32_e32 v97, v96, v56, vcc_lo
	v_cmp_eq_u32_e32 vcc_lo, 12, v0
	s_delay_alu instid0(VALU_DEP_2) | instskip(SKIP_1) | instid1(VALU_DEP_1)
	v_dual_cndmask_b32 v96, v95, v59 :: v_dual_cndmask_b32 v95, v97, v58
	s_waitcnt lgkmcnt(0)
	v_mul_f64 v[92:93], v[95:96], v[92:93]
	s_cbranch_execz .LBB76_87
	s_branch .LBB76_88
.LBB76_86:
                                        ; implicit-def: $vgpr92_vgpr93
.LBB76_87:
	ds_load_b64 v[92:93], v94
.LBB76_88:
	s_and_saveexec_b32 s4, s0
	s_cbranch_execz .LBB76_98
; %bb.89:
	v_add_nc_u32_e32 v96, -7, v0
	v_add_nc_u32_e32 v95, -6, v0
	s_delay_alu instid0(VALU_DEP_2)
	v_cmp_lt_u32_e32 vcc_lo, 6, v96
	v_mov_b32_e32 v96, 6
	s_and_saveexec_b32 s5, vcc_lo
	s_cbranch_execz .LBB76_93
; %bb.90:
	v_and_b32_e32 v96, -8, v95
	s_mov_b32 s6, 0
	s_mov_b64 s[0:1], 13
	s_movk_i32 s7, 0xa0
	s_delay_alu instid0(VALU_DEP_1)
	v_sub_nc_u32_e32 v97, 0, v96
.LBB76_91:                              ; =>This Inner Loop Header: Depth=1
	v_mov_b32_e32 v96, s7
	s_lshl_b32 s8, s0, 1
	s_delay_alu instid0(SALU_CYCLE_1)
	s_add_i32 m0, s8, -13
	v_movrels_b32_e32 v107, v34
	ds_load_b128 v[98:101], v96
	ds_load_b128 v[102:105], v96 offset:16
	s_add_i32 m0, s8, -14
	v_movrels_b32_e32 v106, v34
	s_add_i32 m0, s8, -11
	s_waitcnt lgkmcnt(1)
	s_delay_alu instid0(VALU_DEP_1) | instskip(SKIP_4) | instid1(VALU_DEP_1)
	v_fma_f64 v[92:93], v[106:107], v[98:99], v[92:93]
	v_movrels_b32_e32 v99, v34
	s_add_i32 m0, s8, -12
	v_movrels_b32_e32 v98, v34
	s_add_i32 m0, s8, -9
	v_fma_f64 v[92:93], v[98:99], v[100:101], v[92:93]
	v_movrels_b32_e32 v99, v34
	s_add_i32 m0, s8, -10
	v_movrels_b32_e32 v98, v34
	s_add_i32 m0, s8, -7
	s_waitcnt lgkmcnt(0)
	s_delay_alu instid0(VALU_DEP_1)
	v_fma_f64 v[92:93], v[98:99], v[102:103], v[92:93]
	v_movrels_b32_e32 v99, v34
	s_add_i32 m0, s8, -8
	v_movrels_b32_e32 v98, v34
	s_add_i32 m0, s8, -5
	v_movrels_b32_e32 v107, v34
	s_add_i32 m0, s8, -6
	v_movrels_b32_e32 v106, v34
	s_add_i32 m0, s8, -3
	v_fma_f64 v[92:93], v[98:99], v[104:105], v[92:93]
	ds_load_b128 v[98:101], v96 offset:32
	ds_load_b128 v[102:105], v96 offset:48
	s_waitcnt lgkmcnt(1)
	v_fma_f64 v[92:93], v[106:107], v[98:99], v[92:93]
	v_movrels_b32_e32 v99, v34
	s_add_i32 m0, s8, -4
	v_movrels_b32_e32 v98, v34
	s_add_i32 m0, s8, -1
	s_delay_alu instid0(VALU_DEP_1)
	v_fma_f64 v[92:93], v[98:99], v[100:101], v[92:93]
	v_movrels_b32_e32 v99, v34
	s_add_i32 m0, s8, -2
	s_add_u32 s0, s0, 8
	v_movrels_b32_e32 v98, v34
	s_mov_b32 m0, s8
	v_add_nc_u32_e32 v96, s0, v97
	s_addc_u32 s1, s1, 0
	s_add_i32 s8, s0, -7
	s_add_i32 s7, s7, 64
	s_delay_alu instid0(VALU_DEP_1)
	v_cmp_eq_u32_e32 vcc_lo, 13, v96
	v_mov_b32_e32 v96, s8
	s_or_b32 s6, vcc_lo, s6
	s_waitcnt lgkmcnt(0)
	v_fma_f64 v[92:93], v[98:99], v[102:103], v[92:93]
	v_movrels_b32_e32 v99, v35
	v_movrels_b32_e32 v98, v34
	s_delay_alu instid0(VALU_DEP_1)
	v_fma_f64 v[92:93], v[98:99], v[104:105], v[92:93]
	s_and_not1_b32 exec_lo, exec_lo, s6
	s_cbranch_execnz .LBB76_91
; %bb.92:
	s_or_b32 exec_lo, exec_lo, s6
.LBB76_93:
	s_delay_alu instid0(SALU_CYCLE_1) | instskip(SKIP_3) | instid1(VALU_DEP_1)
	s_or_b32 exec_lo, exec_lo, s5
	v_and_b32_e32 v60, 7, v95
	s_mov_b32 s5, 0
	s_mov_b32 s1, exec_lo
	v_cmpx_ne_u32_e32 0, v60
	s_cbranch_execz .LBB76_97
; %bb.94:
	v_lshl_add_u32 v61, v96, 3, 0x70
	v_mov_b32_e32 v62, 0
.LBB76_95:                              ; =>This Inner Loop Header: Depth=1
	v_cmp_eq_u32_e32 vcc_lo, 1, v96
	v_cmp_eq_u32_e64 s0, 2, v96
	v_dual_cndmask_b32 v63, v35, v37 :: v_dual_add_nc_u32 v60, -1, v60
	v_cndmask_b32_e32 v64, v34, v36, vcc_lo
	v_cmp_eq_u32_e32 vcc_lo, 3, v96
	s_delay_alu instid0(VALU_DEP_3) | instskip(NEXT) | instid1(VALU_DEP_3)
	v_cndmask_b32_e64 v63, v63, v39, s0
	v_cndmask_b32_e64 v64, v64, v38, s0
	v_cmp_eq_u32_e64 s0, 4, v96
	s_delay_alu instid0(VALU_DEP_2) | instskip(SKIP_1) | instid1(VALU_DEP_2)
	v_dual_cndmask_b32 v63, v63, v41 :: v_dual_cndmask_b32 v64, v64, v40
	v_cmp_eq_u32_e32 vcc_lo, 5, v96
	v_cndmask_b32_e64 v63, v63, v43, s0
	s_delay_alu instid0(VALU_DEP_3) | instskip(SKIP_1) | instid1(VALU_DEP_2)
	v_cndmask_b32_e64 v64, v64, v42, s0
	v_cmp_eq_u32_e64 s0, 6, v96
	v_dual_cndmask_b32 v63, v63, v45 :: v_dual_cndmask_b32 v64, v64, v44
	v_cmp_eq_u32_e32 vcc_lo, 7, v96
	s_delay_alu instid0(VALU_DEP_2) | instskip(NEXT) | instid1(VALU_DEP_3)
	v_cndmask_b32_e64 v63, v63, v47, s0
	v_cndmask_b32_e64 v64, v64, v46, s0
	v_cmp_eq_u32_e64 s0, 8, v96
	s_delay_alu instid0(VALU_DEP_2) | instskip(SKIP_1) | instid1(VALU_DEP_2)
	v_dual_cndmask_b32 v63, v63, v49 :: v_dual_cndmask_b32 v64, v64, v48
	v_cmp_eq_u32_e32 vcc_lo, 9, v96
	v_cndmask_b32_e64 v65, v63, v51, s0
	s_delay_alu instid0(VALU_DEP_3)
	v_cndmask_b32_e64 v95, v64, v50, s0
	ds_load_b64 v[63:64], v61
	v_cmp_eq_u32_e64 s0, 10, v96
	v_add_nc_u32_e32 v61, 8, v61
	v_cndmask_b32_e32 v65, v65, v53, vcc_lo
	v_cndmask_b32_e32 v95, v95, v52, vcc_lo
	v_cmp_eq_u32_e32 vcc_lo, 11, v96
	s_delay_alu instid0(VALU_DEP_3) | instskip(NEXT) | instid1(VALU_DEP_3)
	v_cndmask_b32_e64 v65, v65, v55, s0
	v_cndmask_b32_e64 v95, v95, v54, s0
	v_cmp_eq_u32_e64 s0, 12, v96
	s_delay_alu instid0(VALU_DEP_3) | instskip(NEXT) | instid1(VALU_DEP_3)
	v_cndmask_b32_e32 v65, v65, v57, vcc_lo
	v_cndmask_b32_e32 v95, v95, v56, vcc_lo
	v_cmp_eq_u32_e32 vcc_lo, 0, v60
	s_delay_alu instid0(VALU_DEP_3) | instskip(NEXT) | instid1(VALU_DEP_3)
	v_cndmask_b32_e64 v98, v65, v59, s0
	v_cndmask_b32_e64 v97, v95, v58, s0
	v_add_co_u32 v96, s0, v96, 1
	s_delay_alu instid0(VALU_DEP_1) | instskip(SKIP_1) | instid1(VALU_DEP_3)
	v_add_co_ci_u32_e64 v62, s0, 0, v62, s0
	s_waitcnt lgkmcnt(0)
	v_fma_f64 v[92:93], v[97:98], v[63:64], v[92:93]
	s_or_b32 s5, vcc_lo, s5
	s_delay_alu instid0(SALU_CYCLE_1)
	s_and_not1_b32 exec_lo, exec_lo, s5
	s_cbranch_execnz .LBB76_95
; %bb.96:
	s_or_b32 exec_lo, exec_lo, s5
.LBB76_97:
	s_delay_alu instid0(SALU_CYCLE_1)
	s_or_b32 exec_lo, exec_lo, s1
.LBB76_98:
	s_delay_alu instid0(SALU_CYCLE_1)
	s_or_b32 exec_lo, exec_lo, s4
	v_mov_b32_e32 v44, 0
	ds_load_b64 v[44:45], v44 offset:40
	s_waitcnt lgkmcnt(0)
	v_mul_f64 v[44:45], v[92:93], v[44:45]
.LBB76_99:
	s_or_b32 exec_lo, exec_lo, s3
	v_cmp_lt_u32_e64 s1, 4, v0
	ds_store_b64 v94, v[42:43]
	s_waitcnt lgkmcnt(0)
	s_barrier
	buffer_gl0_inv
	s_and_saveexec_b32 s4, s1
	s_cbranch_execz .LBB76_115
; %bb.100:
	s_and_not1_b32 vcc_lo, exec_lo, s13
	s_cbranch_vccnz .LBB76_102
; %bb.101:
	v_cmp_eq_u32_e32 vcc_lo, 1, v0
	v_dual_cndmask_b32 v92, v35, v37 :: v_dual_cndmask_b32 v93, v34, v36
	v_cmp_eq_u32_e32 vcc_lo, 2, v0
	s_delay_alu instid0(VALU_DEP_2) | instskip(SKIP_1) | instid1(VALU_DEP_2)
	v_dual_cndmask_b32 v92, v92, v39 :: v_dual_cndmask_b32 v93, v93, v38
	v_cmp_eq_u32_e32 vcc_lo, 3, v0
	v_dual_cndmask_b32 v92, v92, v41 :: v_dual_cndmask_b32 v93, v93, v40
	v_cmp_eq_u32_e32 vcc_lo, 4, v0
	s_delay_alu instid0(VALU_DEP_2) | instskip(SKIP_1) | instid1(VALU_DEP_2)
	v_dual_cndmask_b32 v92, v92, v43 :: v_dual_cndmask_b32 v93, v93, v42
	;; [unrolled: 5-line block ×4, first 2 shown]
	v_cmp_eq_u32_e32 vcc_lo, 9, v0
	v_dual_cndmask_b32 v95, v92, v53 :: v_dual_cndmask_b32 v96, v93, v52
	v_cmp_eq_u32_e32 vcc_lo, 10, v0
	ds_load_b64 v[92:93], v94
	v_dual_cndmask_b32 v95, v95, v55 :: v_dual_cndmask_b32 v96, v96, v54
	v_cmp_eq_u32_e32 vcc_lo, 11, v0
	s_delay_alu instid0(VALU_DEP_2) | instskip(NEXT) | instid1(VALU_DEP_3)
	v_cndmask_b32_e32 v95, v95, v57, vcc_lo
	v_cndmask_b32_e32 v97, v96, v56, vcc_lo
	v_cmp_eq_u32_e32 vcc_lo, 12, v0
	s_delay_alu instid0(VALU_DEP_2) | instskip(SKIP_1) | instid1(VALU_DEP_1)
	v_dual_cndmask_b32 v96, v95, v59 :: v_dual_cndmask_b32 v95, v97, v58
	s_waitcnt lgkmcnt(0)
	v_mul_f64 v[92:93], v[95:96], v[92:93]
	s_cbranch_execz .LBB76_103
	s_branch .LBB76_104
.LBB76_102:
                                        ; implicit-def: $vgpr92_vgpr93
.LBB76_103:
	ds_load_b64 v[92:93], v94
.LBB76_104:
	s_and_saveexec_b32 s5, s2
	s_cbranch_execz .LBB76_114
; %bb.105:
	v_dual_mov_b32 v97, 5 :: v_dual_add_nc_u32 v96, -6, v0
	v_add_nc_u32_e32 v95, -5, v0
	s_mov_b32 s0, exec_lo
	s_delay_alu instid0(VALU_DEP_2)
	v_cmpx_lt_u32_e32 6, v96
	s_cbranch_execz .LBB76_109
; %bb.106:
	s_delay_alu instid0(VALU_DEP_2) | instskip(SKIP_3) | instid1(VALU_DEP_1)
	v_and_b32_e32 v96, -8, v95
	s_mov_b32 s6, 0
	s_mov_b64 s[2:3], 12
	s_movk_i32 s7, 0x98
	v_sub_nc_u32_e32 v96, 0, v96
.LBB76_107:                             ; =>This Inner Loop Header: Depth=1
	v_mov_b32_e32 v107, s7
	s_lshl_b32 s8, s2, 1
	s_delay_alu instid0(SALU_CYCLE_1)
	s_add_i32 m0, s8, -13
	v_movrels_b32_e32 v106, v34
	ds_load_2addr_b64 v[97:100], v107 offset1:1
	ds_load_2addr_b64 v[101:104], v107 offset0:2 offset1:3
	s_add_i32 m0, s8, -14
	v_movrels_b32_e32 v105, v34
	s_add_i32 m0, s8, -11
	s_waitcnt lgkmcnt(1)
	s_delay_alu instid0(VALU_DEP_1) | instskip(SKIP_4) | instid1(VALU_DEP_1)
	v_fma_f64 v[92:93], v[105:106], v[97:98], v[92:93]
	v_movrels_b32_e32 v98, v34
	s_add_i32 m0, s8, -12
	v_movrels_b32_e32 v97, v34
	s_add_i32 m0, s8, -9
	v_fma_f64 v[92:93], v[97:98], v[99:100], v[92:93]
	v_movrels_b32_e32 v98, v34
	s_add_i32 m0, s8, -10
	v_movrels_b32_e32 v97, v34
	s_add_i32 m0, s8, -7
	s_waitcnt lgkmcnt(0)
	s_delay_alu instid0(VALU_DEP_1)
	v_fma_f64 v[92:93], v[97:98], v[101:102], v[92:93]
	v_movrels_b32_e32 v98, v34
	s_add_i32 m0, s8, -8
	v_movrels_b32_e32 v97, v34
	s_add_i32 m0, s8, -5
	;; [unrolled: 2-line block ×4, first 2 shown]
	v_fma_f64 v[92:93], v[97:98], v[103:104], v[92:93]
	ds_load_2addr_b64 v[97:100], v107 offset0:4 offset1:5
	ds_load_2addr_b64 v[101:104], v107 offset0:6 offset1:7
	s_waitcnt lgkmcnt(1)
	v_fma_f64 v[92:93], v[105:106], v[97:98], v[92:93]
	v_movrels_b32_e32 v98, v34
	s_add_i32 m0, s8, -4
	v_movrels_b32_e32 v97, v34
	s_add_i32 m0, s8, -1
	s_delay_alu instid0(VALU_DEP_1)
	v_fma_f64 v[92:93], v[97:98], v[99:100], v[92:93]
	v_movrels_b32_e32 v98, v34
	s_add_i32 m0, s8, -2
	s_add_u32 s2, s2, 8
	v_movrels_b32_e32 v97, v34
	s_mov_b32 m0, s8
	s_addc_u32 s3, s3, 0
	s_add_i32 s8, s2, -7
	s_add_i32 s7, s7, 64
	s_waitcnt lgkmcnt(0)
	s_delay_alu instid0(VALU_DEP_3) | instskip(SKIP_2) | instid1(VALU_DEP_1)
	v_fma_f64 v[92:93], v[97:98], v[101:102], v[92:93]
	v_movrels_b32_e32 v98, v35
	v_movrels_b32_e32 v97, v34
	v_fma_f64 v[92:93], v[97:98], v[103:104], v[92:93]
	v_add_nc_u32_e32 v97, s2, v96
	s_delay_alu instid0(VALU_DEP_1) | instskip(SKIP_2) | instid1(SALU_CYCLE_1)
	v_cmp_eq_u32_e32 vcc_lo, 12, v97
	v_mov_b32_e32 v97, s8
	s_or_b32 s6, vcc_lo, s6
	s_and_not1_b32 exec_lo, exec_lo, s6
	s_cbranch_execnz .LBB76_107
; %bb.108:
	s_or_b32 exec_lo, exec_lo, s6
.LBB76_109:
	s_delay_alu instid0(SALU_CYCLE_1) | instskip(SKIP_3) | instid1(VALU_DEP_1)
	s_or_b32 exec_lo, exec_lo, s0
	v_and_b32_e32 v60, 7, v95
	s_mov_b32 s3, 0
	s_mov_b32 s2, exec_lo
	v_cmpx_ne_u32_e32 0, v60
	s_cbranch_execz .LBB76_113
; %bb.110:
	v_lshl_add_u32 v61, v97, 3, 0x70
	v_mov_b32_e32 v62, 0
.LBB76_111:                             ; =>This Inner Loop Header: Depth=1
	v_cmp_eq_u32_e32 vcc_lo, 1, v97
	v_cmp_eq_u32_e64 s0, 2, v97
	v_dual_cndmask_b32 v63, v35, v37 :: v_dual_add_nc_u32 v60, -1, v60
	v_cndmask_b32_e32 v64, v34, v36, vcc_lo
	v_cmp_eq_u32_e32 vcc_lo, 3, v97
	s_delay_alu instid0(VALU_DEP_3) | instskip(NEXT) | instid1(VALU_DEP_3)
	v_cndmask_b32_e64 v63, v63, v39, s0
	v_cndmask_b32_e64 v64, v64, v38, s0
	v_cmp_eq_u32_e64 s0, 4, v97
	s_delay_alu instid0(VALU_DEP_2) | instskip(SKIP_1) | instid1(VALU_DEP_2)
	v_dual_cndmask_b32 v63, v63, v41 :: v_dual_cndmask_b32 v64, v64, v40
	v_cmp_eq_u32_e32 vcc_lo, 5, v97
	v_cndmask_b32_e64 v63, v63, v43, s0
	s_delay_alu instid0(VALU_DEP_3) | instskip(SKIP_1) | instid1(VALU_DEP_2)
	v_cndmask_b32_e64 v64, v64, v42, s0
	v_cmp_eq_u32_e64 s0, 6, v97
	v_dual_cndmask_b32 v63, v63, v45 :: v_dual_cndmask_b32 v64, v64, v44
	v_cmp_eq_u32_e32 vcc_lo, 7, v97
	s_delay_alu instid0(VALU_DEP_2) | instskip(NEXT) | instid1(VALU_DEP_3)
	v_cndmask_b32_e64 v63, v63, v47, s0
	v_cndmask_b32_e64 v64, v64, v46, s0
	v_cmp_eq_u32_e64 s0, 8, v97
	s_delay_alu instid0(VALU_DEP_2) | instskip(SKIP_1) | instid1(VALU_DEP_2)
	v_dual_cndmask_b32 v63, v63, v49 :: v_dual_cndmask_b32 v64, v64, v48
	v_cmp_eq_u32_e32 vcc_lo, 9, v97
	v_cndmask_b32_e64 v65, v63, v51, s0
	s_delay_alu instid0(VALU_DEP_3)
	v_cndmask_b32_e64 v95, v64, v50, s0
	ds_load_b64 v[63:64], v61
	v_cmp_eq_u32_e64 s0, 10, v97
	v_add_nc_u32_e32 v61, 8, v61
	v_cndmask_b32_e32 v65, v65, v53, vcc_lo
	v_cndmask_b32_e32 v95, v95, v52, vcc_lo
	v_cmp_eq_u32_e32 vcc_lo, 11, v97
	s_delay_alu instid0(VALU_DEP_3) | instskip(NEXT) | instid1(VALU_DEP_3)
	v_cndmask_b32_e64 v65, v65, v55, s0
	v_cndmask_b32_e64 v95, v95, v54, s0
	v_cmp_eq_u32_e64 s0, 12, v97
	s_delay_alu instid0(VALU_DEP_3) | instskip(NEXT) | instid1(VALU_DEP_3)
	v_cndmask_b32_e32 v65, v65, v57, vcc_lo
	v_cndmask_b32_e32 v95, v95, v56, vcc_lo
	v_cmp_eq_u32_e32 vcc_lo, 0, v60
	s_delay_alu instid0(VALU_DEP_3) | instskip(NEXT) | instid1(VALU_DEP_3)
	v_cndmask_b32_e64 v96, v65, v59, s0
	v_cndmask_b32_e64 v95, v95, v58, s0
	v_add_co_u32 v97, s0, v97, 1
	s_delay_alu instid0(VALU_DEP_1) | instskip(SKIP_1) | instid1(VALU_DEP_3)
	v_add_co_ci_u32_e64 v62, s0, 0, v62, s0
	s_waitcnt lgkmcnt(0)
	v_fma_f64 v[92:93], v[95:96], v[63:64], v[92:93]
	s_or_b32 s3, vcc_lo, s3
	s_delay_alu instid0(SALU_CYCLE_1)
	s_and_not1_b32 exec_lo, exec_lo, s3
	s_cbranch_execnz .LBB76_111
; %bb.112:
	s_or_b32 exec_lo, exec_lo, s3
.LBB76_113:
	s_delay_alu instid0(SALU_CYCLE_1)
	s_or_b32 exec_lo, exec_lo, s2
.LBB76_114:
	s_delay_alu instid0(SALU_CYCLE_1)
	s_or_b32 exec_lo, exec_lo, s5
	v_mov_b32_e32 v42, 0
	ds_load_b64 v[42:43], v42 offset:32
	s_waitcnt lgkmcnt(0)
	v_mul_f64 v[42:43], v[92:93], v[42:43]
.LBB76_115:
	s_or_b32 exec_lo, exec_lo, s4
	v_cmp_lt_u32_e64 s0, 3, v0
	ds_store_b64 v94, v[40:41]
	s_waitcnt lgkmcnt(0)
	s_barrier
	buffer_gl0_inv
	s_and_saveexec_b32 s4, s0
	s_cbranch_execz .LBB76_131
; %bb.116:
	s_and_not1_b32 vcc_lo, exec_lo, s13
	s_cbranch_vccnz .LBB76_118
; %bb.117:
	v_cmp_eq_u32_e32 vcc_lo, 1, v0
	v_dual_cndmask_b32 v92, v35, v37 :: v_dual_cndmask_b32 v93, v34, v36
	v_cmp_eq_u32_e32 vcc_lo, 2, v0
	s_delay_alu instid0(VALU_DEP_2) | instskip(SKIP_1) | instid1(VALU_DEP_2)
	v_dual_cndmask_b32 v92, v92, v39 :: v_dual_cndmask_b32 v93, v93, v38
	v_cmp_eq_u32_e32 vcc_lo, 3, v0
	v_dual_cndmask_b32 v92, v92, v41 :: v_dual_cndmask_b32 v93, v93, v40
	v_cmp_eq_u32_e32 vcc_lo, 4, v0
	s_delay_alu instid0(VALU_DEP_2) | instskip(SKIP_1) | instid1(VALU_DEP_2)
	v_dual_cndmask_b32 v92, v92, v43 :: v_dual_cndmask_b32 v93, v93, v42
	;; [unrolled: 5-line block ×4, first 2 shown]
	v_cmp_eq_u32_e32 vcc_lo, 9, v0
	v_dual_cndmask_b32 v95, v92, v53 :: v_dual_cndmask_b32 v96, v93, v52
	v_cmp_eq_u32_e32 vcc_lo, 10, v0
	ds_load_b64 v[92:93], v94
	v_dual_cndmask_b32 v95, v95, v55 :: v_dual_cndmask_b32 v96, v96, v54
	v_cmp_eq_u32_e32 vcc_lo, 11, v0
	s_delay_alu instid0(VALU_DEP_2) | instskip(NEXT) | instid1(VALU_DEP_3)
	v_cndmask_b32_e32 v95, v95, v57, vcc_lo
	v_cndmask_b32_e32 v97, v96, v56, vcc_lo
	v_cmp_eq_u32_e32 vcc_lo, 12, v0
	s_delay_alu instid0(VALU_DEP_2) | instskip(SKIP_1) | instid1(VALU_DEP_1)
	v_dual_cndmask_b32 v96, v95, v59 :: v_dual_cndmask_b32 v95, v97, v58
	s_waitcnt lgkmcnt(0)
	v_mul_f64 v[92:93], v[95:96], v[92:93]
	s_cbranch_execz .LBB76_119
	s_branch .LBB76_120
.LBB76_118:
                                        ; implicit-def: $vgpr92_vgpr93
.LBB76_119:
	ds_load_b64 v[92:93], v94
.LBB76_120:
	s_and_saveexec_b32 s5, s1
	s_cbranch_execz .LBB76_130
; %bb.121:
	v_dual_mov_b32 v97, 4 :: v_dual_add_nc_u32 v96, -5, v0
	v_add_nc_u32_e32 v95, -4, v0
	s_mov_b32 s1, exec_lo
	s_delay_alu instid0(VALU_DEP_2)
	v_cmpx_lt_u32_e32 6, v96
	s_cbranch_execz .LBB76_125
; %bb.122:
	s_delay_alu instid0(VALU_DEP_2) | instskip(SKIP_3) | instid1(VALU_DEP_1)
	v_and_b32_e32 v96, -8, v95
	s_mov_b32 s6, 0
	s_mov_b64 s[2:3], 5
	s_movk_i32 s7, 0x90
	v_sub_nc_u32_e32 v96, 0, v96
.LBB76_123:                             ; =>This Inner Loop Header: Depth=1
	v_mov_b32_e32 v107, s7
	s_lshl_b32 s8, s2, 1
	s_delay_alu instid0(SALU_CYCLE_1)
	s_add_i32 m0, s8, -1
	s_add_i32 s9, s8, 3
	ds_load_b128 v[97:100], v107
	ds_load_b128 v[101:104], v107 offset:16
	v_movrels_b32_e32 v106, v34
	s_add_i32 m0, s8, -2
	s_add_i32 s10, s8, 2
	v_movrels_b32_e32 v105, v34
	s_mov_b32 m0, s8
	s_waitcnt lgkmcnt(1)
	s_delay_alu instid0(VALU_DEP_1) | instskip(SKIP_4) | instid1(VALU_DEP_1)
	v_fma_f64 v[92:93], v[105:106], v[97:98], v[92:93]
	v_movrels_b32_e32 v98, v35
	v_movrels_b32_e32 v97, v34
	s_mov_b32 m0, s9
	s_add_i32 s9, s8, 5
	v_fma_f64 v[92:93], v[97:98], v[99:100], v[92:93]
	v_movrels_b32_e32 v98, v34
	s_mov_b32 m0, s10
	s_add_i32 s10, s8, 4
	v_movrels_b32_e32 v97, v34
	s_mov_b32 m0, s9
	s_add_i32 s9, s8, 7
	s_waitcnt lgkmcnt(0)
	s_delay_alu instid0(VALU_DEP_1)
	v_fma_f64 v[92:93], v[97:98], v[101:102], v[92:93]
	v_movrels_b32_e32 v98, v34
	s_mov_b32 m0, s10
	s_add_i32 s10, s8, 6
	v_movrels_b32_e32 v97, v34
	s_mov_b32 m0, s9
	s_add_i32 s9, s8, 9
	;; [unrolled: 3-line block ×4, first 2 shown]
	v_fma_f64 v[92:93], v[97:98], v[103:104], v[92:93]
	ds_load_b128 v[97:100], v107 offset:32
	ds_load_b128 v[101:104], v107 offset:48
	s_waitcnt lgkmcnt(1)
	v_fma_f64 v[92:93], v[105:106], v[97:98], v[92:93]
	v_movrels_b32_e32 v98, v34
	s_mov_b32 m0, s10
	s_add_i32 s10, s8, 10
	v_movrels_b32_e32 v97, v34
	s_mov_b32 m0, s9
	s_add_i32 s9, s8, 13
	s_add_i32 s8, s8, 12
	s_add_u32 s2, s2, 8
	s_addc_u32 s3, s3, 0
	s_add_i32 s7, s7, 64
	s_delay_alu instid0(VALU_DEP_3)
	v_fma_f64 v[92:93], v[97:98], v[99:100], v[92:93]
	v_movrels_b32_e32 v98, v34
	s_mov_b32 m0, s10
	v_movrels_b32_e32 v97, v34
	s_mov_b32 m0, s9
	s_waitcnt lgkmcnt(0)
	s_delay_alu instid0(VALU_DEP_1) | instskip(SKIP_4) | instid1(VALU_DEP_1)
	v_fma_f64 v[92:93], v[97:98], v[101:102], v[92:93]
	v_movrels_b32_e32 v98, v34
	s_mov_b32 m0, s8
	s_add_i32 s8, s2, -1
	v_movrels_b32_e32 v97, v34
	v_fma_f64 v[92:93], v[97:98], v[103:104], v[92:93]
	v_add_nc_u32_e32 v97, s2, v96
	s_delay_alu instid0(VALU_DEP_1) | instskip(SKIP_2) | instid1(SALU_CYCLE_1)
	v_cmp_eq_u32_e32 vcc_lo, 5, v97
	v_mov_b32_e32 v97, s8
	s_or_b32 s6, vcc_lo, s6
	s_and_not1_b32 exec_lo, exec_lo, s6
	s_cbranch_execnz .LBB76_123
; %bb.124:
	s_or_b32 exec_lo, exec_lo, s6
.LBB76_125:
	s_delay_alu instid0(SALU_CYCLE_1) | instskip(SKIP_3) | instid1(VALU_DEP_1)
	s_or_b32 exec_lo, exec_lo, s1
	v_and_b32_e32 v60, 7, v95
	s_mov_b32 s3, 0
	s_mov_b32 s2, exec_lo
	v_cmpx_ne_u32_e32 0, v60
	s_cbranch_execz .LBB76_129
; %bb.126:
	v_lshl_add_u32 v61, v97, 3, 0x70
	v_mov_b32_e32 v62, 0
.LBB76_127:                             ; =>This Inner Loop Header: Depth=1
	v_cmp_eq_u32_e32 vcc_lo, 1, v97
	v_cmp_eq_u32_e64 s1, 2, v97
	v_dual_cndmask_b32 v63, v35, v37 :: v_dual_add_nc_u32 v60, -1, v60
	v_cndmask_b32_e32 v64, v34, v36, vcc_lo
	v_cmp_eq_u32_e32 vcc_lo, 3, v97
	s_delay_alu instid0(VALU_DEP_3) | instskip(NEXT) | instid1(VALU_DEP_3)
	v_cndmask_b32_e64 v63, v63, v39, s1
	v_cndmask_b32_e64 v64, v64, v38, s1
	v_cmp_eq_u32_e64 s1, 4, v97
	s_delay_alu instid0(VALU_DEP_2) | instskip(SKIP_1) | instid1(VALU_DEP_2)
	v_dual_cndmask_b32 v63, v63, v41 :: v_dual_cndmask_b32 v64, v64, v40
	v_cmp_eq_u32_e32 vcc_lo, 5, v97
	v_cndmask_b32_e64 v63, v63, v43, s1
	s_delay_alu instid0(VALU_DEP_3) | instskip(SKIP_1) | instid1(VALU_DEP_2)
	v_cndmask_b32_e64 v64, v64, v42, s1
	v_cmp_eq_u32_e64 s1, 6, v97
	v_dual_cndmask_b32 v63, v63, v45 :: v_dual_cndmask_b32 v64, v64, v44
	v_cmp_eq_u32_e32 vcc_lo, 7, v97
	s_delay_alu instid0(VALU_DEP_2) | instskip(NEXT) | instid1(VALU_DEP_3)
	v_cndmask_b32_e64 v63, v63, v47, s1
	v_cndmask_b32_e64 v64, v64, v46, s1
	v_cmp_eq_u32_e64 s1, 8, v97
	s_delay_alu instid0(VALU_DEP_2) | instskip(SKIP_1) | instid1(VALU_DEP_2)
	v_dual_cndmask_b32 v63, v63, v49 :: v_dual_cndmask_b32 v64, v64, v48
	v_cmp_eq_u32_e32 vcc_lo, 9, v97
	v_cndmask_b32_e64 v65, v63, v51, s1
	s_delay_alu instid0(VALU_DEP_3)
	v_cndmask_b32_e64 v95, v64, v50, s1
	ds_load_b64 v[63:64], v61
	v_cmp_eq_u32_e64 s1, 10, v97
	v_add_nc_u32_e32 v61, 8, v61
	v_cndmask_b32_e32 v65, v65, v53, vcc_lo
	v_cndmask_b32_e32 v95, v95, v52, vcc_lo
	v_cmp_eq_u32_e32 vcc_lo, 11, v97
	s_delay_alu instid0(VALU_DEP_3) | instskip(NEXT) | instid1(VALU_DEP_3)
	v_cndmask_b32_e64 v65, v65, v55, s1
	v_cndmask_b32_e64 v95, v95, v54, s1
	v_cmp_eq_u32_e64 s1, 12, v97
	s_delay_alu instid0(VALU_DEP_3) | instskip(NEXT) | instid1(VALU_DEP_3)
	v_cndmask_b32_e32 v65, v65, v57, vcc_lo
	v_cndmask_b32_e32 v95, v95, v56, vcc_lo
	v_cmp_eq_u32_e32 vcc_lo, 0, v60
	s_delay_alu instid0(VALU_DEP_3) | instskip(NEXT) | instid1(VALU_DEP_3)
	v_cndmask_b32_e64 v96, v65, v59, s1
	v_cndmask_b32_e64 v95, v95, v58, s1
	v_add_co_u32 v97, s1, v97, 1
	s_delay_alu instid0(VALU_DEP_1) | instskip(SKIP_1) | instid1(VALU_DEP_3)
	v_add_co_ci_u32_e64 v62, s1, 0, v62, s1
	s_waitcnt lgkmcnt(0)
	v_fma_f64 v[92:93], v[95:96], v[63:64], v[92:93]
	s_or_b32 s3, vcc_lo, s3
	s_delay_alu instid0(SALU_CYCLE_1)
	s_and_not1_b32 exec_lo, exec_lo, s3
	s_cbranch_execnz .LBB76_127
; %bb.128:
	s_or_b32 exec_lo, exec_lo, s3
.LBB76_129:
	s_delay_alu instid0(SALU_CYCLE_1)
	s_or_b32 exec_lo, exec_lo, s2
.LBB76_130:
	s_delay_alu instid0(SALU_CYCLE_1)
	s_or_b32 exec_lo, exec_lo, s5
	v_mov_b32_e32 v40, 0
	ds_load_b64 v[40:41], v40 offset:24
	s_waitcnt lgkmcnt(0)
	v_mul_f64 v[40:41], v[92:93], v[40:41]
.LBB76_131:
	s_or_b32 exec_lo, exec_lo, s4
	v_cmp_lt_u32_e64 s1, 2, v0
	ds_store_b64 v94, v[38:39]
	s_waitcnt lgkmcnt(0)
	s_barrier
	buffer_gl0_inv
	s_and_saveexec_b32 s4, s1
	s_cbranch_execz .LBB76_147
; %bb.132:
	s_and_not1_b32 vcc_lo, exec_lo, s13
	s_cbranch_vccnz .LBB76_134
; %bb.133:
	v_cmp_eq_u32_e32 vcc_lo, 1, v0
	v_dual_cndmask_b32 v92, v35, v37 :: v_dual_cndmask_b32 v93, v34, v36
	v_cmp_eq_u32_e32 vcc_lo, 2, v0
	s_delay_alu instid0(VALU_DEP_2) | instskip(SKIP_1) | instid1(VALU_DEP_2)
	v_dual_cndmask_b32 v92, v92, v39 :: v_dual_cndmask_b32 v93, v93, v38
	v_cmp_eq_u32_e32 vcc_lo, 3, v0
	v_dual_cndmask_b32 v92, v92, v41 :: v_dual_cndmask_b32 v93, v93, v40
	v_cmp_eq_u32_e32 vcc_lo, 4, v0
	s_delay_alu instid0(VALU_DEP_2) | instskip(SKIP_1) | instid1(VALU_DEP_2)
	v_dual_cndmask_b32 v92, v92, v43 :: v_dual_cndmask_b32 v93, v93, v42
	v_cmp_eq_u32_e32 vcc_lo, 5, v0
	v_dual_cndmask_b32 v92, v92, v45 :: v_dual_cndmask_b32 v93, v93, v44
	v_cmp_eq_u32_e32 vcc_lo, 6, v0
	s_delay_alu instid0(VALU_DEP_2) | instskip(SKIP_1) | instid1(VALU_DEP_2)
	v_dual_cndmask_b32 v92, v92, v47 :: v_dual_cndmask_b32 v93, v93, v46
	v_cmp_eq_u32_e32 vcc_lo, 7, v0
	v_dual_cndmask_b32 v92, v92, v49 :: v_dual_cndmask_b32 v93, v93, v48
	v_cmp_eq_u32_e32 vcc_lo, 8, v0
	s_delay_alu instid0(VALU_DEP_2) | instskip(SKIP_1) | instid1(VALU_DEP_2)
	v_dual_cndmask_b32 v92, v92, v51 :: v_dual_cndmask_b32 v93, v93, v50
	v_cmp_eq_u32_e32 vcc_lo, 9, v0
	v_dual_cndmask_b32 v95, v92, v53 :: v_dual_cndmask_b32 v96, v93, v52
	v_cmp_eq_u32_e32 vcc_lo, 10, v0
	ds_load_b64 v[92:93], v94
	v_dual_cndmask_b32 v95, v95, v55 :: v_dual_cndmask_b32 v96, v96, v54
	v_cmp_eq_u32_e32 vcc_lo, 11, v0
	s_delay_alu instid0(VALU_DEP_2) | instskip(NEXT) | instid1(VALU_DEP_3)
	v_cndmask_b32_e32 v95, v95, v57, vcc_lo
	v_cndmask_b32_e32 v97, v96, v56, vcc_lo
	v_cmp_eq_u32_e32 vcc_lo, 12, v0
	s_delay_alu instid0(VALU_DEP_2) | instskip(SKIP_1) | instid1(VALU_DEP_1)
	v_dual_cndmask_b32 v96, v95, v59 :: v_dual_cndmask_b32 v95, v97, v58
	s_waitcnt lgkmcnt(0)
	v_mul_f64 v[92:93], v[95:96], v[92:93]
	s_cbranch_execz .LBB76_135
	s_branch .LBB76_136
.LBB76_134:
                                        ; implicit-def: $vgpr92_vgpr93
.LBB76_135:
	ds_load_b64 v[92:93], v94
.LBB76_136:
	s_and_saveexec_b32 s5, s0
	s_cbranch_execz .LBB76_146
; %bb.137:
	v_dual_mov_b32 v97, 3 :: v_dual_add_nc_u32 v96, -4, v0
	v_add_nc_u32_e32 v95, -3, v0
	s_mov_b32 s0, exec_lo
	s_delay_alu instid0(VALU_DEP_2)
	v_cmpx_lt_u32_e32 6, v96
	s_cbranch_execz .LBB76_141
; %bb.138:
	s_delay_alu instid0(VALU_DEP_2) | instskip(SKIP_3) | instid1(VALU_DEP_1)
	v_and_b32_e32 v96, -8, v95
	s_mov_b32 s6, 0
	s_mov_b64 s[2:3], 10
	s_movk_i32 s7, 0x88
	v_sub_nc_u32_e32 v96, 0, v96
.LBB76_139:                             ; =>This Inner Loop Header: Depth=1
	v_mov_b32_e32 v107, s7
	s_lshl_b32 s8, s2, 1
	s_delay_alu instid0(SALU_CYCLE_1)
	s_add_i32 m0, s8, -13
	v_movrels_b32_e32 v106, v34
	ds_load_2addr_b64 v[97:100], v107 offset1:1
	ds_load_2addr_b64 v[101:104], v107 offset0:2 offset1:3
	s_add_i32 m0, s8, -14
	v_movrels_b32_e32 v105, v34
	s_add_i32 m0, s8, -11
	s_waitcnt lgkmcnt(1)
	s_delay_alu instid0(VALU_DEP_1) | instskip(SKIP_4) | instid1(VALU_DEP_1)
	v_fma_f64 v[92:93], v[105:106], v[97:98], v[92:93]
	v_movrels_b32_e32 v98, v34
	s_add_i32 m0, s8, -12
	v_movrels_b32_e32 v97, v34
	s_add_i32 m0, s8, -9
	v_fma_f64 v[92:93], v[97:98], v[99:100], v[92:93]
	v_movrels_b32_e32 v98, v34
	s_add_i32 m0, s8, -10
	v_movrels_b32_e32 v97, v34
	s_add_i32 m0, s8, -7
	s_waitcnt lgkmcnt(0)
	s_delay_alu instid0(VALU_DEP_1)
	v_fma_f64 v[92:93], v[97:98], v[101:102], v[92:93]
	v_movrels_b32_e32 v98, v34
	s_add_i32 m0, s8, -8
	v_movrels_b32_e32 v97, v34
	s_add_i32 m0, s8, -5
	;; [unrolled: 2-line block ×4, first 2 shown]
	v_fma_f64 v[92:93], v[97:98], v[103:104], v[92:93]
	ds_load_2addr_b64 v[97:100], v107 offset0:4 offset1:5
	ds_load_2addr_b64 v[101:104], v107 offset0:6 offset1:7
	s_waitcnt lgkmcnt(1)
	v_fma_f64 v[92:93], v[105:106], v[97:98], v[92:93]
	v_movrels_b32_e32 v98, v34
	s_add_i32 m0, s8, -4
	v_movrels_b32_e32 v97, v34
	s_add_i32 m0, s8, -1
	s_delay_alu instid0(VALU_DEP_1)
	v_fma_f64 v[92:93], v[97:98], v[99:100], v[92:93]
	v_movrels_b32_e32 v98, v34
	s_add_i32 m0, s8, -2
	s_add_u32 s2, s2, 8
	v_movrels_b32_e32 v97, v34
	s_mov_b32 m0, s8
	s_addc_u32 s3, s3, 0
	s_add_i32 s8, s2, -7
	s_add_i32 s7, s7, 64
	s_waitcnt lgkmcnt(0)
	s_delay_alu instid0(VALU_DEP_3) | instskip(SKIP_2) | instid1(VALU_DEP_1)
	v_fma_f64 v[92:93], v[97:98], v[101:102], v[92:93]
	v_movrels_b32_e32 v98, v35
	v_movrels_b32_e32 v97, v34
	v_fma_f64 v[92:93], v[97:98], v[103:104], v[92:93]
	v_add_nc_u32_e32 v97, s2, v96
	s_delay_alu instid0(VALU_DEP_1) | instskip(SKIP_2) | instid1(SALU_CYCLE_1)
	v_cmp_eq_u32_e32 vcc_lo, 10, v97
	v_mov_b32_e32 v97, s8
	s_or_b32 s6, vcc_lo, s6
	s_and_not1_b32 exec_lo, exec_lo, s6
	s_cbranch_execnz .LBB76_139
; %bb.140:
	s_or_b32 exec_lo, exec_lo, s6
.LBB76_141:
	s_delay_alu instid0(SALU_CYCLE_1) | instskip(SKIP_3) | instid1(VALU_DEP_1)
	s_or_b32 exec_lo, exec_lo, s0
	v_and_b32_e32 v60, 7, v95
	s_mov_b32 s3, 0
	s_mov_b32 s2, exec_lo
	v_cmpx_ne_u32_e32 0, v60
	s_cbranch_execz .LBB76_145
; %bb.142:
	v_lshl_add_u32 v61, v97, 3, 0x70
	v_mov_b32_e32 v62, 0
.LBB76_143:                             ; =>This Inner Loop Header: Depth=1
	v_cmp_eq_u32_e32 vcc_lo, 1, v97
	v_cmp_eq_u32_e64 s0, 2, v97
	v_dual_cndmask_b32 v63, v35, v37 :: v_dual_add_nc_u32 v60, -1, v60
	v_cndmask_b32_e32 v64, v34, v36, vcc_lo
	v_cmp_eq_u32_e32 vcc_lo, 3, v97
	s_delay_alu instid0(VALU_DEP_3) | instskip(NEXT) | instid1(VALU_DEP_3)
	v_cndmask_b32_e64 v63, v63, v39, s0
	v_cndmask_b32_e64 v64, v64, v38, s0
	v_cmp_eq_u32_e64 s0, 4, v97
	s_delay_alu instid0(VALU_DEP_2) | instskip(SKIP_1) | instid1(VALU_DEP_2)
	v_dual_cndmask_b32 v63, v63, v41 :: v_dual_cndmask_b32 v64, v64, v40
	v_cmp_eq_u32_e32 vcc_lo, 5, v97
	v_cndmask_b32_e64 v63, v63, v43, s0
	s_delay_alu instid0(VALU_DEP_3) | instskip(SKIP_1) | instid1(VALU_DEP_2)
	v_cndmask_b32_e64 v64, v64, v42, s0
	v_cmp_eq_u32_e64 s0, 6, v97
	v_dual_cndmask_b32 v63, v63, v45 :: v_dual_cndmask_b32 v64, v64, v44
	v_cmp_eq_u32_e32 vcc_lo, 7, v97
	s_delay_alu instid0(VALU_DEP_2) | instskip(NEXT) | instid1(VALU_DEP_3)
	v_cndmask_b32_e64 v63, v63, v47, s0
	v_cndmask_b32_e64 v64, v64, v46, s0
	v_cmp_eq_u32_e64 s0, 8, v97
	s_delay_alu instid0(VALU_DEP_2) | instskip(SKIP_1) | instid1(VALU_DEP_2)
	v_dual_cndmask_b32 v63, v63, v49 :: v_dual_cndmask_b32 v64, v64, v48
	v_cmp_eq_u32_e32 vcc_lo, 9, v97
	v_cndmask_b32_e64 v65, v63, v51, s0
	s_delay_alu instid0(VALU_DEP_3)
	v_cndmask_b32_e64 v95, v64, v50, s0
	ds_load_b64 v[63:64], v61
	v_cmp_eq_u32_e64 s0, 10, v97
	v_add_nc_u32_e32 v61, 8, v61
	v_cndmask_b32_e32 v65, v65, v53, vcc_lo
	v_cndmask_b32_e32 v95, v95, v52, vcc_lo
	v_cmp_eq_u32_e32 vcc_lo, 11, v97
	s_delay_alu instid0(VALU_DEP_3) | instskip(NEXT) | instid1(VALU_DEP_3)
	v_cndmask_b32_e64 v65, v65, v55, s0
	v_cndmask_b32_e64 v95, v95, v54, s0
	v_cmp_eq_u32_e64 s0, 12, v97
	s_delay_alu instid0(VALU_DEP_3) | instskip(NEXT) | instid1(VALU_DEP_3)
	v_cndmask_b32_e32 v65, v65, v57, vcc_lo
	v_cndmask_b32_e32 v95, v95, v56, vcc_lo
	v_cmp_eq_u32_e32 vcc_lo, 0, v60
	s_delay_alu instid0(VALU_DEP_3) | instskip(NEXT) | instid1(VALU_DEP_3)
	v_cndmask_b32_e64 v96, v65, v59, s0
	v_cndmask_b32_e64 v95, v95, v58, s0
	v_add_co_u32 v97, s0, v97, 1
	s_delay_alu instid0(VALU_DEP_1) | instskip(SKIP_1) | instid1(VALU_DEP_3)
	v_add_co_ci_u32_e64 v62, s0, 0, v62, s0
	s_waitcnt lgkmcnt(0)
	v_fma_f64 v[92:93], v[95:96], v[63:64], v[92:93]
	s_or_b32 s3, vcc_lo, s3
	s_delay_alu instid0(SALU_CYCLE_1)
	s_and_not1_b32 exec_lo, exec_lo, s3
	s_cbranch_execnz .LBB76_143
; %bb.144:
	s_or_b32 exec_lo, exec_lo, s3
.LBB76_145:
	s_delay_alu instid0(SALU_CYCLE_1)
	s_or_b32 exec_lo, exec_lo, s2
.LBB76_146:
	s_delay_alu instid0(SALU_CYCLE_1)
	s_or_b32 exec_lo, exec_lo, s5
	v_mov_b32_e32 v38, 0
	ds_load_b64 v[38:39], v38 offset:16
	s_waitcnt lgkmcnt(0)
	v_mul_f64 v[38:39], v[92:93], v[38:39]
.LBB76_147:
	s_or_b32 exec_lo, exec_lo, s4
	v_cmp_lt_u32_e64 s0, 1, v0
	ds_store_b64 v94, v[36:37]
	s_waitcnt lgkmcnt(0)
	s_barrier
	buffer_gl0_inv
	s_and_saveexec_b32 s4, s0
	s_cbranch_execz .LBB76_163
; %bb.148:
	s_and_not1_b32 vcc_lo, exec_lo, s13
	s_cbranch_vccnz .LBB76_150
; %bb.149:
	v_cmp_eq_u32_e32 vcc_lo, 1, v0
	v_dual_cndmask_b32 v92, v35, v37 :: v_dual_cndmask_b32 v93, v34, v36
	v_cmp_eq_u32_e32 vcc_lo, 2, v0
	s_delay_alu instid0(VALU_DEP_2) | instskip(SKIP_1) | instid1(VALU_DEP_2)
	v_dual_cndmask_b32 v92, v92, v39 :: v_dual_cndmask_b32 v93, v93, v38
	v_cmp_eq_u32_e32 vcc_lo, 3, v0
	v_dual_cndmask_b32 v92, v92, v41 :: v_dual_cndmask_b32 v93, v93, v40
	v_cmp_eq_u32_e32 vcc_lo, 4, v0
	s_delay_alu instid0(VALU_DEP_2) | instskip(SKIP_1) | instid1(VALU_DEP_2)
	v_dual_cndmask_b32 v92, v92, v43 :: v_dual_cndmask_b32 v93, v93, v42
	;; [unrolled: 5-line block ×4, first 2 shown]
	v_cmp_eq_u32_e32 vcc_lo, 9, v0
	v_dual_cndmask_b32 v95, v92, v53 :: v_dual_cndmask_b32 v96, v93, v52
	v_cmp_eq_u32_e32 vcc_lo, 10, v0
	ds_load_b64 v[92:93], v94
	v_dual_cndmask_b32 v95, v95, v55 :: v_dual_cndmask_b32 v96, v96, v54
	v_cmp_eq_u32_e32 vcc_lo, 11, v0
	s_delay_alu instid0(VALU_DEP_2) | instskip(NEXT) | instid1(VALU_DEP_3)
	v_cndmask_b32_e32 v95, v95, v57, vcc_lo
	v_cndmask_b32_e32 v97, v96, v56, vcc_lo
	v_cmp_eq_u32_e32 vcc_lo, 12, v0
	s_delay_alu instid0(VALU_DEP_2) | instskip(SKIP_1) | instid1(VALU_DEP_1)
	v_dual_cndmask_b32 v96, v95, v59 :: v_dual_cndmask_b32 v95, v97, v58
	s_waitcnt lgkmcnt(0)
	v_mul_f64 v[92:93], v[95:96], v[92:93]
	s_cbranch_execz .LBB76_151
	s_branch .LBB76_152
.LBB76_150:
                                        ; implicit-def: $vgpr92_vgpr93
.LBB76_151:
	ds_load_b64 v[92:93], v94
.LBB76_152:
	s_and_saveexec_b32 s5, s1
	s_cbranch_execz .LBB76_162
; %bb.153:
	v_add_nc_u32_e32 v96, -3, v0
	v_add_nc_u32_e32 v95, -2, v0
	s_delay_alu instid0(VALU_DEP_2)
	v_cmp_lt_u32_e32 vcc_lo, 6, v96
	v_mov_b32_e32 v96, 2
	s_and_saveexec_b32 s1, vcc_lo
	s_cbranch_execz .LBB76_157
; %bb.154:
	v_and_b32_e32 v96, -8, v95
	s_mov_b32 s6, 0
	s_mov_b64 s[2:3], 9
	s_movk_i32 s7, 0x80
	s_delay_alu instid0(VALU_DEP_1)
	v_sub_nc_u32_e32 v97, 0, v96
.LBB76_155:                             ; =>This Inner Loop Header: Depth=1
	v_mov_b32_e32 v96, s7
	s_lshl_b32 s8, s2, 1
	s_delay_alu instid0(SALU_CYCLE_1)
	s_add_i32 m0, s8, -13
	v_movrels_b32_e32 v107, v34
	ds_load_b128 v[98:101], v96
	ds_load_b128 v[102:105], v96 offset:16
	s_add_i32 m0, s8, -14
	v_movrels_b32_e32 v106, v34
	s_add_i32 m0, s8, -11
	s_waitcnt lgkmcnt(1)
	s_delay_alu instid0(VALU_DEP_1) | instskip(SKIP_4) | instid1(VALU_DEP_1)
	v_fma_f64 v[92:93], v[106:107], v[98:99], v[92:93]
	v_movrels_b32_e32 v99, v34
	s_add_i32 m0, s8, -12
	v_movrels_b32_e32 v98, v34
	s_add_i32 m0, s8, -9
	v_fma_f64 v[92:93], v[98:99], v[100:101], v[92:93]
	v_movrels_b32_e32 v99, v34
	s_add_i32 m0, s8, -10
	v_movrels_b32_e32 v98, v34
	s_add_i32 m0, s8, -7
	s_waitcnt lgkmcnt(0)
	s_delay_alu instid0(VALU_DEP_1)
	v_fma_f64 v[92:93], v[98:99], v[102:103], v[92:93]
	v_movrels_b32_e32 v99, v34
	s_add_i32 m0, s8, -8
	v_movrels_b32_e32 v98, v34
	s_add_i32 m0, s8, -5
	v_movrels_b32_e32 v107, v34
	s_add_i32 m0, s8, -6
	v_movrels_b32_e32 v106, v34
	s_add_i32 m0, s8, -3
	v_fma_f64 v[92:93], v[98:99], v[104:105], v[92:93]
	ds_load_b128 v[98:101], v96 offset:32
	ds_load_b128 v[102:105], v96 offset:48
	s_waitcnt lgkmcnt(1)
	v_fma_f64 v[92:93], v[106:107], v[98:99], v[92:93]
	v_movrels_b32_e32 v99, v34
	s_add_i32 m0, s8, -4
	v_movrels_b32_e32 v98, v34
	s_add_i32 m0, s8, -1
	s_delay_alu instid0(VALU_DEP_1)
	v_fma_f64 v[92:93], v[98:99], v[100:101], v[92:93]
	v_movrels_b32_e32 v99, v34
	s_add_i32 m0, s8, -2
	s_add_u32 s2, s2, 8
	v_movrels_b32_e32 v98, v34
	s_mov_b32 m0, s8
	v_add_nc_u32_e32 v96, s2, v97
	s_addc_u32 s3, s3, 0
	s_add_i32 s8, s2, -7
	s_add_i32 s7, s7, 64
	s_delay_alu instid0(VALU_DEP_1)
	v_cmp_eq_u32_e32 vcc_lo, 9, v96
	v_mov_b32_e32 v96, s8
	s_or_b32 s6, vcc_lo, s6
	s_waitcnt lgkmcnt(0)
	v_fma_f64 v[92:93], v[98:99], v[102:103], v[92:93]
	v_movrels_b32_e32 v99, v35
	v_movrels_b32_e32 v98, v34
	s_delay_alu instid0(VALU_DEP_1)
	v_fma_f64 v[92:93], v[98:99], v[104:105], v[92:93]
	s_and_not1_b32 exec_lo, exec_lo, s6
	s_cbranch_execnz .LBB76_155
; %bb.156:
	s_or_b32 exec_lo, exec_lo, s6
.LBB76_157:
	s_delay_alu instid0(SALU_CYCLE_1) | instskip(SKIP_3) | instid1(VALU_DEP_1)
	s_or_b32 exec_lo, exec_lo, s1
	v_and_b32_e32 v60, 7, v95
	s_mov_b32 s3, 0
	s_mov_b32 s2, exec_lo
	v_cmpx_ne_u32_e32 0, v60
	s_cbranch_execz .LBB76_161
; %bb.158:
	v_lshl_add_u32 v61, v96, 3, 0x70
	v_mov_b32_e32 v62, 0
.LBB76_159:                             ; =>This Inner Loop Header: Depth=1
	v_cmp_eq_u32_e32 vcc_lo, 1, v96
	v_cmp_eq_u32_e64 s1, 2, v96
	v_dual_cndmask_b32 v63, v35, v37 :: v_dual_add_nc_u32 v60, -1, v60
	v_cndmask_b32_e32 v64, v34, v36, vcc_lo
	v_cmp_eq_u32_e32 vcc_lo, 3, v96
	s_delay_alu instid0(VALU_DEP_3) | instskip(NEXT) | instid1(VALU_DEP_3)
	v_cndmask_b32_e64 v63, v63, v39, s1
	v_cndmask_b32_e64 v64, v64, v38, s1
	v_cmp_eq_u32_e64 s1, 4, v96
	s_delay_alu instid0(VALU_DEP_2) | instskip(SKIP_1) | instid1(VALU_DEP_2)
	v_dual_cndmask_b32 v63, v63, v41 :: v_dual_cndmask_b32 v64, v64, v40
	v_cmp_eq_u32_e32 vcc_lo, 5, v96
	v_cndmask_b32_e64 v63, v63, v43, s1
	s_delay_alu instid0(VALU_DEP_3) | instskip(SKIP_1) | instid1(VALU_DEP_2)
	v_cndmask_b32_e64 v64, v64, v42, s1
	v_cmp_eq_u32_e64 s1, 6, v96
	v_dual_cndmask_b32 v63, v63, v45 :: v_dual_cndmask_b32 v64, v64, v44
	v_cmp_eq_u32_e32 vcc_lo, 7, v96
	s_delay_alu instid0(VALU_DEP_2) | instskip(NEXT) | instid1(VALU_DEP_3)
	v_cndmask_b32_e64 v63, v63, v47, s1
	v_cndmask_b32_e64 v64, v64, v46, s1
	v_cmp_eq_u32_e64 s1, 8, v96
	s_delay_alu instid0(VALU_DEP_2) | instskip(SKIP_1) | instid1(VALU_DEP_2)
	v_dual_cndmask_b32 v63, v63, v49 :: v_dual_cndmask_b32 v64, v64, v48
	v_cmp_eq_u32_e32 vcc_lo, 9, v96
	v_cndmask_b32_e64 v65, v63, v51, s1
	s_delay_alu instid0(VALU_DEP_3)
	v_cndmask_b32_e64 v95, v64, v50, s1
	ds_load_b64 v[63:64], v61
	v_cmp_eq_u32_e64 s1, 10, v96
	v_add_nc_u32_e32 v61, 8, v61
	v_cndmask_b32_e32 v65, v65, v53, vcc_lo
	v_cndmask_b32_e32 v95, v95, v52, vcc_lo
	v_cmp_eq_u32_e32 vcc_lo, 11, v96
	s_delay_alu instid0(VALU_DEP_3) | instskip(NEXT) | instid1(VALU_DEP_3)
	v_cndmask_b32_e64 v65, v65, v55, s1
	v_cndmask_b32_e64 v95, v95, v54, s1
	v_cmp_eq_u32_e64 s1, 12, v96
	s_delay_alu instid0(VALU_DEP_3) | instskip(NEXT) | instid1(VALU_DEP_3)
	v_cndmask_b32_e32 v65, v65, v57, vcc_lo
	v_cndmask_b32_e32 v95, v95, v56, vcc_lo
	v_cmp_eq_u32_e32 vcc_lo, 0, v60
	s_delay_alu instid0(VALU_DEP_3) | instskip(NEXT) | instid1(VALU_DEP_3)
	v_cndmask_b32_e64 v98, v65, v59, s1
	v_cndmask_b32_e64 v97, v95, v58, s1
	v_add_co_u32 v96, s1, v96, 1
	s_delay_alu instid0(VALU_DEP_1) | instskip(SKIP_1) | instid1(VALU_DEP_3)
	v_add_co_ci_u32_e64 v62, s1, 0, v62, s1
	s_waitcnt lgkmcnt(0)
	v_fma_f64 v[92:93], v[97:98], v[63:64], v[92:93]
	s_or_b32 s3, vcc_lo, s3
	s_delay_alu instid0(SALU_CYCLE_1)
	s_and_not1_b32 exec_lo, exec_lo, s3
	s_cbranch_execnz .LBB76_159
; %bb.160:
	s_or_b32 exec_lo, exec_lo, s3
.LBB76_161:
	s_delay_alu instid0(SALU_CYCLE_1)
	s_or_b32 exec_lo, exec_lo, s2
.LBB76_162:
	s_delay_alu instid0(SALU_CYCLE_1)
	s_or_b32 exec_lo, exec_lo, s5
	v_mov_b32_e32 v36, 0
	ds_load_b64 v[36:37], v36 offset:8
	s_waitcnt lgkmcnt(0)
	v_mul_f64 v[36:37], v[92:93], v[36:37]
.LBB76_163:
	s_or_b32 exec_lo, exec_lo, s4
	s_mov_b32 s2, 0
	s_mov_b32 s3, exec_lo
	ds_store_b64 v94, v[34:35]
	s_waitcnt lgkmcnt(0)
	s_barrier
	buffer_gl0_inv
	v_cmpx_ne_u32_e32 0, v0
	s_cbranch_execz .LBB76_179
; %bb.164:
	s_and_not1_b32 vcc_lo, exec_lo, s13
	s_cbranch_vccnz .LBB76_166
; %bb.165:
	v_cmp_eq_u32_e32 vcc_lo, 1, v0
	v_dual_cndmask_b32 v92, v35, v37 :: v_dual_cndmask_b32 v93, v34, v36
	v_cmp_eq_u32_e32 vcc_lo, 2, v0
	s_delay_alu instid0(VALU_DEP_2) | instskip(SKIP_1) | instid1(VALU_DEP_2)
	v_dual_cndmask_b32 v92, v92, v39 :: v_dual_cndmask_b32 v93, v93, v38
	v_cmp_eq_u32_e32 vcc_lo, 3, v0
	v_dual_cndmask_b32 v92, v92, v41 :: v_dual_cndmask_b32 v93, v93, v40
	v_cmp_eq_u32_e32 vcc_lo, 4, v0
	s_delay_alu instid0(VALU_DEP_2) | instskip(SKIP_1) | instid1(VALU_DEP_2)
	v_dual_cndmask_b32 v92, v92, v43 :: v_dual_cndmask_b32 v93, v93, v42
	;; [unrolled: 5-line block ×4, first 2 shown]
	v_cmp_eq_u32_e32 vcc_lo, 9, v0
	v_dual_cndmask_b32 v95, v92, v53 :: v_dual_cndmask_b32 v96, v93, v52
	v_cmp_eq_u32_e32 vcc_lo, 10, v0
	ds_load_b64 v[92:93], v94
	v_dual_cndmask_b32 v95, v95, v55 :: v_dual_cndmask_b32 v96, v96, v54
	v_cmp_eq_u32_e32 vcc_lo, 11, v0
	s_delay_alu instid0(VALU_DEP_2) | instskip(NEXT) | instid1(VALU_DEP_3)
	v_cndmask_b32_e32 v95, v95, v57, vcc_lo
	v_cndmask_b32_e32 v97, v96, v56, vcc_lo
	v_cmp_eq_u32_e32 vcc_lo, 12, v0
	s_delay_alu instid0(VALU_DEP_2) | instskip(SKIP_1) | instid1(VALU_DEP_1)
	v_dual_cndmask_b32 v96, v95, v59 :: v_dual_cndmask_b32 v95, v97, v58
	s_waitcnt lgkmcnt(0)
	v_mul_f64 v[92:93], v[95:96], v[92:93]
	s_cbranch_execz .LBB76_167
	s_branch .LBB76_168
.LBB76_166:
                                        ; implicit-def: $vgpr92_vgpr93
.LBB76_167:
	ds_load_b64 v[92:93], v94
.LBB76_168:
	s_and_saveexec_b32 s4, s0
	s_cbranch_execz .LBB76_178
; %bb.169:
	v_dual_mov_b32 v97, 1 :: v_dual_add_nc_u32 v96, -2, v0
	v_add_nc_u32_e32 v95, -1, v0
	s_mov_b32 s5, exec_lo
	s_delay_alu instid0(VALU_DEP_2)
	v_cmpx_lt_u32_e32 6, v96
	s_cbranch_execz .LBB76_173
; %bb.170:
	s_delay_alu instid0(VALU_DEP_2) | instskip(SKIP_3) | instid1(VALU_DEP_1)
	v_and_b32_e32 v96, -8, v95
	s_mov_b32 s6, 0
	s_mov_b64 s[0:1], 8
	s_movk_i32 s7, 0x78
	v_sub_nc_u32_e32 v96, 0, v96
.LBB76_171:                             ; =>This Inner Loop Header: Depth=1
	v_mov_b32_e32 v107, s7
	s_lshl_b32 s8, s0, 1
	s_delay_alu instid0(SALU_CYCLE_1)
	s_add_i32 m0, s8, -13
	v_movrels_b32_e32 v106, v34
	ds_load_2addr_b64 v[97:100], v107 offset1:1
	ds_load_2addr_b64 v[101:104], v107 offset0:2 offset1:3
	s_add_i32 m0, s8, -14
	v_movrels_b32_e32 v105, v34
	s_add_i32 m0, s8, -11
	s_waitcnt lgkmcnt(1)
	s_delay_alu instid0(VALU_DEP_1) | instskip(SKIP_4) | instid1(VALU_DEP_1)
	v_fma_f64 v[92:93], v[105:106], v[97:98], v[92:93]
	v_movrels_b32_e32 v98, v34
	s_add_i32 m0, s8, -12
	v_movrels_b32_e32 v97, v34
	s_add_i32 m0, s8, -9
	v_fma_f64 v[92:93], v[97:98], v[99:100], v[92:93]
	v_movrels_b32_e32 v98, v34
	s_add_i32 m0, s8, -10
	v_movrels_b32_e32 v97, v34
	s_add_i32 m0, s8, -7
	s_waitcnt lgkmcnt(0)
	s_delay_alu instid0(VALU_DEP_1)
	v_fma_f64 v[92:93], v[97:98], v[101:102], v[92:93]
	v_movrels_b32_e32 v98, v34
	s_add_i32 m0, s8, -8
	v_movrels_b32_e32 v97, v34
	s_add_i32 m0, s8, -5
	;; [unrolled: 2-line block ×4, first 2 shown]
	v_fma_f64 v[92:93], v[97:98], v[103:104], v[92:93]
	ds_load_2addr_b64 v[97:100], v107 offset0:4 offset1:5
	ds_load_2addr_b64 v[101:104], v107 offset0:6 offset1:7
	s_waitcnt lgkmcnt(1)
	v_fma_f64 v[92:93], v[105:106], v[97:98], v[92:93]
	v_movrels_b32_e32 v98, v34
	s_add_i32 m0, s8, -4
	v_movrels_b32_e32 v97, v34
	s_add_i32 m0, s8, -1
	s_delay_alu instid0(VALU_DEP_1)
	v_fma_f64 v[92:93], v[97:98], v[99:100], v[92:93]
	v_movrels_b32_e32 v98, v34
	s_add_i32 m0, s8, -2
	s_add_u32 s0, s0, 8
	v_movrels_b32_e32 v97, v34
	s_mov_b32 m0, s8
	s_addc_u32 s1, s1, 0
	s_add_i32 s8, s0, -7
	s_add_i32 s7, s7, 64
	s_waitcnt lgkmcnt(0)
	s_delay_alu instid0(VALU_DEP_3) | instskip(SKIP_2) | instid1(VALU_DEP_1)
	v_fma_f64 v[92:93], v[97:98], v[101:102], v[92:93]
	v_movrels_b32_e32 v98, v35
	v_movrels_b32_e32 v97, v34
	v_fma_f64 v[92:93], v[97:98], v[103:104], v[92:93]
	v_add_nc_u32_e32 v97, s0, v96
	s_delay_alu instid0(VALU_DEP_1) | instskip(SKIP_2) | instid1(SALU_CYCLE_1)
	v_cmp_eq_u32_e32 vcc_lo, 8, v97
	v_mov_b32_e32 v97, s8
	s_or_b32 s6, vcc_lo, s6
	s_and_not1_b32 exec_lo, exec_lo, s6
	s_cbranch_execnz .LBB76_171
; %bb.172:
	s_or_b32 exec_lo, exec_lo, s6
.LBB76_173:
	s_delay_alu instid0(SALU_CYCLE_1) | instskip(SKIP_3) | instid1(VALU_DEP_1)
	s_or_b32 exec_lo, exec_lo, s5
	v_and_b32_e32 v60, 7, v95
	s_mov_b32 s5, 0
	s_mov_b32 s1, exec_lo
	v_cmpx_ne_u32_e32 0, v60
	s_cbranch_execz .LBB76_177
; %bb.174:
	v_lshl_add_u32 v61, v97, 3, 0x70
	v_mov_b32_e32 v62, 0
.LBB76_175:                             ; =>This Inner Loop Header: Depth=1
	v_cmp_eq_u32_e32 vcc_lo, 1, v97
	v_cmp_eq_u32_e64 s0, 2, v97
	v_dual_cndmask_b32 v63, v35, v37 :: v_dual_add_nc_u32 v60, -1, v60
	v_cndmask_b32_e32 v64, v34, v36, vcc_lo
	v_cmp_eq_u32_e32 vcc_lo, 3, v97
	s_delay_alu instid0(VALU_DEP_3) | instskip(NEXT) | instid1(VALU_DEP_3)
	v_cndmask_b32_e64 v63, v63, v39, s0
	v_cndmask_b32_e64 v64, v64, v38, s0
	v_cmp_eq_u32_e64 s0, 4, v97
	s_delay_alu instid0(VALU_DEP_2) | instskip(SKIP_1) | instid1(VALU_DEP_2)
	v_dual_cndmask_b32 v63, v63, v41 :: v_dual_cndmask_b32 v64, v64, v40
	v_cmp_eq_u32_e32 vcc_lo, 5, v97
	v_cndmask_b32_e64 v63, v63, v43, s0
	s_delay_alu instid0(VALU_DEP_3) | instskip(SKIP_1) | instid1(VALU_DEP_2)
	v_cndmask_b32_e64 v64, v64, v42, s0
	v_cmp_eq_u32_e64 s0, 6, v97
	v_dual_cndmask_b32 v63, v63, v45 :: v_dual_cndmask_b32 v64, v64, v44
	v_cmp_eq_u32_e32 vcc_lo, 7, v97
	s_delay_alu instid0(VALU_DEP_2) | instskip(NEXT) | instid1(VALU_DEP_3)
	v_cndmask_b32_e64 v63, v63, v47, s0
	v_cndmask_b32_e64 v64, v64, v46, s0
	v_cmp_eq_u32_e64 s0, 8, v97
	s_delay_alu instid0(VALU_DEP_2) | instskip(SKIP_1) | instid1(VALU_DEP_2)
	v_dual_cndmask_b32 v63, v63, v49 :: v_dual_cndmask_b32 v64, v64, v48
	v_cmp_eq_u32_e32 vcc_lo, 9, v97
	v_cndmask_b32_e64 v65, v63, v51, s0
	s_delay_alu instid0(VALU_DEP_3)
	v_cndmask_b32_e64 v95, v64, v50, s0
	ds_load_b64 v[63:64], v61
	v_cmp_eq_u32_e64 s0, 10, v97
	v_add_nc_u32_e32 v61, 8, v61
	v_cndmask_b32_e32 v65, v65, v53, vcc_lo
	v_cndmask_b32_e32 v95, v95, v52, vcc_lo
	v_cmp_eq_u32_e32 vcc_lo, 11, v97
	s_delay_alu instid0(VALU_DEP_3) | instskip(NEXT) | instid1(VALU_DEP_3)
	v_cndmask_b32_e64 v65, v65, v55, s0
	v_cndmask_b32_e64 v95, v95, v54, s0
	v_cmp_eq_u32_e64 s0, 12, v97
	s_delay_alu instid0(VALU_DEP_3) | instskip(NEXT) | instid1(VALU_DEP_3)
	v_cndmask_b32_e32 v65, v65, v57, vcc_lo
	v_cndmask_b32_e32 v95, v95, v56, vcc_lo
	v_cmp_eq_u32_e32 vcc_lo, 0, v60
	s_delay_alu instid0(VALU_DEP_3) | instskip(NEXT) | instid1(VALU_DEP_3)
	v_cndmask_b32_e64 v96, v65, v59, s0
	v_cndmask_b32_e64 v95, v95, v58, s0
	v_add_co_u32 v97, s0, v97, 1
	s_delay_alu instid0(VALU_DEP_1) | instskip(SKIP_1) | instid1(VALU_DEP_3)
	v_add_co_ci_u32_e64 v62, s0, 0, v62, s0
	s_waitcnt lgkmcnt(0)
	v_fma_f64 v[92:93], v[95:96], v[63:64], v[92:93]
	s_or_b32 s5, vcc_lo, s5
	s_delay_alu instid0(SALU_CYCLE_1)
	s_and_not1_b32 exec_lo, exec_lo, s5
	s_cbranch_execnz .LBB76_175
; %bb.176:
	s_or_b32 exec_lo, exec_lo, s5
.LBB76_177:
	s_delay_alu instid0(SALU_CYCLE_1)
	s_or_b32 exec_lo, exec_lo, s1
.LBB76_178:
	s_delay_alu instid0(SALU_CYCLE_1)
	s_or_b32 exec_lo, exec_lo, s4
	v_mov_b32_e32 v34, 0
	ds_load_b64 v[34:35], v34
	s_waitcnt lgkmcnt(0)
	v_mul_f64 v[34:35], v[92:93], v[34:35]
.LBB76_179:
	s_or_b32 exec_lo, exec_lo, s3
	s_delay_alu instid0(SALU_CYCLE_1)
	s_and_b32 vcc_lo, exec_lo, s2
	s_cbranch_vccz .LBB76_307
.LBB76_180:
	v_cmp_eq_u32_e64 s0, 0, v0
	s_waitcnt vmcnt(11)
	ds_store_b64 v94, v[4:5]
	s_waitcnt vmcnt(0) lgkmcnt(0)
	s_barrier
	buffer_gl0_inv
	s_and_saveexec_b32 s1, s0
	s_cbranch_execz .LBB76_186
; %bb.181:
	s_and_b32 vcc_lo, exec_lo, s13
	s_cbranch_vccz .LBB76_183
; %bb.182:
	v_cmp_eq_u32_e32 vcc_lo, 1, v0
	v_dual_cndmask_b32 v5, v3, v5 :: v_dual_cndmask_b32 v4, v2, v4
	v_cmp_eq_u32_e32 vcc_lo, 2, v0
	s_delay_alu instid0(VALU_DEP_2) | instskip(SKIP_1) | instid1(VALU_DEP_2)
	v_dual_cndmask_b32 v5, v5, v7 :: v_dual_cndmask_b32 v4, v4, v6
	v_cmp_eq_u32_e32 vcc_lo, 3, v0
	v_dual_cndmask_b32 v5, v5, v9 :: v_dual_cndmask_b32 v4, v4, v8
	v_cmp_eq_u32_e32 vcc_lo, 4, v0
	s_delay_alu instid0(VALU_DEP_2) | instskip(SKIP_1) | instid1(VALU_DEP_2)
	v_dual_cndmask_b32 v5, v5, v11 :: v_dual_cndmask_b32 v4, v4, v10
	;; [unrolled: 5-line block ×4, first 2 shown]
	v_cmp_eq_u32_e32 vcc_lo, 9, v0
	v_dual_cndmask_b32 v28, v5, v21 :: v_dual_cndmask_b32 v29, v4, v20
	v_cmp_eq_u32_e32 vcc_lo, 10, v0
	ds_load_b64 v[4:5], v94
	v_dual_cndmask_b32 v28, v28, v23 :: v_dual_cndmask_b32 v29, v29, v22
	v_cmp_eq_u32_e32 vcc_lo, 11, v0
	s_delay_alu instid0(VALU_DEP_2) | instskip(NEXT) | instid1(VALU_DEP_3)
	v_cndmask_b32_e32 v28, v28, v25, vcc_lo
	v_cndmask_b32_e32 v30, v29, v24, vcc_lo
	v_cmp_eq_u32_e32 vcc_lo, 12, v0
	s_delay_alu instid0(VALU_DEP_2) | instskip(SKIP_1) | instid1(VALU_DEP_1)
	v_dual_cndmask_b32 v29, v28, v27 :: v_dual_cndmask_b32 v28, v30, v26
	s_waitcnt lgkmcnt(0)
	v_mul_f64 v[4:5], v[28:29], v[4:5]
	s_cbranch_execz .LBB76_184
	s_branch .LBB76_185
.LBB76_183:
                                        ; implicit-def: $vgpr4_vgpr5
.LBB76_184:
	ds_load_b64 v[4:5], v94
.LBB76_185:
	v_mov_b32_e32 v28, 0
	ds_load_b64 v[28:29], v28 offset:8
	s_waitcnt lgkmcnt(0)
	v_mul_f64 v[4:5], v[4:5], v[28:29]
.LBB76_186:
	s_or_b32 exec_lo, exec_lo, s1
	v_add_nc_u32_e32 v35, 1, v0
	v_cndmask_b32_e64 v34, 0, 1, s13
	s_mov_b32 s1, exec_lo
	ds_store_b64 v94, v[6:7]
	s_waitcnt lgkmcnt(0)
	s_barrier
	buffer_gl0_inv
	v_cmpx_gt_u32_e32 2, v0
	s_cbranch_execz .LBB76_194
; %bb.187:
	s_and_not1_b32 vcc_lo, exec_lo, s13
	s_cbranch_vccnz .LBB76_189
; %bb.188:
	v_cmp_eq_u32_e32 vcc_lo, 1, v0
	v_dual_cndmask_b32 v28, v3, v5 :: v_dual_cndmask_b32 v29, v2, v4
	v_cmp_eq_u32_e32 vcc_lo, 2, v0
	s_delay_alu instid0(VALU_DEP_2) | instskip(SKIP_1) | instid1(VALU_DEP_2)
	v_dual_cndmask_b32 v28, v28, v7 :: v_dual_cndmask_b32 v29, v29, v6
	v_cmp_eq_u32_e32 vcc_lo, 3, v0
	v_dual_cndmask_b32 v28, v28, v9 :: v_dual_cndmask_b32 v29, v29, v8
	v_cmp_eq_u32_e32 vcc_lo, 4, v0
	s_delay_alu instid0(VALU_DEP_2) | instskip(SKIP_1) | instid1(VALU_DEP_2)
	v_dual_cndmask_b32 v28, v28, v11 :: v_dual_cndmask_b32 v29, v29, v10
	;; [unrolled: 5-line block ×4, first 2 shown]
	v_cmp_eq_u32_e32 vcc_lo, 9, v0
	v_dual_cndmask_b32 v30, v28, v21 :: v_dual_cndmask_b32 v31, v29, v20
	v_cmp_eq_u32_e32 vcc_lo, 10, v0
	ds_load_b64 v[28:29], v94
	v_dual_cndmask_b32 v30, v30, v23 :: v_dual_cndmask_b32 v31, v31, v22
	v_cmp_eq_u32_e32 vcc_lo, 11, v0
	s_delay_alu instid0(VALU_DEP_2) | instskip(NEXT) | instid1(VALU_DEP_3)
	v_cndmask_b32_e32 v30, v30, v25, vcc_lo
	v_cndmask_b32_e32 v32, v31, v24, vcc_lo
	v_cmp_eq_u32_e32 vcc_lo, 12, v0
	s_delay_alu instid0(VALU_DEP_2) | instskip(SKIP_1) | instid1(VALU_DEP_1)
	v_dual_cndmask_b32 v31, v30, v27 :: v_dual_cndmask_b32 v30, v32, v26
	s_waitcnt lgkmcnt(0)
	v_mul_f64 v[28:29], v[30:31], v[28:29]
	s_cbranch_execz .LBB76_190
	s_branch .LBB76_191
.LBB76_189:
                                        ; implicit-def: $vgpr28_vgpr29
.LBB76_190:
	ds_load_b64 v[28:29], v94
.LBB76_191:
	s_and_saveexec_b32 s2, s0
	s_cbranch_execz .LBB76_193
; %bb.192:
	v_cmp_eq_u32_e32 vcc_lo, 1, v35
	v_dual_cndmask_b32 v30, v3, v5 :: v_dual_cndmask_b32 v31, v2, v4
	v_cmp_eq_u32_e32 vcc_lo, 2, v35
	s_delay_alu instid0(VALU_DEP_2) | instskip(SKIP_1) | instid1(VALU_DEP_2)
	v_dual_cndmask_b32 v7, v30, v7 :: v_dual_cndmask_b32 v6, v31, v6
	v_cmp_eq_u32_e32 vcc_lo, 3, v35
	v_dual_cndmask_b32 v7, v7, v9 :: v_dual_cndmask_b32 v6, v6, v8
	v_cmp_eq_u32_e32 vcc_lo, 4, v35
	s_delay_alu instid0(VALU_DEP_2) | instskip(SKIP_1) | instid1(VALU_DEP_2)
	v_dual_cndmask_b32 v7, v7, v11 :: v_dual_cndmask_b32 v6, v6, v10
	;; [unrolled: 5-line block ×4, first 2 shown]
	v_cmp_eq_u32_e32 vcc_lo, 9, v35
	v_dual_cndmask_b32 v30, v7, v21 :: v_dual_cndmask_b32 v31, v6, v20
	v_cmp_eq_u32_e32 vcc_lo, 10, v35
	ds_load_b64 v[6:7], v94 offset:8
	v_dual_cndmask_b32 v30, v30, v23 :: v_dual_cndmask_b32 v31, v31, v22
	v_cmp_eq_u32_e32 vcc_lo, 11, v35
	s_delay_alu instid0(VALU_DEP_2) | instskip(NEXT) | instid1(VALU_DEP_3)
	v_cndmask_b32_e32 v30, v30, v25, vcc_lo
	v_cndmask_b32_e32 v32, v31, v24, vcc_lo
	v_cmp_eq_u32_e32 vcc_lo, 12, v35
	s_delay_alu instid0(VALU_DEP_2) | instskip(SKIP_1) | instid1(VALU_DEP_1)
	v_dual_cndmask_b32 v31, v30, v27 :: v_dual_cndmask_b32 v30, v32, v26
	s_waitcnt lgkmcnt(0)
	v_fma_f64 v[28:29], v[30:31], v[6:7], v[28:29]
.LBB76_193:
	s_or_b32 exec_lo, exec_lo, s2
	v_mov_b32_e32 v6, 0
	ds_load_b64 v[6:7], v6 offset:16
	s_waitcnt lgkmcnt(0)
	v_mul_f64 v[6:7], v[28:29], v[6:7]
.LBB76_194:
	s_or_b32 exec_lo, exec_lo, s1
	v_cmp_gt_u32_e64 s1, 3, v0
	ds_store_b64 v94, v[8:9]
	s_waitcnt lgkmcnt(0)
	s_barrier
	buffer_gl0_inv
	s_and_saveexec_b32 s2, s1
	s_cbranch_execz .LBB76_204
; %bb.195:
	v_cmp_ne_u32_e32 vcc_lo, 1, v34
	s_cbranch_vccnz .LBB76_197
; %bb.196:
	v_cmp_eq_u32_e32 vcc_lo, 1, v0
	v_dual_cndmask_b32 v28, v3, v5 :: v_dual_cndmask_b32 v29, v2, v4
	v_cmp_eq_u32_e32 vcc_lo, 2, v0
	s_delay_alu instid0(VALU_DEP_2) | instskip(SKIP_1) | instid1(VALU_DEP_2)
	v_dual_cndmask_b32 v28, v28, v7 :: v_dual_cndmask_b32 v29, v29, v6
	v_cmp_eq_u32_e32 vcc_lo, 3, v0
	v_dual_cndmask_b32 v28, v28, v9 :: v_dual_cndmask_b32 v29, v29, v8
	v_cmp_eq_u32_e32 vcc_lo, 4, v0
	s_delay_alu instid0(VALU_DEP_2) | instskip(SKIP_1) | instid1(VALU_DEP_2)
	v_dual_cndmask_b32 v28, v28, v11 :: v_dual_cndmask_b32 v29, v29, v10
	v_cmp_eq_u32_e32 vcc_lo, 5, v0
	v_dual_cndmask_b32 v28, v28, v13 :: v_dual_cndmask_b32 v29, v29, v12
	v_cmp_eq_u32_e32 vcc_lo, 6, v0
	s_delay_alu instid0(VALU_DEP_2) | instskip(SKIP_1) | instid1(VALU_DEP_2)
	v_dual_cndmask_b32 v28, v28, v15 :: v_dual_cndmask_b32 v29, v29, v14
	v_cmp_eq_u32_e32 vcc_lo, 7, v0
	v_dual_cndmask_b32 v28, v28, v17 :: v_dual_cndmask_b32 v29, v29, v16
	v_cmp_eq_u32_e32 vcc_lo, 8, v0
	s_delay_alu instid0(VALU_DEP_2) | instskip(SKIP_1) | instid1(VALU_DEP_2)
	v_dual_cndmask_b32 v28, v28, v19 :: v_dual_cndmask_b32 v29, v29, v18
	v_cmp_eq_u32_e32 vcc_lo, 9, v0
	v_dual_cndmask_b32 v30, v28, v21 :: v_dual_cndmask_b32 v31, v29, v20
	v_cmp_eq_u32_e32 vcc_lo, 10, v0
	ds_load_b64 v[28:29], v94
	v_dual_cndmask_b32 v30, v30, v23 :: v_dual_cndmask_b32 v31, v31, v22
	v_cmp_eq_u32_e32 vcc_lo, 11, v0
	s_delay_alu instid0(VALU_DEP_2) | instskip(NEXT) | instid1(VALU_DEP_3)
	v_cndmask_b32_e32 v30, v30, v25, vcc_lo
	v_cndmask_b32_e32 v32, v31, v24, vcc_lo
	v_cmp_eq_u32_e32 vcc_lo, 12, v0
	s_delay_alu instid0(VALU_DEP_2) | instskip(SKIP_1) | instid1(VALU_DEP_1)
	v_dual_cndmask_b32 v31, v30, v27 :: v_dual_cndmask_b32 v30, v32, v26
	s_waitcnt lgkmcnt(0)
	v_mul_f64 v[28:29], v[30:31], v[28:29]
	s_cbranch_execz .LBB76_198
	s_branch .LBB76_199
.LBB76_197:
                                        ; implicit-def: $vgpr28_vgpr29
.LBB76_198:
	ds_load_b64 v[28:29], v94
.LBB76_199:
	s_mov_b32 s3, exec_lo
	v_cmpx_ne_u32_e32 2, v0
	s_cbranch_execz .LBB76_203
; %bb.200:
	v_cmp_eq_u32_e32 vcc_lo, 1, v35
	v_dual_cndmask_b32 v30, v3, v5 :: v_dual_cndmask_b32 v31, v2, v4
	v_cmp_eq_u32_e32 vcc_lo, 2, v35
	s_delay_alu instid0(VALU_DEP_2) | instskip(SKIP_1) | instid1(VALU_DEP_2)
	v_dual_cndmask_b32 v30, v30, v7 :: v_dual_cndmask_b32 v31, v31, v6
	v_cmp_eq_u32_e32 vcc_lo, 3, v35
	v_dual_cndmask_b32 v9, v30, v9 :: v_dual_cndmask_b32 v8, v31, v8
	v_cmp_eq_u32_e32 vcc_lo, 4, v35
	s_delay_alu instid0(VALU_DEP_2) | instskip(SKIP_1) | instid1(VALU_DEP_2)
	v_dual_cndmask_b32 v9, v9, v11 :: v_dual_cndmask_b32 v8, v8, v10
	;; [unrolled: 5-line block ×4, first 2 shown]
	v_cmp_eq_u32_e32 vcc_lo, 9, v35
	v_dual_cndmask_b32 v30, v9, v21 :: v_dual_cndmask_b32 v31, v8, v20
	v_cmp_eq_u32_e32 vcc_lo, 10, v35
	ds_load_b64 v[8:9], v94 offset:8
	v_dual_cndmask_b32 v30, v30, v23 :: v_dual_cndmask_b32 v31, v31, v22
	v_cmp_eq_u32_e32 vcc_lo, 11, v35
	s_delay_alu instid0(VALU_DEP_2) | instskip(NEXT) | instid1(VALU_DEP_3)
	v_cndmask_b32_e32 v30, v30, v25, vcc_lo
	v_cndmask_b32_e32 v32, v31, v24, vcc_lo
	v_cmp_eq_u32_e32 vcc_lo, 12, v35
	s_delay_alu instid0(VALU_DEP_2) | instskip(SKIP_1) | instid1(VALU_DEP_1)
	v_dual_cndmask_b32 v31, v30, v27 :: v_dual_cndmask_b32 v30, v32, v26
	s_waitcnt lgkmcnt(0)
	v_fma_f64 v[28:29], v[30:31], v[8:9], v[28:29]
	s_and_saveexec_b32 s4, s0
	s_cbranch_execz .LBB76_202
; %bb.201:
	v_mov_b32_e32 v8, 0
	ds_load_b64 v[8:9], v8 offset:128
	s_waitcnt lgkmcnt(0)
	v_fma_f64 v[28:29], v[6:7], v[8:9], v[28:29]
.LBB76_202:
	s_or_b32 exec_lo, exec_lo, s4
.LBB76_203:
	s_delay_alu instid0(SALU_CYCLE_1)
	s_or_b32 exec_lo, exec_lo, s3
	v_mov_b32_e32 v8, 0
	ds_load_b64 v[8:9], v8 offset:24
	s_waitcnt lgkmcnt(0)
	v_mul_f64 v[8:9], v[28:29], v[8:9]
.LBB76_204:
	s_or_b32 exec_lo, exec_lo, s2
	s_delay_alu instid0(SALU_CYCLE_1)
	s_mov_b32 s3, exec_lo
	ds_store_b64 v94, v[10:11]
	s_waitcnt lgkmcnt(0)
	s_barrier
	buffer_gl0_inv
	v_cmpx_gt_u32_e32 4, v0
	s_cbranch_execz .LBB76_214
; %bb.205:
	v_cmp_ne_u32_e32 vcc_lo, 1, v34
	s_cbranch_vccnz .LBB76_207
; %bb.206:
	v_cmp_eq_u32_e32 vcc_lo, 1, v0
	v_dual_cndmask_b32 v28, v3, v5 :: v_dual_cndmask_b32 v29, v2, v4
	v_cmp_eq_u32_e32 vcc_lo, 2, v0
	s_delay_alu instid0(VALU_DEP_2) | instskip(SKIP_1) | instid1(VALU_DEP_2)
	v_dual_cndmask_b32 v28, v28, v7 :: v_dual_cndmask_b32 v29, v29, v6
	v_cmp_eq_u32_e32 vcc_lo, 3, v0
	v_dual_cndmask_b32 v28, v28, v9 :: v_dual_cndmask_b32 v29, v29, v8
	v_cmp_eq_u32_e32 vcc_lo, 4, v0
	s_delay_alu instid0(VALU_DEP_2) | instskip(SKIP_1) | instid1(VALU_DEP_2)
	v_dual_cndmask_b32 v28, v28, v11 :: v_dual_cndmask_b32 v29, v29, v10
	;; [unrolled: 5-line block ×4, first 2 shown]
	v_cmp_eq_u32_e32 vcc_lo, 9, v0
	v_dual_cndmask_b32 v30, v28, v21 :: v_dual_cndmask_b32 v31, v29, v20
	v_cmp_eq_u32_e32 vcc_lo, 10, v0
	ds_load_b64 v[28:29], v94
	v_dual_cndmask_b32 v30, v30, v23 :: v_dual_cndmask_b32 v31, v31, v22
	v_cmp_eq_u32_e32 vcc_lo, 11, v0
	s_delay_alu instid0(VALU_DEP_2) | instskip(NEXT) | instid1(VALU_DEP_3)
	v_cndmask_b32_e32 v30, v30, v25, vcc_lo
	v_cndmask_b32_e32 v32, v31, v24, vcc_lo
	v_cmp_eq_u32_e32 vcc_lo, 12, v0
	s_delay_alu instid0(VALU_DEP_2) | instskip(SKIP_1) | instid1(VALU_DEP_1)
	v_dual_cndmask_b32 v31, v30, v27 :: v_dual_cndmask_b32 v30, v32, v26
	s_waitcnt lgkmcnt(0)
	v_mul_f64 v[28:29], v[30:31], v[28:29]
	s_cbranch_execz .LBB76_208
	s_branch .LBB76_209
.LBB76_207:
                                        ; implicit-def: $vgpr28_vgpr29
.LBB76_208:
	ds_load_b64 v[28:29], v94
.LBB76_209:
	s_mov_b32 s4, exec_lo
	v_cmpx_ne_u32_e32 3, v0
	s_cbranch_execz .LBB76_213
; %bb.210:
	v_lshl_add_u32 v32, v0, 3, 0x78
	v_dual_mov_b32 v31, v1 :: v_dual_mov_b32 v30, v0
	s_mov_b32 s5, 0
.LBB76_211:                             ; =>This Inner Loop Header: Depth=1
	s_delay_alu instid0(VALU_DEP_1) | instskip(NEXT) | instid1(VALU_DEP_2)
	v_add_co_u32 v30, vcc_lo, v30, 1
	v_add_co_ci_u32_e32 v31, vcc_lo, 0, v31, vcc_lo
	s_delay_alu instid0(VALU_DEP_2) | instskip(SKIP_3) | instid1(VALU_DEP_2)
	v_cmp_eq_u32_e32 vcc_lo, 1, v30
	v_cmp_eq_u32_e64 s2, 2, v30
	v_dual_cndmask_b32 v33, v3, v5 :: v_dual_cndmask_b32 v36, v2, v4
	v_cmp_eq_u32_e32 vcc_lo, 3, v30
	v_cndmask_b32_e64 v33, v33, v7, s2
	s_delay_alu instid0(VALU_DEP_3) | instskip(SKIP_1) | instid1(VALU_DEP_2)
	v_cndmask_b32_e64 v36, v36, v6, s2
	v_cmp_eq_u32_e64 s2, 4, v30
	v_dual_cndmask_b32 v33, v33, v9 :: v_dual_cndmask_b32 v36, v36, v8
	v_cmp_eq_u32_e32 vcc_lo, 5, v30
	s_delay_alu instid0(VALU_DEP_2) | instskip(NEXT) | instid1(VALU_DEP_3)
	v_cndmask_b32_e64 v33, v33, v11, s2
	v_cndmask_b32_e64 v36, v36, v10, s2
	v_cmp_eq_u32_e64 s2, 6, v30
	s_delay_alu instid0(VALU_DEP_2) | instskip(SKIP_1) | instid1(VALU_DEP_2)
	v_dual_cndmask_b32 v33, v33, v13 :: v_dual_cndmask_b32 v36, v36, v12
	v_cmp_eq_u32_e32 vcc_lo, 7, v30
	v_cndmask_b32_e64 v33, v33, v15, s2
	s_delay_alu instid0(VALU_DEP_3) | instskip(SKIP_1) | instid1(VALU_DEP_2)
	v_cndmask_b32_e64 v36, v36, v14, s2
	v_cmp_eq_u32_e64 s2, 8, v30
	v_dual_cndmask_b32 v33, v33, v17 :: v_dual_cndmask_b32 v36, v36, v16
	v_cmp_eq_u32_e32 vcc_lo, 9, v30
	s_delay_alu instid0(VALU_DEP_2) | instskip(NEXT) | instid1(VALU_DEP_3)
	v_cndmask_b32_e64 v33, v33, v19, s2
	v_cndmask_b32_e64 v38, v36, v18, s2
	ds_load_b64 v[36:37], v32
	v_cmp_eq_u32_e64 s2, 10, v30
	v_dual_cndmask_b32 v33, v33, v21 :: v_dual_add_nc_u32 v32, 8, v32
	v_cndmask_b32_e32 v38, v38, v20, vcc_lo
	v_cmp_eq_u32_e32 vcc_lo, 11, v30
	s_delay_alu instid0(VALU_DEP_3) | instskip(NEXT) | instid1(VALU_DEP_3)
	v_cndmask_b32_e64 v33, v33, v23, s2
	v_cndmask_b32_e64 v38, v38, v22, s2
	v_cmp_eq_u32_e64 s2, 12, v30
	s_delay_alu instid0(VALU_DEP_2) | instskip(SKIP_1) | instid1(VALU_DEP_2)
	v_dual_cndmask_b32 v33, v33, v25 :: v_dual_cndmask_b32 v38, v38, v24
	v_cmp_lt_u32_e32 vcc_lo, 2, v30
	v_cndmask_b32_e64 v39, v33, v27, s2
	s_delay_alu instid0(VALU_DEP_3) | instskip(SKIP_2) | instid1(VALU_DEP_1)
	v_cndmask_b32_e64 v38, v38, v26, s2
	s_or_b32 s5, vcc_lo, s5
	s_waitcnt lgkmcnt(0)
	v_fma_f64 v[28:29], v[38:39], v[36:37], v[28:29]
	s_and_not1_b32 exec_lo, exec_lo, s5
	s_cbranch_execnz .LBB76_211
; %bb.212:
	s_or_b32 exec_lo, exec_lo, s5
.LBB76_213:
	s_delay_alu instid0(SALU_CYCLE_1)
	s_or_b32 exec_lo, exec_lo, s4
	v_mov_b32_e32 v10, 0
	ds_load_b64 v[10:11], v10 offset:32
	s_waitcnt lgkmcnt(0)
	v_mul_f64 v[10:11], v[28:29], v[10:11]
.LBB76_214:
	s_or_b32 exec_lo, exec_lo, s3
	v_cmp_gt_u32_e64 s2, 5, v0
	ds_store_b64 v94, v[12:13]
	s_waitcnt lgkmcnt(0)
	s_barrier
	buffer_gl0_inv
	s_and_saveexec_b32 s4, s2
	s_cbranch_execz .LBB76_224
; %bb.215:
	v_cmp_ne_u32_e32 vcc_lo, 1, v34
	s_cbranch_vccnz .LBB76_217
; %bb.216:
	v_cmp_eq_u32_e32 vcc_lo, 1, v0
	v_dual_cndmask_b32 v28, v3, v5 :: v_dual_cndmask_b32 v29, v2, v4
	v_cmp_eq_u32_e32 vcc_lo, 2, v0
	s_delay_alu instid0(VALU_DEP_2) | instskip(SKIP_1) | instid1(VALU_DEP_2)
	v_dual_cndmask_b32 v28, v28, v7 :: v_dual_cndmask_b32 v29, v29, v6
	v_cmp_eq_u32_e32 vcc_lo, 3, v0
	v_dual_cndmask_b32 v28, v28, v9 :: v_dual_cndmask_b32 v29, v29, v8
	v_cmp_eq_u32_e32 vcc_lo, 4, v0
	s_delay_alu instid0(VALU_DEP_2) | instskip(SKIP_1) | instid1(VALU_DEP_2)
	v_dual_cndmask_b32 v28, v28, v11 :: v_dual_cndmask_b32 v29, v29, v10
	;; [unrolled: 5-line block ×4, first 2 shown]
	v_cmp_eq_u32_e32 vcc_lo, 9, v0
	v_dual_cndmask_b32 v30, v28, v21 :: v_dual_cndmask_b32 v31, v29, v20
	v_cmp_eq_u32_e32 vcc_lo, 10, v0
	ds_load_b64 v[28:29], v94
	v_dual_cndmask_b32 v30, v30, v23 :: v_dual_cndmask_b32 v31, v31, v22
	v_cmp_eq_u32_e32 vcc_lo, 11, v0
	s_delay_alu instid0(VALU_DEP_2) | instskip(NEXT) | instid1(VALU_DEP_3)
	v_cndmask_b32_e32 v30, v30, v25, vcc_lo
	v_cndmask_b32_e32 v32, v31, v24, vcc_lo
	v_cmp_eq_u32_e32 vcc_lo, 12, v0
	s_delay_alu instid0(VALU_DEP_2) | instskip(SKIP_1) | instid1(VALU_DEP_1)
	v_dual_cndmask_b32 v31, v30, v27 :: v_dual_cndmask_b32 v30, v32, v26
	s_waitcnt lgkmcnt(0)
	v_mul_f64 v[28:29], v[30:31], v[28:29]
	s_cbranch_execz .LBB76_218
	s_branch .LBB76_219
.LBB76_217:
                                        ; implicit-def: $vgpr28_vgpr29
.LBB76_218:
	ds_load_b64 v[28:29], v94
.LBB76_219:
	s_mov_b32 s5, exec_lo
	v_cmpx_ne_u32_e32 4, v0
	s_cbranch_execz .LBB76_223
; %bb.220:
	v_lshl_add_u32 v32, v0, 3, 0x78
	v_dual_mov_b32 v31, v1 :: v_dual_mov_b32 v30, v0
	s_mov_b32 s6, 0
.LBB76_221:                             ; =>This Inner Loop Header: Depth=1
	s_delay_alu instid0(VALU_DEP_1) | instskip(NEXT) | instid1(VALU_DEP_2)
	v_add_co_u32 v30, vcc_lo, v30, 1
	v_add_co_ci_u32_e32 v31, vcc_lo, 0, v31, vcc_lo
	s_delay_alu instid0(VALU_DEP_2) | instskip(SKIP_3) | instid1(VALU_DEP_2)
	v_cmp_eq_u32_e32 vcc_lo, 1, v30
	v_cmp_eq_u32_e64 s3, 2, v30
	v_dual_cndmask_b32 v33, v3, v5 :: v_dual_cndmask_b32 v36, v2, v4
	v_cmp_eq_u32_e32 vcc_lo, 3, v30
	v_cndmask_b32_e64 v33, v33, v7, s3
	s_delay_alu instid0(VALU_DEP_3) | instskip(SKIP_1) | instid1(VALU_DEP_2)
	v_cndmask_b32_e64 v36, v36, v6, s3
	v_cmp_eq_u32_e64 s3, 4, v30
	v_dual_cndmask_b32 v33, v33, v9 :: v_dual_cndmask_b32 v36, v36, v8
	v_cmp_eq_u32_e32 vcc_lo, 5, v30
	s_delay_alu instid0(VALU_DEP_2) | instskip(NEXT) | instid1(VALU_DEP_3)
	v_cndmask_b32_e64 v33, v33, v11, s3
	v_cndmask_b32_e64 v36, v36, v10, s3
	v_cmp_eq_u32_e64 s3, 6, v30
	s_delay_alu instid0(VALU_DEP_2) | instskip(SKIP_1) | instid1(VALU_DEP_2)
	v_dual_cndmask_b32 v33, v33, v13 :: v_dual_cndmask_b32 v36, v36, v12
	v_cmp_eq_u32_e32 vcc_lo, 7, v30
	v_cndmask_b32_e64 v33, v33, v15, s3
	s_delay_alu instid0(VALU_DEP_3) | instskip(SKIP_1) | instid1(VALU_DEP_2)
	v_cndmask_b32_e64 v36, v36, v14, s3
	v_cmp_eq_u32_e64 s3, 8, v30
	v_dual_cndmask_b32 v33, v33, v17 :: v_dual_cndmask_b32 v36, v36, v16
	v_cmp_eq_u32_e32 vcc_lo, 9, v30
	s_delay_alu instid0(VALU_DEP_2) | instskip(NEXT) | instid1(VALU_DEP_3)
	v_cndmask_b32_e64 v33, v33, v19, s3
	v_cndmask_b32_e64 v38, v36, v18, s3
	ds_load_b64 v[36:37], v32
	v_cmp_eq_u32_e64 s3, 10, v30
	v_dual_cndmask_b32 v33, v33, v21 :: v_dual_add_nc_u32 v32, 8, v32
	v_cndmask_b32_e32 v38, v38, v20, vcc_lo
	v_cmp_eq_u32_e32 vcc_lo, 11, v30
	s_delay_alu instid0(VALU_DEP_3) | instskip(NEXT) | instid1(VALU_DEP_3)
	v_cndmask_b32_e64 v33, v33, v23, s3
	v_cndmask_b32_e64 v38, v38, v22, s3
	v_cmp_eq_u32_e64 s3, 12, v30
	s_delay_alu instid0(VALU_DEP_2) | instskip(SKIP_1) | instid1(VALU_DEP_2)
	v_dual_cndmask_b32 v33, v33, v25 :: v_dual_cndmask_b32 v38, v38, v24
	v_cmp_lt_u32_e32 vcc_lo, 3, v30
	v_cndmask_b32_e64 v39, v33, v27, s3
	s_delay_alu instid0(VALU_DEP_3) | instskip(SKIP_2) | instid1(VALU_DEP_1)
	v_cndmask_b32_e64 v38, v38, v26, s3
	s_or_b32 s6, vcc_lo, s6
	s_waitcnt lgkmcnt(0)
	v_fma_f64 v[28:29], v[38:39], v[36:37], v[28:29]
	s_and_not1_b32 exec_lo, exec_lo, s6
	s_cbranch_execnz .LBB76_221
; %bb.222:
	s_or_b32 exec_lo, exec_lo, s6
.LBB76_223:
	s_delay_alu instid0(SALU_CYCLE_1)
	s_or_b32 exec_lo, exec_lo, s5
	v_mov_b32_e32 v12, 0
	ds_load_b64 v[12:13], v12 offset:40
	s_waitcnt lgkmcnt(0)
	v_mul_f64 v[12:13], v[28:29], v[12:13]
.LBB76_224:
	s_or_b32 exec_lo, exec_lo, s4
	s_delay_alu instid0(SALU_CYCLE_1)
	s_mov_b32 s4, exec_lo
	ds_store_b64 v94, v[14:15]
	s_waitcnt lgkmcnt(0)
	s_barrier
	buffer_gl0_inv
	v_cmpx_gt_u32_e32 6, v0
	s_cbranch_execz .LBB76_234
; %bb.225:
	v_cmp_ne_u32_e32 vcc_lo, 1, v34
	s_cbranch_vccnz .LBB76_227
; %bb.226:
	v_cmp_eq_u32_e32 vcc_lo, 1, v0
	v_dual_cndmask_b32 v28, v3, v5 :: v_dual_cndmask_b32 v29, v2, v4
	v_cmp_eq_u32_e32 vcc_lo, 2, v0
	s_delay_alu instid0(VALU_DEP_2) | instskip(SKIP_1) | instid1(VALU_DEP_2)
	v_dual_cndmask_b32 v28, v28, v7 :: v_dual_cndmask_b32 v29, v29, v6
	v_cmp_eq_u32_e32 vcc_lo, 3, v0
	v_dual_cndmask_b32 v28, v28, v9 :: v_dual_cndmask_b32 v29, v29, v8
	v_cmp_eq_u32_e32 vcc_lo, 4, v0
	s_delay_alu instid0(VALU_DEP_2) | instskip(SKIP_1) | instid1(VALU_DEP_2)
	v_dual_cndmask_b32 v28, v28, v11 :: v_dual_cndmask_b32 v29, v29, v10
	;; [unrolled: 5-line block ×4, first 2 shown]
	v_cmp_eq_u32_e32 vcc_lo, 9, v0
	v_dual_cndmask_b32 v30, v28, v21 :: v_dual_cndmask_b32 v31, v29, v20
	v_cmp_eq_u32_e32 vcc_lo, 10, v0
	ds_load_b64 v[28:29], v94
	v_dual_cndmask_b32 v30, v30, v23 :: v_dual_cndmask_b32 v31, v31, v22
	v_cmp_eq_u32_e32 vcc_lo, 11, v0
	s_delay_alu instid0(VALU_DEP_2) | instskip(NEXT) | instid1(VALU_DEP_3)
	v_cndmask_b32_e32 v30, v30, v25, vcc_lo
	v_cndmask_b32_e32 v32, v31, v24, vcc_lo
	v_cmp_eq_u32_e32 vcc_lo, 12, v0
	s_delay_alu instid0(VALU_DEP_2) | instskip(SKIP_1) | instid1(VALU_DEP_1)
	v_dual_cndmask_b32 v31, v30, v27 :: v_dual_cndmask_b32 v30, v32, v26
	s_waitcnt lgkmcnt(0)
	v_mul_f64 v[28:29], v[30:31], v[28:29]
	s_cbranch_execz .LBB76_228
	s_branch .LBB76_229
.LBB76_227:
                                        ; implicit-def: $vgpr28_vgpr29
.LBB76_228:
	ds_load_b64 v[28:29], v94
.LBB76_229:
	s_mov_b32 s5, exec_lo
	v_cmpx_ne_u32_e32 5, v0
	s_cbranch_execz .LBB76_233
; %bb.230:
	v_lshl_add_u32 v32, v0, 3, 0x78
	v_dual_mov_b32 v31, v1 :: v_dual_mov_b32 v30, v0
	s_mov_b32 s6, 0
.LBB76_231:                             ; =>This Inner Loop Header: Depth=1
	s_delay_alu instid0(VALU_DEP_1) | instskip(NEXT) | instid1(VALU_DEP_2)
	v_add_co_u32 v30, vcc_lo, v30, 1
	v_add_co_ci_u32_e32 v31, vcc_lo, 0, v31, vcc_lo
	s_delay_alu instid0(VALU_DEP_2) | instskip(SKIP_3) | instid1(VALU_DEP_2)
	v_cmp_eq_u32_e32 vcc_lo, 1, v30
	v_cmp_eq_u32_e64 s3, 2, v30
	v_dual_cndmask_b32 v33, v3, v5 :: v_dual_cndmask_b32 v36, v2, v4
	v_cmp_eq_u32_e32 vcc_lo, 3, v30
	v_cndmask_b32_e64 v33, v33, v7, s3
	s_delay_alu instid0(VALU_DEP_3) | instskip(SKIP_1) | instid1(VALU_DEP_2)
	v_cndmask_b32_e64 v36, v36, v6, s3
	v_cmp_eq_u32_e64 s3, 4, v30
	v_dual_cndmask_b32 v33, v33, v9 :: v_dual_cndmask_b32 v36, v36, v8
	v_cmp_eq_u32_e32 vcc_lo, 5, v30
	s_delay_alu instid0(VALU_DEP_2) | instskip(NEXT) | instid1(VALU_DEP_3)
	v_cndmask_b32_e64 v33, v33, v11, s3
	v_cndmask_b32_e64 v36, v36, v10, s3
	v_cmp_eq_u32_e64 s3, 6, v30
	s_delay_alu instid0(VALU_DEP_2) | instskip(SKIP_1) | instid1(VALU_DEP_2)
	v_dual_cndmask_b32 v33, v33, v13 :: v_dual_cndmask_b32 v36, v36, v12
	v_cmp_eq_u32_e32 vcc_lo, 7, v30
	v_cndmask_b32_e64 v33, v33, v15, s3
	s_delay_alu instid0(VALU_DEP_3) | instskip(SKIP_1) | instid1(VALU_DEP_2)
	v_cndmask_b32_e64 v36, v36, v14, s3
	v_cmp_eq_u32_e64 s3, 8, v30
	v_dual_cndmask_b32 v33, v33, v17 :: v_dual_cndmask_b32 v36, v36, v16
	v_cmp_eq_u32_e32 vcc_lo, 9, v30
	s_delay_alu instid0(VALU_DEP_2) | instskip(NEXT) | instid1(VALU_DEP_3)
	v_cndmask_b32_e64 v33, v33, v19, s3
	v_cndmask_b32_e64 v38, v36, v18, s3
	ds_load_b64 v[36:37], v32
	v_cmp_eq_u32_e64 s3, 10, v30
	v_dual_cndmask_b32 v33, v33, v21 :: v_dual_add_nc_u32 v32, 8, v32
	v_cndmask_b32_e32 v38, v38, v20, vcc_lo
	v_cmp_eq_u32_e32 vcc_lo, 11, v30
	s_delay_alu instid0(VALU_DEP_3) | instskip(NEXT) | instid1(VALU_DEP_3)
	v_cndmask_b32_e64 v33, v33, v23, s3
	v_cndmask_b32_e64 v38, v38, v22, s3
	v_cmp_eq_u32_e64 s3, 12, v30
	s_delay_alu instid0(VALU_DEP_2) | instskip(SKIP_1) | instid1(VALU_DEP_2)
	v_dual_cndmask_b32 v33, v33, v25 :: v_dual_cndmask_b32 v38, v38, v24
	v_cmp_lt_u32_e32 vcc_lo, 4, v30
	v_cndmask_b32_e64 v39, v33, v27, s3
	s_delay_alu instid0(VALU_DEP_3) | instskip(SKIP_2) | instid1(VALU_DEP_1)
	v_cndmask_b32_e64 v38, v38, v26, s3
	s_or_b32 s6, vcc_lo, s6
	s_waitcnt lgkmcnt(0)
	v_fma_f64 v[28:29], v[38:39], v[36:37], v[28:29]
	s_and_not1_b32 exec_lo, exec_lo, s6
	s_cbranch_execnz .LBB76_231
; %bb.232:
	s_or_b32 exec_lo, exec_lo, s6
.LBB76_233:
	s_delay_alu instid0(SALU_CYCLE_1)
	s_or_b32 exec_lo, exec_lo, s5
	v_mov_b32_e32 v14, 0
	ds_load_b64 v[14:15], v14 offset:48
	s_waitcnt lgkmcnt(0)
	v_mul_f64 v[14:15], v[28:29], v[14:15]
.LBB76_234:
	s_or_b32 exec_lo, exec_lo, s4
	v_cmp_gt_u32_e64 s3, 7, v0
	ds_store_b64 v94, v[16:17]
	s_waitcnt lgkmcnt(0)
	s_barrier
	buffer_gl0_inv
	s_and_saveexec_b32 s5, s3
	s_cbranch_execz .LBB76_244
; %bb.235:
	v_cmp_ne_u32_e32 vcc_lo, 1, v34
	s_cbranch_vccnz .LBB76_237
; %bb.236:
	v_cmp_eq_u32_e32 vcc_lo, 1, v0
	v_dual_cndmask_b32 v28, v3, v5 :: v_dual_cndmask_b32 v29, v2, v4
	v_cmp_eq_u32_e32 vcc_lo, 2, v0
	s_delay_alu instid0(VALU_DEP_2) | instskip(SKIP_1) | instid1(VALU_DEP_2)
	v_dual_cndmask_b32 v28, v28, v7 :: v_dual_cndmask_b32 v29, v29, v6
	v_cmp_eq_u32_e32 vcc_lo, 3, v0
	v_dual_cndmask_b32 v28, v28, v9 :: v_dual_cndmask_b32 v29, v29, v8
	v_cmp_eq_u32_e32 vcc_lo, 4, v0
	s_delay_alu instid0(VALU_DEP_2) | instskip(SKIP_1) | instid1(VALU_DEP_2)
	v_dual_cndmask_b32 v28, v28, v11 :: v_dual_cndmask_b32 v29, v29, v10
	;; [unrolled: 5-line block ×4, first 2 shown]
	v_cmp_eq_u32_e32 vcc_lo, 9, v0
	v_dual_cndmask_b32 v30, v28, v21 :: v_dual_cndmask_b32 v31, v29, v20
	v_cmp_eq_u32_e32 vcc_lo, 10, v0
	ds_load_b64 v[28:29], v94
	v_dual_cndmask_b32 v30, v30, v23 :: v_dual_cndmask_b32 v31, v31, v22
	v_cmp_eq_u32_e32 vcc_lo, 11, v0
	s_delay_alu instid0(VALU_DEP_2) | instskip(NEXT) | instid1(VALU_DEP_3)
	v_cndmask_b32_e32 v30, v30, v25, vcc_lo
	v_cndmask_b32_e32 v32, v31, v24, vcc_lo
	v_cmp_eq_u32_e32 vcc_lo, 12, v0
	s_delay_alu instid0(VALU_DEP_2) | instskip(SKIP_1) | instid1(VALU_DEP_1)
	v_dual_cndmask_b32 v31, v30, v27 :: v_dual_cndmask_b32 v30, v32, v26
	s_waitcnt lgkmcnt(0)
	v_mul_f64 v[28:29], v[30:31], v[28:29]
	s_cbranch_execz .LBB76_238
	s_branch .LBB76_239
.LBB76_237:
                                        ; implicit-def: $vgpr28_vgpr29
.LBB76_238:
	ds_load_b64 v[28:29], v94
.LBB76_239:
	s_mov_b32 s6, exec_lo
	v_cmpx_ne_u32_e32 6, v0
	s_cbranch_execz .LBB76_243
; %bb.240:
	v_lshl_add_u32 v32, v0, 3, 0x78
	v_dual_mov_b32 v31, v1 :: v_dual_mov_b32 v30, v0
	s_mov_b32 s7, 0
.LBB76_241:                             ; =>This Inner Loop Header: Depth=1
	s_delay_alu instid0(VALU_DEP_1) | instskip(NEXT) | instid1(VALU_DEP_2)
	v_add_co_u32 v30, vcc_lo, v30, 1
	v_add_co_ci_u32_e32 v31, vcc_lo, 0, v31, vcc_lo
	s_delay_alu instid0(VALU_DEP_2) | instskip(SKIP_3) | instid1(VALU_DEP_2)
	v_cmp_eq_u32_e32 vcc_lo, 1, v30
	v_cmp_eq_u32_e64 s4, 2, v30
	v_dual_cndmask_b32 v33, v3, v5 :: v_dual_cndmask_b32 v36, v2, v4
	v_cmp_eq_u32_e32 vcc_lo, 3, v30
	v_cndmask_b32_e64 v33, v33, v7, s4
	s_delay_alu instid0(VALU_DEP_3) | instskip(SKIP_1) | instid1(VALU_DEP_2)
	v_cndmask_b32_e64 v36, v36, v6, s4
	v_cmp_eq_u32_e64 s4, 4, v30
	v_dual_cndmask_b32 v33, v33, v9 :: v_dual_cndmask_b32 v36, v36, v8
	v_cmp_eq_u32_e32 vcc_lo, 5, v30
	s_delay_alu instid0(VALU_DEP_2) | instskip(NEXT) | instid1(VALU_DEP_3)
	v_cndmask_b32_e64 v33, v33, v11, s4
	v_cndmask_b32_e64 v36, v36, v10, s4
	v_cmp_eq_u32_e64 s4, 6, v30
	s_delay_alu instid0(VALU_DEP_2) | instskip(SKIP_1) | instid1(VALU_DEP_2)
	v_dual_cndmask_b32 v33, v33, v13 :: v_dual_cndmask_b32 v36, v36, v12
	v_cmp_eq_u32_e32 vcc_lo, 7, v30
	v_cndmask_b32_e64 v33, v33, v15, s4
	s_delay_alu instid0(VALU_DEP_3) | instskip(SKIP_1) | instid1(VALU_DEP_2)
	v_cndmask_b32_e64 v36, v36, v14, s4
	v_cmp_eq_u32_e64 s4, 8, v30
	v_dual_cndmask_b32 v33, v33, v17 :: v_dual_cndmask_b32 v36, v36, v16
	v_cmp_eq_u32_e32 vcc_lo, 9, v30
	s_delay_alu instid0(VALU_DEP_2) | instskip(NEXT) | instid1(VALU_DEP_3)
	v_cndmask_b32_e64 v33, v33, v19, s4
	v_cndmask_b32_e64 v38, v36, v18, s4
	ds_load_b64 v[36:37], v32
	v_cmp_eq_u32_e64 s4, 10, v30
	v_dual_cndmask_b32 v33, v33, v21 :: v_dual_add_nc_u32 v32, 8, v32
	v_cndmask_b32_e32 v38, v38, v20, vcc_lo
	v_cmp_eq_u32_e32 vcc_lo, 11, v30
	s_delay_alu instid0(VALU_DEP_3) | instskip(NEXT) | instid1(VALU_DEP_3)
	v_cndmask_b32_e64 v33, v33, v23, s4
	v_cndmask_b32_e64 v38, v38, v22, s4
	v_cmp_eq_u32_e64 s4, 12, v30
	s_delay_alu instid0(VALU_DEP_2) | instskip(SKIP_1) | instid1(VALU_DEP_2)
	v_dual_cndmask_b32 v33, v33, v25 :: v_dual_cndmask_b32 v38, v38, v24
	v_cmp_lt_u32_e32 vcc_lo, 5, v30
	v_cndmask_b32_e64 v39, v33, v27, s4
	s_delay_alu instid0(VALU_DEP_3) | instskip(SKIP_2) | instid1(VALU_DEP_1)
	v_cndmask_b32_e64 v38, v38, v26, s4
	s_or_b32 s7, vcc_lo, s7
	s_waitcnt lgkmcnt(0)
	v_fma_f64 v[28:29], v[38:39], v[36:37], v[28:29]
	s_and_not1_b32 exec_lo, exec_lo, s7
	s_cbranch_execnz .LBB76_241
; %bb.242:
	s_or_b32 exec_lo, exec_lo, s7
.LBB76_243:
	s_delay_alu instid0(SALU_CYCLE_1)
	s_or_b32 exec_lo, exec_lo, s6
	v_mov_b32_e32 v16, 0
	ds_load_b64 v[16:17], v16 offset:56
	s_waitcnt lgkmcnt(0)
	v_mul_f64 v[16:17], v[28:29], v[16:17]
.LBB76_244:
	s_or_b32 exec_lo, exec_lo, s5
	s_delay_alu instid0(SALU_CYCLE_1)
	s_mov_b32 s5, exec_lo
	ds_store_b64 v94, v[18:19]
	s_waitcnt lgkmcnt(0)
	s_barrier
	buffer_gl0_inv
	v_cmpx_gt_u32_e32 8, v0
	s_cbranch_execz .LBB76_254
; %bb.245:
	v_cmp_ne_u32_e32 vcc_lo, 1, v34
	s_cbranch_vccnz .LBB76_247
; %bb.246:
	v_cmp_eq_u32_e32 vcc_lo, 1, v0
	v_dual_cndmask_b32 v28, v3, v5 :: v_dual_cndmask_b32 v29, v2, v4
	v_cmp_eq_u32_e32 vcc_lo, 2, v0
	s_delay_alu instid0(VALU_DEP_2) | instskip(SKIP_1) | instid1(VALU_DEP_2)
	v_dual_cndmask_b32 v28, v28, v7 :: v_dual_cndmask_b32 v29, v29, v6
	v_cmp_eq_u32_e32 vcc_lo, 3, v0
	v_dual_cndmask_b32 v28, v28, v9 :: v_dual_cndmask_b32 v29, v29, v8
	v_cmp_eq_u32_e32 vcc_lo, 4, v0
	s_delay_alu instid0(VALU_DEP_2) | instskip(SKIP_1) | instid1(VALU_DEP_2)
	v_dual_cndmask_b32 v28, v28, v11 :: v_dual_cndmask_b32 v29, v29, v10
	;; [unrolled: 5-line block ×4, first 2 shown]
	v_cmp_eq_u32_e32 vcc_lo, 9, v0
	v_dual_cndmask_b32 v30, v28, v21 :: v_dual_cndmask_b32 v31, v29, v20
	v_cmp_eq_u32_e32 vcc_lo, 10, v0
	ds_load_b64 v[28:29], v94
	v_dual_cndmask_b32 v30, v30, v23 :: v_dual_cndmask_b32 v31, v31, v22
	v_cmp_eq_u32_e32 vcc_lo, 11, v0
	s_delay_alu instid0(VALU_DEP_2) | instskip(NEXT) | instid1(VALU_DEP_3)
	v_cndmask_b32_e32 v30, v30, v25, vcc_lo
	v_cndmask_b32_e32 v32, v31, v24, vcc_lo
	v_cmp_eq_u32_e32 vcc_lo, 12, v0
	s_delay_alu instid0(VALU_DEP_2) | instskip(SKIP_1) | instid1(VALU_DEP_1)
	v_dual_cndmask_b32 v31, v30, v27 :: v_dual_cndmask_b32 v30, v32, v26
	s_waitcnt lgkmcnt(0)
	v_mul_f64 v[28:29], v[30:31], v[28:29]
	s_cbranch_execz .LBB76_248
	s_branch .LBB76_249
.LBB76_247:
                                        ; implicit-def: $vgpr28_vgpr29
.LBB76_248:
	ds_load_b64 v[28:29], v94
.LBB76_249:
	s_mov_b32 s6, exec_lo
	v_cmpx_ne_u32_e32 7, v0
	s_cbranch_execz .LBB76_253
; %bb.250:
	v_lshl_add_u32 v32, v0, 3, 0x78
	v_dual_mov_b32 v31, v1 :: v_dual_mov_b32 v30, v0
	s_mov_b32 s7, 0
.LBB76_251:                             ; =>This Inner Loop Header: Depth=1
	s_delay_alu instid0(VALU_DEP_1) | instskip(NEXT) | instid1(VALU_DEP_2)
	v_add_co_u32 v30, vcc_lo, v30, 1
	v_add_co_ci_u32_e32 v31, vcc_lo, 0, v31, vcc_lo
	s_delay_alu instid0(VALU_DEP_2) | instskip(SKIP_3) | instid1(VALU_DEP_2)
	v_cmp_eq_u32_e32 vcc_lo, 1, v30
	v_cmp_eq_u32_e64 s4, 2, v30
	v_dual_cndmask_b32 v33, v3, v5 :: v_dual_cndmask_b32 v36, v2, v4
	v_cmp_eq_u32_e32 vcc_lo, 3, v30
	v_cndmask_b32_e64 v33, v33, v7, s4
	s_delay_alu instid0(VALU_DEP_3) | instskip(SKIP_1) | instid1(VALU_DEP_2)
	v_cndmask_b32_e64 v36, v36, v6, s4
	v_cmp_eq_u32_e64 s4, 4, v30
	v_dual_cndmask_b32 v33, v33, v9 :: v_dual_cndmask_b32 v36, v36, v8
	v_cmp_eq_u32_e32 vcc_lo, 5, v30
	s_delay_alu instid0(VALU_DEP_2) | instskip(NEXT) | instid1(VALU_DEP_3)
	v_cndmask_b32_e64 v33, v33, v11, s4
	v_cndmask_b32_e64 v36, v36, v10, s4
	v_cmp_eq_u32_e64 s4, 6, v30
	s_delay_alu instid0(VALU_DEP_2) | instskip(SKIP_1) | instid1(VALU_DEP_2)
	v_dual_cndmask_b32 v33, v33, v13 :: v_dual_cndmask_b32 v36, v36, v12
	v_cmp_eq_u32_e32 vcc_lo, 7, v30
	v_cndmask_b32_e64 v33, v33, v15, s4
	s_delay_alu instid0(VALU_DEP_3) | instskip(SKIP_1) | instid1(VALU_DEP_2)
	v_cndmask_b32_e64 v36, v36, v14, s4
	v_cmp_eq_u32_e64 s4, 8, v30
	v_dual_cndmask_b32 v33, v33, v17 :: v_dual_cndmask_b32 v36, v36, v16
	v_cmp_eq_u32_e32 vcc_lo, 9, v30
	s_delay_alu instid0(VALU_DEP_2) | instskip(NEXT) | instid1(VALU_DEP_3)
	v_cndmask_b32_e64 v33, v33, v19, s4
	v_cndmask_b32_e64 v38, v36, v18, s4
	ds_load_b64 v[36:37], v32
	v_cmp_eq_u32_e64 s4, 10, v30
	v_dual_cndmask_b32 v33, v33, v21 :: v_dual_add_nc_u32 v32, 8, v32
	v_cndmask_b32_e32 v38, v38, v20, vcc_lo
	v_cmp_eq_u32_e32 vcc_lo, 11, v30
	s_delay_alu instid0(VALU_DEP_3) | instskip(NEXT) | instid1(VALU_DEP_3)
	v_cndmask_b32_e64 v33, v33, v23, s4
	v_cndmask_b32_e64 v38, v38, v22, s4
	v_cmp_eq_u32_e64 s4, 12, v30
	s_delay_alu instid0(VALU_DEP_2) | instskip(SKIP_1) | instid1(VALU_DEP_2)
	v_dual_cndmask_b32 v33, v33, v25 :: v_dual_cndmask_b32 v38, v38, v24
	v_cmp_lt_u32_e32 vcc_lo, 6, v30
	v_cndmask_b32_e64 v39, v33, v27, s4
	s_delay_alu instid0(VALU_DEP_3) | instskip(SKIP_2) | instid1(VALU_DEP_1)
	v_cndmask_b32_e64 v38, v38, v26, s4
	s_or_b32 s7, vcc_lo, s7
	s_waitcnt lgkmcnt(0)
	v_fma_f64 v[28:29], v[38:39], v[36:37], v[28:29]
	s_and_not1_b32 exec_lo, exec_lo, s7
	s_cbranch_execnz .LBB76_251
; %bb.252:
	s_or_b32 exec_lo, exec_lo, s7
.LBB76_253:
	s_delay_alu instid0(SALU_CYCLE_1)
	s_or_b32 exec_lo, exec_lo, s6
	v_mov_b32_e32 v18, 0
	ds_load_b64 v[18:19], v18 offset:64
	s_waitcnt lgkmcnt(0)
	v_mul_f64 v[18:19], v[28:29], v[18:19]
.LBB76_254:
	s_or_b32 exec_lo, exec_lo, s5
	s_delay_alu instid0(SALU_CYCLE_1)
	s_mov_b32 s4, exec_lo
	ds_store_b64 v94, v[20:21]
	s_waitcnt lgkmcnt(0)
	s_barrier
	buffer_gl0_inv
	v_cmpx_gt_u32_e32 9, v0
	s_cbranch_execz .LBB76_276
; %bb.255:
	v_cmp_ne_u32_e32 vcc_lo, 1, v34
	s_cbranch_vccnz .LBB76_257
; %bb.256:
	v_cmp_eq_u32_e32 vcc_lo, 1, v0
	v_dual_cndmask_b32 v28, v3, v5 :: v_dual_cndmask_b32 v29, v2, v4
	v_cmp_eq_u32_e32 vcc_lo, 2, v0
	s_delay_alu instid0(VALU_DEP_2) | instskip(SKIP_1) | instid1(VALU_DEP_2)
	v_dual_cndmask_b32 v28, v28, v7 :: v_dual_cndmask_b32 v29, v29, v6
	v_cmp_eq_u32_e32 vcc_lo, 3, v0
	v_dual_cndmask_b32 v28, v28, v9 :: v_dual_cndmask_b32 v29, v29, v8
	v_cmp_eq_u32_e32 vcc_lo, 4, v0
	s_delay_alu instid0(VALU_DEP_2) | instskip(SKIP_1) | instid1(VALU_DEP_2)
	v_dual_cndmask_b32 v28, v28, v11 :: v_dual_cndmask_b32 v29, v29, v10
	;; [unrolled: 5-line block ×4, first 2 shown]
	v_cmp_eq_u32_e32 vcc_lo, 9, v0
	v_dual_cndmask_b32 v30, v28, v21 :: v_dual_cndmask_b32 v31, v29, v20
	v_cmp_eq_u32_e32 vcc_lo, 10, v0
	ds_load_b64 v[28:29], v94
	v_dual_cndmask_b32 v30, v30, v23 :: v_dual_cndmask_b32 v31, v31, v22
	v_cmp_eq_u32_e32 vcc_lo, 11, v0
	s_delay_alu instid0(VALU_DEP_2) | instskip(NEXT) | instid1(VALU_DEP_3)
	v_cndmask_b32_e32 v30, v30, v25, vcc_lo
	v_cndmask_b32_e32 v32, v31, v24, vcc_lo
	v_cmp_eq_u32_e32 vcc_lo, 12, v0
	s_delay_alu instid0(VALU_DEP_2) | instskip(SKIP_1) | instid1(VALU_DEP_1)
	v_dual_cndmask_b32 v31, v30, v27 :: v_dual_cndmask_b32 v30, v32, v26
	s_waitcnt lgkmcnt(0)
	v_mul_f64 v[28:29], v[30:31], v[28:29]
	s_cbranch_execz .LBB76_258
	s_branch .LBB76_259
.LBB76_257:
                                        ; implicit-def: $vgpr28_vgpr29
.LBB76_258:
	ds_load_b64 v[28:29], v94
.LBB76_259:
	s_mov_b32 s5, exec_lo
	v_cmpx_ne_u32_e32 8, v0
	s_cbranch_execz .LBB76_275
; %bb.260:
	v_cmp_eq_u32_e32 vcc_lo, 1, v35
	v_dual_cndmask_b32 v30, v3, v5 :: v_dual_cndmask_b32 v31, v2, v4
	v_cmp_eq_u32_e32 vcc_lo, 2, v35
	s_delay_alu instid0(VALU_DEP_2) | instskip(SKIP_1) | instid1(VALU_DEP_2)
	v_dual_cndmask_b32 v30, v30, v7 :: v_dual_cndmask_b32 v31, v31, v6
	v_cmp_eq_u32_e32 vcc_lo, 3, v35
	v_dual_cndmask_b32 v30, v30, v9 :: v_dual_cndmask_b32 v31, v31, v8
	v_cmp_eq_u32_e32 vcc_lo, 4, v35
	s_delay_alu instid0(VALU_DEP_2) | instskip(SKIP_1) | instid1(VALU_DEP_2)
	v_dual_cndmask_b32 v30, v30, v11 :: v_dual_cndmask_b32 v31, v31, v10
	;; [unrolled: 5-line block ×4, first 2 shown]
	v_cmp_eq_u32_e32 vcc_lo, 9, v35
	v_dual_cndmask_b32 v32, v30, v21 :: v_dual_cndmask_b32 v33, v31, v20
	v_cmp_eq_u32_e32 vcc_lo, 10, v35
	ds_load_b64 v[30:31], v94 offset:8
	v_dual_cndmask_b32 v32, v32, v23 :: v_dual_cndmask_b32 v33, v33, v22
	v_cmp_eq_u32_e32 vcc_lo, 11, v35
	s_delay_alu instid0(VALU_DEP_2) | instskip(NEXT) | instid1(VALU_DEP_3)
	v_cndmask_b32_e32 v32, v32, v25, vcc_lo
	v_cndmask_b32_e32 v36, v33, v24, vcc_lo
	v_cmp_eq_u32_e32 vcc_lo, 12, v35
	s_delay_alu instid0(VALU_DEP_3) | instskip(NEXT) | instid1(VALU_DEP_3)
	v_cndmask_b32_e32 v33, v32, v27, vcc_lo
	v_cndmask_b32_e32 v32, v36, v26, vcc_lo
	s_waitcnt lgkmcnt(0)
	s_delay_alu instid0(VALU_DEP_1)
	v_fma_f64 v[28:29], v[32:33], v[30:31], v[28:29]
	s_and_saveexec_b32 s6, s3
	s_cbranch_execz .LBB76_274
; %bb.261:
	v_add_nc_u32_e32 v32, 2, v0
	s_mov_b32 s3, exec_lo
	s_delay_alu instid0(VALU_DEP_1) | instskip(SKIP_2) | instid1(VALU_DEP_2)
	v_cmp_eq_u32_e32 vcc_lo, 1, v32
	v_dual_cndmask_b32 v30, v3, v5 :: v_dual_cndmask_b32 v31, v2, v4
	v_cmp_eq_u32_e32 vcc_lo, 2, v32
	v_dual_cndmask_b32 v31, v31, v6 :: v_dual_cndmask_b32 v30, v30, v7
	v_cmp_eq_u32_e32 vcc_lo, 3, v32
	s_delay_alu instid0(VALU_DEP_2) | instskip(SKIP_1) | instid1(VALU_DEP_2)
	v_dual_cndmask_b32 v31, v31, v8 :: v_dual_cndmask_b32 v30, v30, v9
	v_cmp_eq_u32_e32 vcc_lo, 4, v32
	v_dual_cndmask_b32 v31, v31, v10 :: v_dual_cndmask_b32 v30, v30, v11
	v_cmp_eq_u32_e32 vcc_lo, 5, v32
	s_delay_alu instid0(VALU_DEP_2) | instskip(SKIP_1) | instid1(VALU_DEP_2)
	;; [unrolled: 5-line block ×3, first 2 shown]
	v_dual_cndmask_b32 v31, v31, v16 :: v_dual_cndmask_b32 v30, v30, v17
	v_cmp_eq_u32_e32 vcc_lo, 8, v32
	v_dual_cndmask_b32 v31, v31, v18 :: v_dual_cndmask_b32 v30, v30, v19
	v_cmp_eq_u32_e32 vcc_lo, 9, v32
	s_delay_alu instid0(VALU_DEP_2) | instskip(NEXT) | instid1(VALU_DEP_3)
	v_cndmask_b32_e32 v35, v31, v20, vcc_lo
	v_cndmask_b32_e32 v33, v30, v21, vcc_lo
	v_cmp_eq_u32_e32 vcc_lo, 10, v32
	ds_load_b64 v[30:31], v94 offset:16
	v_cndmask_b32_e32 v33, v33, v23, vcc_lo
	v_cndmask_b32_e32 v35, v35, v22, vcc_lo
	v_cmp_eq_u32_e32 vcc_lo, 11, v32
	s_delay_alu instid0(VALU_DEP_3) | instskip(NEXT) | instid1(VALU_DEP_3)
	v_cndmask_b32_e32 v33, v33, v25, vcc_lo
	v_cndmask_b32_e32 v35, v35, v24, vcc_lo
	v_cmp_eq_u32_e32 vcc_lo, 12, v32
	s_delay_alu instid0(VALU_DEP_2) | instskip(SKIP_1) | instid1(VALU_DEP_1)
	v_dual_cndmask_b32 v32, v35, v26 :: v_dual_cndmask_b32 v33, v33, v27
	s_waitcnt lgkmcnt(0)
	v_fma_f64 v[28:29], v[32:33], v[30:31], v[28:29]
	v_cmpx_ne_u32_e32 6, v0
	s_cbranch_execz .LBB76_273
; %bb.262:
	v_add_nc_u32_e32 v32, 3, v0
	s_delay_alu instid0(VALU_DEP_1) | instskip(SKIP_2) | instid1(VALU_DEP_2)
	v_cmp_eq_u32_e32 vcc_lo, 1, v32
	v_dual_cndmask_b32 v30, v3, v5 :: v_dual_cndmask_b32 v31, v2, v4
	v_cmp_eq_u32_e32 vcc_lo, 2, v32
	v_dual_cndmask_b32 v31, v31, v6 :: v_dual_cndmask_b32 v30, v30, v7
	v_cmp_eq_u32_e32 vcc_lo, 3, v32
	s_delay_alu instid0(VALU_DEP_2) | instskip(SKIP_1) | instid1(VALU_DEP_2)
	v_dual_cndmask_b32 v31, v31, v8 :: v_dual_cndmask_b32 v30, v30, v9
	v_cmp_eq_u32_e32 vcc_lo, 4, v32
	v_dual_cndmask_b32 v31, v31, v10 :: v_dual_cndmask_b32 v30, v30, v11
	v_cmp_eq_u32_e32 vcc_lo, 5, v32
	s_delay_alu instid0(VALU_DEP_2) | instskip(SKIP_1) | instid1(VALU_DEP_2)
	;; [unrolled: 5-line block ×3, first 2 shown]
	v_dual_cndmask_b32 v31, v31, v16 :: v_dual_cndmask_b32 v30, v30, v17
	v_cmp_eq_u32_e32 vcc_lo, 8, v32
	v_dual_cndmask_b32 v31, v31, v18 :: v_dual_cndmask_b32 v30, v30, v19
	v_cmp_eq_u32_e32 vcc_lo, 9, v32
	s_delay_alu instid0(VALU_DEP_2) | instskip(NEXT) | instid1(VALU_DEP_3)
	v_cndmask_b32_e32 v35, v31, v20, vcc_lo
	v_cndmask_b32_e32 v33, v30, v21, vcc_lo
	v_cmp_eq_u32_e32 vcc_lo, 10, v32
	ds_load_b64 v[30:31], v94 offset:24
	v_cndmask_b32_e32 v33, v33, v23, vcc_lo
	v_cndmask_b32_e32 v35, v35, v22, vcc_lo
	v_cmp_eq_u32_e32 vcc_lo, 11, v32
	s_delay_alu instid0(VALU_DEP_3) | instskip(NEXT) | instid1(VALU_DEP_3)
	v_cndmask_b32_e32 v33, v33, v25, vcc_lo
	v_cndmask_b32_e32 v35, v35, v24, vcc_lo
	v_cmp_eq_u32_e32 vcc_lo, 12, v32
	s_delay_alu instid0(VALU_DEP_2) | instskip(SKIP_1) | instid1(VALU_DEP_1)
	v_dual_cndmask_b32 v32, v35, v26 :: v_dual_cndmask_b32 v33, v33, v27
	s_waitcnt lgkmcnt(0)
	v_fma_f64 v[28:29], v[32:33], v[30:31], v[28:29]
	s_and_saveexec_b32 s7, s2
	s_cbranch_execz .LBB76_272
; %bb.263:
	v_add_nc_u32_e32 v32, 4, v0
	s_mov_b32 s2, exec_lo
	s_delay_alu instid0(VALU_DEP_1) | instskip(SKIP_2) | instid1(VALU_DEP_2)
	v_cmp_eq_u32_e32 vcc_lo, 1, v32
	v_dual_cndmask_b32 v30, v3, v5 :: v_dual_cndmask_b32 v31, v2, v4
	v_cmp_eq_u32_e32 vcc_lo, 2, v32
	v_dual_cndmask_b32 v31, v31, v6 :: v_dual_cndmask_b32 v30, v30, v7
	v_cmp_eq_u32_e32 vcc_lo, 3, v32
	s_delay_alu instid0(VALU_DEP_2) | instskip(SKIP_1) | instid1(VALU_DEP_2)
	v_dual_cndmask_b32 v31, v31, v8 :: v_dual_cndmask_b32 v30, v30, v9
	v_cmp_eq_u32_e32 vcc_lo, 4, v32
	v_dual_cndmask_b32 v31, v31, v10 :: v_dual_cndmask_b32 v30, v30, v11
	v_cmp_eq_u32_e32 vcc_lo, 5, v32
	s_delay_alu instid0(VALU_DEP_2) | instskip(SKIP_1) | instid1(VALU_DEP_2)
	;; [unrolled: 5-line block ×3, first 2 shown]
	v_dual_cndmask_b32 v31, v31, v16 :: v_dual_cndmask_b32 v30, v30, v17
	v_cmp_eq_u32_e32 vcc_lo, 8, v32
	v_dual_cndmask_b32 v31, v31, v18 :: v_dual_cndmask_b32 v30, v30, v19
	v_cmp_eq_u32_e32 vcc_lo, 9, v32
	s_delay_alu instid0(VALU_DEP_2) | instskip(NEXT) | instid1(VALU_DEP_3)
	v_cndmask_b32_e32 v35, v31, v20, vcc_lo
	v_cndmask_b32_e32 v33, v30, v21, vcc_lo
	v_cmp_eq_u32_e32 vcc_lo, 10, v32
	ds_load_b64 v[30:31], v94 offset:32
	v_cndmask_b32_e32 v33, v33, v23, vcc_lo
	v_cndmask_b32_e32 v35, v35, v22, vcc_lo
	v_cmp_eq_u32_e32 vcc_lo, 11, v32
	s_delay_alu instid0(VALU_DEP_3) | instskip(NEXT) | instid1(VALU_DEP_3)
	v_cndmask_b32_e32 v33, v33, v25, vcc_lo
	v_cndmask_b32_e32 v35, v35, v24, vcc_lo
	v_cmp_eq_u32_e32 vcc_lo, 12, v32
	s_delay_alu instid0(VALU_DEP_2) | instskip(SKIP_1) | instid1(VALU_DEP_1)
	v_dual_cndmask_b32 v32, v35, v26 :: v_dual_cndmask_b32 v33, v33, v27
	s_waitcnt lgkmcnt(0)
	v_fma_f64 v[28:29], v[32:33], v[30:31], v[28:29]
	v_cmpx_ne_u32_e32 4, v0
	s_cbranch_execz .LBB76_271
; %bb.264:
	v_add_nc_u32_e32 v32, 5, v0
	s_delay_alu instid0(VALU_DEP_1) | instskip(SKIP_2) | instid1(VALU_DEP_2)
	v_cmp_eq_u32_e32 vcc_lo, 1, v32
	v_dual_cndmask_b32 v30, v3, v5 :: v_dual_cndmask_b32 v31, v2, v4
	v_cmp_eq_u32_e32 vcc_lo, 2, v32
	v_dual_cndmask_b32 v31, v31, v6 :: v_dual_cndmask_b32 v30, v30, v7
	v_cmp_eq_u32_e32 vcc_lo, 3, v32
	s_delay_alu instid0(VALU_DEP_2) | instskip(SKIP_1) | instid1(VALU_DEP_2)
	v_dual_cndmask_b32 v31, v31, v8 :: v_dual_cndmask_b32 v30, v30, v9
	v_cmp_eq_u32_e32 vcc_lo, 4, v32
	v_dual_cndmask_b32 v31, v31, v10 :: v_dual_cndmask_b32 v30, v30, v11
	v_cmp_eq_u32_e32 vcc_lo, 5, v32
	s_delay_alu instid0(VALU_DEP_2) | instskip(SKIP_1) | instid1(VALU_DEP_2)
	v_dual_cndmask_b32 v31, v31, v12 :: v_dual_cndmask_b32 v30, v30, v13
	v_cmp_eq_u32_e32 vcc_lo, 6, v32
	v_dual_cndmask_b32 v31, v31, v14 :: v_dual_cndmask_b32 v30, v30, v15
	v_cmp_eq_u32_e32 vcc_lo, 7, v32
	s_delay_alu instid0(VALU_DEP_2) | instskip(SKIP_1) | instid1(VALU_DEP_2)
	v_dual_cndmask_b32 v31, v31, v16 :: v_dual_cndmask_b32 v30, v30, v17
	v_cmp_eq_u32_e32 vcc_lo, 8, v32
	v_dual_cndmask_b32 v31, v31, v18 :: v_dual_cndmask_b32 v30, v30, v19
	v_cmp_eq_u32_e32 vcc_lo, 9, v32
	s_delay_alu instid0(VALU_DEP_2) | instskip(NEXT) | instid1(VALU_DEP_3)
	v_cndmask_b32_e32 v35, v31, v20, vcc_lo
	v_cndmask_b32_e32 v33, v30, v21, vcc_lo
	v_cmp_eq_u32_e32 vcc_lo, 10, v32
	ds_load_b64 v[30:31], v94 offset:40
	v_cndmask_b32_e32 v33, v33, v23, vcc_lo
	v_cndmask_b32_e32 v35, v35, v22, vcc_lo
	v_cmp_eq_u32_e32 vcc_lo, 11, v32
	s_delay_alu instid0(VALU_DEP_3) | instskip(NEXT) | instid1(VALU_DEP_3)
	v_cndmask_b32_e32 v33, v33, v25, vcc_lo
	v_cndmask_b32_e32 v35, v35, v24, vcc_lo
	v_cmp_eq_u32_e32 vcc_lo, 12, v32
	s_delay_alu instid0(VALU_DEP_2) | instskip(SKIP_1) | instid1(VALU_DEP_1)
	v_dual_cndmask_b32 v32, v35, v26 :: v_dual_cndmask_b32 v33, v33, v27
	s_waitcnt lgkmcnt(0)
	v_fma_f64 v[28:29], v[32:33], v[30:31], v[28:29]
	s_and_saveexec_b32 s8, s1
	s_cbranch_execz .LBB76_270
; %bb.265:
	v_add_nc_u32_e32 v32, 6, v0
	s_mov_b32 s1, exec_lo
	s_delay_alu instid0(VALU_DEP_1) | instskip(SKIP_2) | instid1(VALU_DEP_2)
	v_cmp_eq_u32_e32 vcc_lo, 1, v32
	v_dual_cndmask_b32 v30, v3, v5 :: v_dual_cndmask_b32 v31, v2, v4
	v_cmp_eq_u32_e32 vcc_lo, 2, v32
	v_dual_cndmask_b32 v31, v31, v6 :: v_dual_cndmask_b32 v30, v30, v7
	v_cmp_eq_u32_e32 vcc_lo, 3, v32
	s_delay_alu instid0(VALU_DEP_2) | instskip(SKIP_1) | instid1(VALU_DEP_2)
	v_dual_cndmask_b32 v31, v31, v8 :: v_dual_cndmask_b32 v30, v30, v9
	v_cmp_eq_u32_e32 vcc_lo, 4, v32
	v_dual_cndmask_b32 v31, v31, v10 :: v_dual_cndmask_b32 v30, v30, v11
	v_cmp_eq_u32_e32 vcc_lo, 5, v32
	s_delay_alu instid0(VALU_DEP_2) | instskip(SKIP_1) | instid1(VALU_DEP_2)
	;; [unrolled: 5-line block ×3, first 2 shown]
	v_dual_cndmask_b32 v31, v31, v16 :: v_dual_cndmask_b32 v30, v30, v17
	v_cmp_eq_u32_e32 vcc_lo, 8, v32
	v_dual_cndmask_b32 v31, v31, v18 :: v_dual_cndmask_b32 v30, v30, v19
	v_cmp_eq_u32_e32 vcc_lo, 9, v32
	s_delay_alu instid0(VALU_DEP_2) | instskip(NEXT) | instid1(VALU_DEP_3)
	v_cndmask_b32_e32 v35, v31, v20, vcc_lo
	v_cndmask_b32_e32 v33, v30, v21, vcc_lo
	v_cmp_eq_u32_e32 vcc_lo, 10, v32
	ds_load_b64 v[30:31], v94 offset:48
	v_cndmask_b32_e32 v33, v33, v23, vcc_lo
	v_cndmask_b32_e32 v35, v35, v22, vcc_lo
	v_cmp_eq_u32_e32 vcc_lo, 11, v32
	s_delay_alu instid0(VALU_DEP_3) | instskip(NEXT) | instid1(VALU_DEP_3)
	v_cndmask_b32_e32 v33, v33, v25, vcc_lo
	v_cndmask_b32_e32 v35, v35, v24, vcc_lo
	v_cmp_eq_u32_e32 vcc_lo, 12, v32
	s_delay_alu instid0(VALU_DEP_2) | instskip(SKIP_1) | instid1(VALU_DEP_1)
	v_dual_cndmask_b32 v32, v35, v26 :: v_dual_cndmask_b32 v33, v33, v27
	s_waitcnt lgkmcnt(0)
	v_fma_f64 v[28:29], v[32:33], v[30:31], v[28:29]
	v_cmpx_ne_u32_e32 2, v0
	s_cbranch_execz .LBB76_269
; %bb.266:
	v_add_nc_u32_e32 v30, 7, v0
	s_delay_alu instid0(VALU_DEP_1) | instskip(SKIP_2) | instid1(VALU_DEP_2)
	v_cmp_eq_u32_e32 vcc_lo, 1, v30
	v_dual_cndmask_b32 v31, v3, v5 :: v_dual_cndmask_b32 v32, v2, v4
	v_cmp_eq_u32_e32 vcc_lo, 2, v30
	v_dual_cndmask_b32 v31, v31, v7 :: v_dual_cndmask_b32 v32, v32, v6
	v_cmp_eq_u32_e32 vcc_lo, 3, v30
	s_delay_alu instid0(VALU_DEP_2) | instskip(SKIP_1) | instid1(VALU_DEP_2)
	v_dual_cndmask_b32 v31, v31, v9 :: v_dual_cndmask_b32 v32, v32, v8
	v_cmp_eq_u32_e32 vcc_lo, 4, v30
	v_dual_cndmask_b32 v31, v31, v11 :: v_dual_cndmask_b32 v32, v32, v10
	v_cmp_eq_u32_e32 vcc_lo, 5, v30
	s_delay_alu instid0(VALU_DEP_2) | instskip(SKIP_1) | instid1(VALU_DEP_2)
	;; [unrolled: 5-line block ×3, first 2 shown]
	v_dual_cndmask_b32 v31, v31, v17 :: v_dual_cndmask_b32 v32, v32, v16
	v_cmp_eq_u32_e32 vcc_lo, 8, v30
	v_dual_cndmask_b32 v31, v31, v19 :: v_dual_cndmask_b32 v32, v32, v18
	v_cmp_eq_u32_e32 vcc_lo, 9, v30
	s_delay_alu instid0(VALU_DEP_2) | instskip(SKIP_4) | instid1(VALU_DEP_2)
	v_dual_cndmask_b32 v31, v31, v21 :: v_dual_cndmask_b32 v32, v32, v20
	v_cmp_eq_u32_e32 vcc_lo, 10, v30
	ds_load_b64 v[20:21], v94 offset:56
	v_dual_cndmask_b32 v31, v31, v23 :: v_dual_cndmask_b32 v32, v32, v22
	v_cmp_eq_u32_e32 vcc_lo, 11, v30
	v_dual_cndmask_b32 v31, v31, v25 :: v_dual_cndmask_b32 v32, v32, v24
	v_cmp_eq_u32_e32 vcc_lo, 12, v30
	s_delay_alu instid0(VALU_DEP_2) | instskip(SKIP_1) | instid1(VALU_DEP_1)
	v_dual_cndmask_b32 v31, v31, v27 :: v_dual_cndmask_b32 v30, v32, v26
	s_waitcnt lgkmcnt(0)
	v_fma_f64 v[28:29], v[30:31], v[20:21], v[28:29]
	s_and_saveexec_b32 s9, s0
	s_cbranch_execz .LBB76_268
; %bb.267:
	ds_load_b64 v[20:21], v94 offset:64
	s_waitcnt lgkmcnt(0)
	v_fma_f64 v[28:29], v[18:19], v[20:21], v[28:29]
.LBB76_268:
	s_or_b32 exec_lo, exec_lo, s9
.LBB76_269:
	s_delay_alu instid0(SALU_CYCLE_1)
	s_or_b32 exec_lo, exec_lo, s1
.LBB76_270:
	s_delay_alu instid0(SALU_CYCLE_1)
	s_or_b32 exec_lo, exec_lo, s8
.LBB76_271:
	s_delay_alu instid0(SALU_CYCLE_1)
	s_or_b32 exec_lo, exec_lo, s2
.LBB76_272:
	s_delay_alu instid0(SALU_CYCLE_1)
	s_or_b32 exec_lo, exec_lo, s7
.LBB76_273:
	s_delay_alu instid0(SALU_CYCLE_1)
	s_or_b32 exec_lo, exec_lo, s3
.LBB76_274:
	s_delay_alu instid0(SALU_CYCLE_1)
	s_or_b32 exec_lo, exec_lo, s6
.LBB76_275:
	s_delay_alu instid0(SALU_CYCLE_1)
	s_or_b32 exec_lo, exec_lo, s5
	v_mov_b32_e32 v20, 0
	ds_load_b64 v[20:21], v20 offset:72
	s_waitcnt lgkmcnt(0)
	v_mul_f64 v[20:21], v[28:29], v[20:21]
.LBB76_276:
	s_or_b32 exec_lo, exec_lo, s4
	s_delay_alu instid0(SALU_CYCLE_1)
	s_mov_b32 s1, exec_lo
	ds_store_b64 v94, v[22:23]
	s_waitcnt lgkmcnt(0)
	s_barrier
	buffer_gl0_inv
	v_cmpx_gt_u32_e32 10, v0
	s_cbranch_execz .LBB76_286
; %bb.277:
	v_cmp_ne_u32_e32 vcc_lo, 1, v34
	s_cbranch_vccnz .LBB76_279
; %bb.278:
	v_cmp_eq_u32_e32 vcc_lo, 1, v0
	v_dual_cndmask_b32 v28, v3, v5 :: v_dual_cndmask_b32 v29, v2, v4
	v_cmp_eq_u32_e32 vcc_lo, 2, v0
	s_delay_alu instid0(VALU_DEP_2) | instskip(SKIP_1) | instid1(VALU_DEP_2)
	v_dual_cndmask_b32 v28, v28, v7 :: v_dual_cndmask_b32 v29, v29, v6
	v_cmp_eq_u32_e32 vcc_lo, 3, v0
	v_dual_cndmask_b32 v28, v28, v9 :: v_dual_cndmask_b32 v29, v29, v8
	v_cmp_eq_u32_e32 vcc_lo, 4, v0
	s_delay_alu instid0(VALU_DEP_2) | instskip(SKIP_1) | instid1(VALU_DEP_2)
	v_dual_cndmask_b32 v28, v28, v11 :: v_dual_cndmask_b32 v29, v29, v10
	;; [unrolled: 5-line block ×4, first 2 shown]
	v_cmp_eq_u32_e32 vcc_lo, 9, v0
	v_dual_cndmask_b32 v30, v28, v21 :: v_dual_cndmask_b32 v31, v29, v20
	v_cmp_eq_u32_e32 vcc_lo, 10, v0
	ds_load_b64 v[28:29], v94
	v_dual_cndmask_b32 v30, v30, v23 :: v_dual_cndmask_b32 v31, v31, v22
	v_cmp_eq_u32_e32 vcc_lo, 11, v0
	s_delay_alu instid0(VALU_DEP_2) | instskip(NEXT) | instid1(VALU_DEP_3)
	v_cndmask_b32_e32 v30, v30, v25, vcc_lo
	v_cndmask_b32_e32 v32, v31, v24, vcc_lo
	v_cmp_eq_u32_e32 vcc_lo, 12, v0
	s_delay_alu instid0(VALU_DEP_2) | instskip(SKIP_1) | instid1(VALU_DEP_1)
	v_dual_cndmask_b32 v31, v30, v27 :: v_dual_cndmask_b32 v30, v32, v26
	s_waitcnt lgkmcnt(0)
	v_mul_f64 v[28:29], v[30:31], v[28:29]
	s_cbranch_execz .LBB76_280
	s_branch .LBB76_281
.LBB76_279:
                                        ; implicit-def: $vgpr28_vgpr29
.LBB76_280:
	ds_load_b64 v[28:29], v94
.LBB76_281:
	s_mov_b32 s2, exec_lo
	v_cmpx_ne_u32_e32 9, v0
	s_cbranch_execz .LBB76_285
; %bb.282:
	v_lshl_add_u32 v32, v0, 3, 0x78
	v_dual_mov_b32 v31, v1 :: v_dual_mov_b32 v30, v0
	s_mov_b32 s3, 0
.LBB76_283:                             ; =>This Inner Loop Header: Depth=1
	s_delay_alu instid0(VALU_DEP_1) | instskip(NEXT) | instid1(VALU_DEP_2)
	v_add_co_u32 v30, vcc_lo, v30, 1
	v_add_co_ci_u32_e32 v31, vcc_lo, 0, v31, vcc_lo
	s_delay_alu instid0(VALU_DEP_2) | instskip(SKIP_4) | instid1(VALU_DEP_3)
	v_cmp_eq_u32_e32 vcc_lo, 1, v30
	v_cmp_eq_u32_e64 s0, 2, v30
	v_cndmask_b32_e32 v33, v3, v5, vcc_lo
	v_cndmask_b32_e32 v35, v2, v4, vcc_lo
	v_cmp_eq_u32_e32 vcc_lo, 3, v30
	v_cndmask_b32_e64 v33, v33, v7, s0
	s_delay_alu instid0(VALU_DEP_3) | instskip(SKIP_1) | instid1(VALU_DEP_3)
	v_cndmask_b32_e64 v35, v35, v6, s0
	v_cmp_eq_u32_e64 s0, 4, v30
	v_cndmask_b32_e32 v33, v33, v9, vcc_lo
	s_delay_alu instid0(VALU_DEP_3) | instskip(SKIP_1) | instid1(VALU_DEP_3)
	v_cndmask_b32_e32 v35, v35, v8, vcc_lo
	v_cmp_eq_u32_e32 vcc_lo, 5, v30
	v_cndmask_b32_e64 v33, v33, v11, s0
	s_delay_alu instid0(VALU_DEP_3) | instskip(SKIP_1) | instid1(VALU_DEP_3)
	v_cndmask_b32_e64 v35, v35, v10, s0
	v_cmp_eq_u32_e64 s0, 6, v30
	v_cndmask_b32_e32 v33, v33, v13, vcc_lo
	s_delay_alu instid0(VALU_DEP_3) | instskip(SKIP_1) | instid1(VALU_DEP_3)
	v_cndmask_b32_e32 v35, v35, v12, vcc_lo
	v_cmp_eq_u32_e32 vcc_lo, 7, v30
	v_cndmask_b32_e64 v33, v33, v15, s0
	s_delay_alu instid0(VALU_DEP_3) | instskip(SKIP_1) | instid1(VALU_DEP_3)
	v_cndmask_b32_e64 v35, v35, v14, s0
	v_cmp_eq_u32_e64 s0, 8, v30
	v_cndmask_b32_e32 v33, v33, v17, vcc_lo
	s_delay_alu instid0(VALU_DEP_3) | instskip(SKIP_1) | instid1(VALU_DEP_3)
	v_cndmask_b32_e32 v35, v35, v16, vcc_lo
	v_cmp_eq_u32_e32 vcc_lo, 9, v30
	v_cndmask_b32_e64 v33, v33, v19, s0
	s_delay_alu instid0(VALU_DEP_3)
	v_cndmask_b32_e64 v37, v35, v18, s0
	ds_load_b64 v[35:36], v32
	v_add_nc_u32_e32 v32, 8, v32
	v_cmp_eq_u32_e64 s0, 10, v30
	v_cndmask_b32_e32 v33, v33, v21, vcc_lo
	v_cndmask_b32_e32 v37, v37, v20, vcc_lo
	v_cmp_eq_u32_e32 vcc_lo, 11, v30
	s_delay_alu instid0(VALU_DEP_3) | instskip(NEXT) | instid1(VALU_DEP_3)
	v_cndmask_b32_e64 v33, v33, v23, s0
	v_cndmask_b32_e64 v37, v37, v22, s0
	v_cmp_eq_u32_e64 s0, 12, v30
	s_delay_alu instid0(VALU_DEP_3) | instskip(NEXT) | instid1(VALU_DEP_3)
	v_cndmask_b32_e32 v33, v33, v25, vcc_lo
	v_cndmask_b32_e32 v37, v37, v24, vcc_lo
	v_cmp_lt_u32_e32 vcc_lo, 8, v30
	s_delay_alu instid0(VALU_DEP_3) | instskip(NEXT) | instid1(VALU_DEP_3)
	v_cndmask_b32_e64 v38, v33, v27, s0
	v_cndmask_b32_e64 v37, v37, v26, s0
	s_or_b32 s3, vcc_lo, s3
	s_waitcnt lgkmcnt(0)
	s_delay_alu instid0(VALU_DEP_1)
	v_fma_f64 v[28:29], v[37:38], v[35:36], v[28:29]
	s_and_not1_b32 exec_lo, exec_lo, s3
	s_cbranch_execnz .LBB76_283
; %bb.284:
	s_or_b32 exec_lo, exec_lo, s3
.LBB76_285:
	s_delay_alu instid0(SALU_CYCLE_1)
	s_or_b32 exec_lo, exec_lo, s2
	v_mov_b32_e32 v22, 0
	ds_load_b64 v[22:23], v22 offset:80
	s_waitcnt lgkmcnt(0)
	v_mul_f64 v[22:23], v[28:29], v[22:23]
.LBB76_286:
	s_or_b32 exec_lo, exec_lo, s1
	v_cmp_gt_u32_e64 s0, 11, v0
	ds_store_b64 v94, v[24:25]
	s_waitcnt lgkmcnt(0)
	s_barrier
	buffer_gl0_inv
	s_and_saveexec_b32 s2, s0
	s_cbranch_execz .LBB76_296
; %bb.287:
	v_cmp_ne_u32_e32 vcc_lo, 1, v34
	s_cbranch_vccnz .LBB76_289
; %bb.288:
	v_cmp_eq_u32_e32 vcc_lo, 1, v0
	v_dual_cndmask_b32 v28, v3, v5 :: v_dual_cndmask_b32 v29, v2, v4
	v_cmp_eq_u32_e32 vcc_lo, 2, v0
	s_delay_alu instid0(VALU_DEP_2) | instskip(SKIP_1) | instid1(VALU_DEP_2)
	v_dual_cndmask_b32 v28, v28, v7 :: v_dual_cndmask_b32 v29, v29, v6
	v_cmp_eq_u32_e32 vcc_lo, 3, v0
	v_dual_cndmask_b32 v28, v28, v9 :: v_dual_cndmask_b32 v29, v29, v8
	v_cmp_eq_u32_e32 vcc_lo, 4, v0
	s_delay_alu instid0(VALU_DEP_2) | instskip(SKIP_1) | instid1(VALU_DEP_2)
	v_dual_cndmask_b32 v28, v28, v11 :: v_dual_cndmask_b32 v29, v29, v10
	;; [unrolled: 5-line block ×4, first 2 shown]
	v_cmp_eq_u32_e32 vcc_lo, 9, v0
	v_dual_cndmask_b32 v30, v28, v21 :: v_dual_cndmask_b32 v31, v29, v20
	v_cmp_eq_u32_e32 vcc_lo, 10, v0
	ds_load_b64 v[28:29], v94
	v_dual_cndmask_b32 v30, v30, v23 :: v_dual_cndmask_b32 v31, v31, v22
	v_cmp_eq_u32_e32 vcc_lo, 11, v0
	s_delay_alu instid0(VALU_DEP_2) | instskip(NEXT) | instid1(VALU_DEP_3)
	v_cndmask_b32_e32 v30, v30, v25, vcc_lo
	v_cndmask_b32_e32 v32, v31, v24, vcc_lo
	v_cmp_eq_u32_e32 vcc_lo, 12, v0
	s_delay_alu instid0(VALU_DEP_2) | instskip(SKIP_1) | instid1(VALU_DEP_1)
	v_dual_cndmask_b32 v31, v30, v27 :: v_dual_cndmask_b32 v30, v32, v26
	s_waitcnt lgkmcnt(0)
	v_mul_f64 v[28:29], v[30:31], v[28:29]
	s_cbranch_execz .LBB76_290
	s_branch .LBB76_291
.LBB76_289:
                                        ; implicit-def: $vgpr28_vgpr29
.LBB76_290:
	ds_load_b64 v[28:29], v94
.LBB76_291:
	s_mov_b32 s3, exec_lo
	v_cmpx_ne_u32_e32 10, v0
	s_cbranch_execz .LBB76_295
; %bb.292:
	v_lshl_add_u32 v32, v0, 3, 0x78
	v_dual_mov_b32 v31, v1 :: v_dual_mov_b32 v30, v0
	s_mov_b32 s4, 0
.LBB76_293:                             ; =>This Inner Loop Header: Depth=1
	s_delay_alu instid0(VALU_DEP_1) | instskip(NEXT) | instid1(VALU_DEP_2)
	v_add_co_u32 v30, vcc_lo, v30, 1
	v_add_co_ci_u32_e32 v31, vcc_lo, 0, v31, vcc_lo
	s_delay_alu instid0(VALU_DEP_2) | instskip(SKIP_4) | instid1(VALU_DEP_3)
	v_cmp_eq_u32_e32 vcc_lo, 1, v30
	v_cmp_eq_u32_e64 s1, 2, v30
	v_cndmask_b32_e32 v33, v3, v5, vcc_lo
	v_cndmask_b32_e32 v35, v2, v4, vcc_lo
	v_cmp_eq_u32_e32 vcc_lo, 3, v30
	v_cndmask_b32_e64 v33, v33, v7, s1
	s_delay_alu instid0(VALU_DEP_3) | instskip(SKIP_1) | instid1(VALU_DEP_3)
	v_cndmask_b32_e64 v35, v35, v6, s1
	v_cmp_eq_u32_e64 s1, 4, v30
	v_cndmask_b32_e32 v33, v33, v9, vcc_lo
	s_delay_alu instid0(VALU_DEP_3) | instskip(SKIP_1) | instid1(VALU_DEP_3)
	v_cndmask_b32_e32 v35, v35, v8, vcc_lo
	v_cmp_eq_u32_e32 vcc_lo, 5, v30
	v_cndmask_b32_e64 v33, v33, v11, s1
	s_delay_alu instid0(VALU_DEP_3) | instskip(SKIP_1) | instid1(VALU_DEP_3)
	v_cndmask_b32_e64 v35, v35, v10, s1
	v_cmp_eq_u32_e64 s1, 6, v30
	v_cndmask_b32_e32 v33, v33, v13, vcc_lo
	s_delay_alu instid0(VALU_DEP_3) | instskip(SKIP_1) | instid1(VALU_DEP_3)
	v_cndmask_b32_e32 v35, v35, v12, vcc_lo
	v_cmp_eq_u32_e32 vcc_lo, 7, v30
	v_cndmask_b32_e64 v33, v33, v15, s1
	s_delay_alu instid0(VALU_DEP_3) | instskip(SKIP_1) | instid1(VALU_DEP_3)
	v_cndmask_b32_e64 v35, v35, v14, s1
	v_cmp_eq_u32_e64 s1, 8, v30
	v_cndmask_b32_e32 v33, v33, v17, vcc_lo
	s_delay_alu instid0(VALU_DEP_3) | instskip(SKIP_1) | instid1(VALU_DEP_3)
	v_cndmask_b32_e32 v35, v35, v16, vcc_lo
	v_cmp_eq_u32_e32 vcc_lo, 9, v30
	v_cndmask_b32_e64 v33, v33, v19, s1
	s_delay_alu instid0(VALU_DEP_3)
	v_cndmask_b32_e64 v37, v35, v18, s1
	ds_load_b64 v[35:36], v32
	v_add_nc_u32_e32 v32, 8, v32
	v_cmp_eq_u32_e64 s1, 10, v30
	v_cndmask_b32_e32 v33, v33, v21, vcc_lo
	v_cndmask_b32_e32 v37, v37, v20, vcc_lo
	v_cmp_eq_u32_e32 vcc_lo, 11, v30
	s_delay_alu instid0(VALU_DEP_3) | instskip(NEXT) | instid1(VALU_DEP_3)
	v_cndmask_b32_e64 v33, v33, v23, s1
	v_cndmask_b32_e64 v37, v37, v22, s1
	v_cmp_eq_u32_e64 s1, 12, v30
	s_delay_alu instid0(VALU_DEP_3) | instskip(NEXT) | instid1(VALU_DEP_3)
	v_cndmask_b32_e32 v33, v33, v25, vcc_lo
	v_cndmask_b32_e32 v37, v37, v24, vcc_lo
	v_cmp_lt_u32_e32 vcc_lo, 9, v30
	s_delay_alu instid0(VALU_DEP_3) | instskip(NEXT) | instid1(VALU_DEP_3)
	v_cndmask_b32_e64 v38, v33, v27, s1
	v_cndmask_b32_e64 v37, v37, v26, s1
	s_or_b32 s4, vcc_lo, s4
	s_waitcnt lgkmcnt(0)
	s_delay_alu instid0(VALU_DEP_1)
	v_fma_f64 v[28:29], v[37:38], v[35:36], v[28:29]
	s_and_not1_b32 exec_lo, exec_lo, s4
	s_cbranch_execnz .LBB76_293
; %bb.294:
	s_or_b32 exec_lo, exec_lo, s4
.LBB76_295:
	s_delay_alu instid0(SALU_CYCLE_1)
	s_or_b32 exec_lo, exec_lo, s3
	v_mov_b32_e32 v24, 0
	ds_load_b64 v[24:25], v24 offset:88
	s_waitcnt lgkmcnt(0)
	v_mul_f64 v[24:25], v[28:29], v[24:25]
.LBB76_296:
	s_or_b32 exec_lo, exec_lo, s2
	s_delay_alu instid0(SALU_CYCLE_1)
	s_mov_b32 s1, exec_lo
	ds_store_b64 v94, v[26:27]
	s_waitcnt lgkmcnt(0)
	s_barrier
	buffer_gl0_inv
	v_cmpx_ne_u32_e32 12, v0
	s_cbranch_execz .LBB76_306
; %bb.297:
	v_cmp_ne_u32_e32 vcc_lo, 1, v34
	s_cbranch_vccnz .LBB76_299
; %bb.298:
	v_cmp_eq_u32_e32 vcc_lo, 1, v0
	v_dual_cndmask_b32 v28, v3, v5 :: v_dual_cndmask_b32 v29, v2, v4
	v_cmp_eq_u32_e32 vcc_lo, 2, v0
	s_delay_alu instid0(VALU_DEP_2) | instskip(SKIP_1) | instid1(VALU_DEP_2)
	v_dual_cndmask_b32 v28, v28, v7 :: v_dual_cndmask_b32 v29, v29, v6
	v_cmp_eq_u32_e32 vcc_lo, 3, v0
	v_dual_cndmask_b32 v28, v28, v9 :: v_dual_cndmask_b32 v29, v29, v8
	v_cmp_eq_u32_e32 vcc_lo, 4, v0
	s_delay_alu instid0(VALU_DEP_2) | instskip(SKIP_1) | instid1(VALU_DEP_2)
	v_dual_cndmask_b32 v28, v28, v11 :: v_dual_cndmask_b32 v29, v29, v10
	;; [unrolled: 5-line block ×4, first 2 shown]
	v_cmp_eq_u32_e32 vcc_lo, 9, v0
	v_dual_cndmask_b32 v30, v28, v21 :: v_dual_cndmask_b32 v31, v29, v20
	v_cmp_eq_u32_e32 vcc_lo, 10, v0
	ds_load_b64 v[28:29], v94
	v_dual_cndmask_b32 v30, v30, v23 :: v_dual_cndmask_b32 v31, v31, v22
	v_cmp_eq_u32_e32 vcc_lo, 11, v0
	s_delay_alu instid0(VALU_DEP_2) | instskip(NEXT) | instid1(VALU_DEP_3)
	v_cndmask_b32_e32 v30, v30, v25, vcc_lo
	v_cndmask_b32_e32 v32, v31, v24, vcc_lo
	v_cmp_eq_u32_e32 vcc_lo, 12, v0
	s_delay_alu instid0(VALU_DEP_2) | instskip(SKIP_1) | instid1(VALU_DEP_1)
	v_dual_cndmask_b32 v31, v30, v27 :: v_dual_cndmask_b32 v30, v32, v26
	s_waitcnt lgkmcnt(0)
	v_mul_f64 v[28:29], v[30:31], v[28:29]
	s_cbranch_execz .LBB76_300
	s_branch .LBB76_301
.LBB76_299:
                                        ; implicit-def: $vgpr28_vgpr29
.LBB76_300:
	ds_load_b64 v[28:29], v94
.LBB76_301:
	s_and_saveexec_b32 s2, s0
	s_cbranch_execz .LBB76_305
; %bb.302:
	v_lshl_add_u32 v30, v0, 3, 0x78
	s_mov_b32 s3, 0
.LBB76_303:                             ; =>This Inner Loop Header: Depth=1
	v_add_co_u32 v0, vcc_lo, v0, 1
	v_add_co_ci_u32_e32 v1, vcc_lo, 0, v1, vcc_lo
	s_delay_alu instid0(VALU_DEP_2) | instskip(SKIP_3) | instid1(VALU_DEP_2)
	v_cmp_eq_u32_e32 vcc_lo, 1, v0
	v_cmp_eq_u32_e64 s0, 2, v0
	v_dual_cndmask_b32 v31, v3, v5 :: v_dual_cndmask_b32 v32, v2, v4
	v_cmp_eq_u32_e32 vcc_lo, 3, v0
	v_cndmask_b32_e64 v31, v31, v7, s0
	s_delay_alu instid0(VALU_DEP_3) | instskip(SKIP_1) | instid1(VALU_DEP_2)
	v_cndmask_b32_e64 v32, v32, v6, s0
	v_cmp_eq_u32_e64 s0, 4, v0
	v_dual_cndmask_b32 v31, v31, v9 :: v_dual_cndmask_b32 v32, v32, v8
	v_cmp_eq_u32_e32 vcc_lo, 5, v0
	s_delay_alu instid0(VALU_DEP_2) | instskip(NEXT) | instid1(VALU_DEP_3)
	v_cndmask_b32_e64 v31, v31, v11, s0
	v_cndmask_b32_e64 v32, v32, v10, s0
	v_cmp_eq_u32_e64 s0, 6, v0
	s_delay_alu instid0(VALU_DEP_2) | instskip(SKIP_1) | instid1(VALU_DEP_2)
	v_dual_cndmask_b32 v31, v31, v13 :: v_dual_cndmask_b32 v32, v32, v12
	v_cmp_eq_u32_e32 vcc_lo, 7, v0
	v_cndmask_b32_e64 v31, v31, v15, s0
	s_delay_alu instid0(VALU_DEP_3) | instskip(SKIP_1) | instid1(VALU_DEP_2)
	v_cndmask_b32_e64 v32, v32, v14, s0
	v_cmp_eq_u32_e64 s0, 8, v0
	v_dual_cndmask_b32 v31, v31, v17 :: v_dual_cndmask_b32 v32, v32, v16
	v_cmp_eq_u32_e32 vcc_lo, 9, v0
	s_delay_alu instid0(VALU_DEP_2) | instskip(NEXT) | instid1(VALU_DEP_3)
	v_cndmask_b32_e64 v33, v31, v19, s0
	v_cndmask_b32_e64 v34, v32, v18, s0
	ds_load_b64 v[31:32], v30
	v_cmp_eq_u32_e64 s0, 10, v0
	v_dual_cndmask_b32 v33, v33, v21 :: v_dual_add_nc_u32 v30, 8, v30
	v_cndmask_b32_e32 v34, v34, v20, vcc_lo
	v_cmp_eq_u32_e32 vcc_lo, 11, v0
	s_delay_alu instid0(VALU_DEP_3) | instskip(NEXT) | instid1(VALU_DEP_3)
	v_cndmask_b32_e64 v33, v33, v23, s0
	v_cndmask_b32_e64 v34, v34, v22, s0
	v_cmp_eq_u32_e64 s0, 12, v0
	s_delay_alu instid0(VALU_DEP_3) | instskip(NEXT) | instid1(VALU_DEP_3)
	v_cndmask_b32_e32 v33, v33, v25, vcc_lo
	v_cndmask_b32_e32 v35, v34, v24, vcc_lo
	v_cmp_lt_u32_e32 vcc_lo, 10, v0
	s_delay_alu instid0(VALU_DEP_3) | instskip(NEXT) | instid1(VALU_DEP_3)
	v_cndmask_b32_e64 v34, v33, v27, s0
	v_cndmask_b32_e64 v33, v35, v26, s0
	s_or_b32 s3, vcc_lo, s3
	s_waitcnt lgkmcnt(0)
	s_delay_alu instid0(VALU_DEP_1)
	v_fma_f64 v[28:29], v[33:34], v[31:32], v[28:29]
	s_and_not1_b32 exec_lo, exec_lo, s3
	s_cbranch_execnz .LBB76_303
; %bb.304:
	s_or_b32 exec_lo, exec_lo, s3
.LBB76_305:
	s_delay_alu instid0(SALU_CYCLE_1)
	s_or_b32 exec_lo, exec_lo, s2
	v_mov_b32_e32 v0, 0
	ds_load_b64 v[0:1], v0 offset:96
	s_waitcnt lgkmcnt(0)
	v_mul_f64 v[26:27], v[28:29], v[0:1]
.LBB76_306:
	s_or_b32 exec_lo, exec_lo, s1
	v_dual_mov_b32 v65, v33 :: v_dual_mov_b32 v64, v32
	v_dual_mov_b32 v63, v31 :: v_dual_mov_b32 v62, v30
	;; [unrolled: 1-line block ×3, first 2 shown]
	s_delay_alu instid0(VALU_DEP_4)
	v_dual_mov_b32 v59, v27 :: v_dual_mov_b32 v58, v26
	v_dual_mov_b32 v57, v25 :: v_dual_mov_b32 v56, v24
	;; [unrolled: 1-line block ×13, first 2 shown]
.LBB76_307:
	s_clause 0xc
	global_store_b64 v[72:73], v[34:35], off
	global_store_b64 v[74:75], v[36:37], off
	;; [unrolled: 1-line block ×13, first 2 shown]
.LBB76_308:
	s_nop 0
	s_sendmsg sendmsg(MSG_DEALLOC_VGPRS)
	s_endpgm
	.section	.rodata,"a",@progbits
	.p2align	6, 0x0
	.amdhsa_kernel _ZN9rocsolver6v33100L18trti2_kernel_smallILi13EdPKPdEEv13rocblas_fill_17rocblas_diagonal_T1_iil
		.amdhsa_group_segment_fixed_size 216
		.amdhsa_private_segment_fixed_size 0
		.amdhsa_kernarg_size 32
		.amdhsa_user_sgpr_count 15
		.amdhsa_user_sgpr_dispatch_ptr 0
		.amdhsa_user_sgpr_queue_ptr 0
		.amdhsa_user_sgpr_kernarg_segment_ptr 1
		.amdhsa_user_sgpr_dispatch_id 0
		.amdhsa_user_sgpr_private_segment_size 0
		.amdhsa_wavefront_size32 1
		.amdhsa_uses_dynamic_stack 0
		.amdhsa_enable_private_segment 0
		.amdhsa_system_sgpr_workgroup_id_x 1
		.amdhsa_system_sgpr_workgroup_id_y 0
		.amdhsa_system_sgpr_workgroup_id_z 0
		.amdhsa_system_sgpr_workgroup_info 0
		.amdhsa_system_vgpr_workitem_id 0
		.amdhsa_next_free_vgpr 108
		.amdhsa_next_free_sgpr 20
		.amdhsa_reserve_vcc 1
		.amdhsa_float_round_mode_32 0
		.amdhsa_float_round_mode_16_64 0
		.amdhsa_float_denorm_mode_32 3
		.amdhsa_float_denorm_mode_16_64 3
		.amdhsa_dx10_clamp 1
		.amdhsa_ieee_mode 1
		.amdhsa_fp16_overflow 0
		.amdhsa_workgroup_processor_mode 1
		.amdhsa_memory_ordered 1
		.amdhsa_forward_progress 0
		.amdhsa_shared_vgpr_count 0
		.amdhsa_exception_fp_ieee_invalid_op 0
		.amdhsa_exception_fp_denorm_src 0
		.amdhsa_exception_fp_ieee_div_zero 0
		.amdhsa_exception_fp_ieee_overflow 0
		.amdhsa_exception_fp_ieee_underflow 0
		.amdhsa_exception_fp_ieee_inexact 0
		.amdhsa_exception_int_div_zero 0
	.end_amdhsa_kernel
	.section	.text._ZN9rocsolver6v33100L18trti2_kernel_smallILi13EdPKPdEEv13rocblas_fill_17rocblas_diagonal_T1_iil,"axG",@progbits,_ZN9rocsolver6v33100L18trti2_kernel_smallILi13EdPKPdEEv13rocblas_fill_17rocblas_diagonal_T1_iil,comdat
.Lfunc_end76:
	.size	_ZN9rocsolver6v33100L18trti2_kernel_smallILi13EdPKPdEEv13rocblas_fill_17rocblas_diagonal_T1_iil, .Lfunc_end76-_ZN9rocsolver6v33100L18trti2_kernel_smallILi13EdPKPdEEv13rocblas_fill_17rocblas_diagonal_T1_iil
                                        ; -- End function
	.section	.AMDGPU.csdata,"",@progbits
; Kernel info:
; codeLenInByte = 21040
; NumSgprs: 22
; NumVgprs: 108
; ScratchSize: 0
; MemoryBound: 0
; FloatMode: 240
; IeeeMode: 1
; LDSByteSize: 216 bytes/workgroup (compile time only)
; SGPRBlocks: 2
; VGPRBlocks: 13
; NumSGPRsForWavesPerEU: 22
; NumVGPRsForWavesPerEU: 108
; Occupancy: 12
; WaveLimiterHint : 1
; COMPUTE_PGM_RSRC2:SCRATCH_EN: 0
; COMPUTE_PGM_RSRC2:USER_SGPR: 15
; COMPUTE_PGM_RSRC2:TRAP_HANDLER: 0
; COMPUTE_PGM_RSRC2:TGID_X_EN: 1
; COMPUTE_PGM_RSRC2:TGID_Y_EN: 0
; COMPUTE_PGM_RSRC2:TGID_Z_EN: 0
; COMPUTE_PGM_RSRC2:TIDIG_COMP_CNT: 0
	.section	.text._ZN9rocsolver6v33100L18trti2_kernel_smallILi14EdPKPdEEv13rocblas_fill_17rocblas_diagonal_T1_iil,"axG",@progbits,_ZN9rocsolver6v33100L18trti2_kernel_smallILi14EdPKPdEEv13rocblas_fill_17rocblas_diagonal_T1_iil,comdat
	.globl	_ZN9rocsolver6v33100L18trti2_kernel_smallILi14EdPKPdEEv13rocblas_fill_17rocblas_diagonal_T1_iil ; -- Begin function _ZN9rocsolver6v33100L18trti2_kernel_smallILi14EdPKPdEEv13rocblas_fill_17rocblas_diagonal_T1_iil
	.p2align	8
	.type	_ZN9rocsolver6v33100L18trti2_kernel_smallILi14EdPKPdEEv13rocblas_fill_17rocblas_diagonal_T1_iil,@function
_ZN9rocsolver6v33100L18trti2_kernel_smallILi14EdPKPdEEv13rocblas_fill_17rocblas_diagonal_T1_iil: ; @_ZN9rocsolver6v33100L18trti2_kernel_smallILi14EdPKPdEEv13rocblas_fill_17rocblas_diagonal_T1_iil
; %bb.0:
	s_mov_b32 s2, exec_lo
	v_cmpx_gt_u32_e32 14, v0
	s_cbranch_execz .LBB77_334
; %bb.1:
	s_clause 0x1
	s_load_b64 s[2:3], s[0:1], 0x10
	s_load_b128 s[16:19], s[0:1], 0x0
	s_mov_b32 s4, s15
	s_ashr_i32 s5, s15, 31
	v_lshlrev_b32_e32 v36, 3, v0
	s_lshl_b64 s[0:1], s[4:5], 3
	v_mov_b32_e32 v34, 0
	v_mov_b32_e32 v35, 0xbff00000
	s_waitcnt lgkmcnt(0)
	s_ashr_i32 s5, s2, 31
	s_add_u32 s0, s18, s0
	s_addc_u32 s1, s19, s1
	v_add3_u32 v1, s3, s3, v0
	s_load_b64 s[0:1], s[0:1], 0x0
	s_mov_b32 s4, s2
	s_mov_b32 s6, s3
	s_lshl_b64 s[4:5], s[4:5], 3
	v_add_nc_u32_e32 v3, s3, v1
	v_ashrrev_i32_e32 v2, 31, v1
	s_delay_alu instid0(VALU_DEP_2) | instskip(SKIP_1) | instid1(VALU_DEP_3)
	v_add_nc_u32_e32 v5, s3, v3
	v_ashrrev_i32_e32 v4, 31, v3
	v_lshlrev_b64 v[1:2], 3, v[1:2]
	s_delay_alu instid0(VALU_DEP_3) | instskip(NEXT) | instid1(VALU_DEP_3)
	v_add_nc_u32_e32 v7, s3, v5
	v_lshlrev_b64 v[3:4], 3, v[3:4]
	v_ashrrev_i32_e32 v6, 31, v5
	s_delay_alu instid0(VALU_DEP_3)
	v_add_nc_u32_e32 v9, s3, v7
	s_waitcnt lgkmcnt(0)
	s_add_u32 s0, s0, s4
	s_addc_u32 s1, s1, s5
	v_add_co_u32 v70, vcc_lo, s0, v1
	v_ashrrev_i32_e32 v8, 31, v7
	v_add_co_u32 v72, s2, s0, v36
	s_ashr_i32 s7, s3, 31
	v_add_co_ci_u32_e32 v71, vcc_lo, s1, v2, vcc_lo
	v_lshlrev_b64 v[5:6], 3, v[5:6]
	v_add_nc_u32_e32 v14, s3, v9
	v_add_co_ci_u32_e64 v73, null, s1, 0, s2
	v_add_co_u32 v68, vcc_lo, s0, v3
	s_lshl_b64 s[4:5], s[6:7], 3
	v_ashrrev_i32_e32 v10, 31, v9
	v_add_co_ci_u32_e32 v69, vcc_lo, s1, v4, vcc_lo
	v_lshlrev_b64 v[12:13], 3, v[7:8]
	v_add_co_u32 v74, vcc_lo, v72, s4
	v_add_co_ci_u32_e32 v75, vcc_lo, s5, v73, vcc_lo
	v_add_nc_u32_e32 v16, s3, v14
	v_add_co_u32 v66, vcc_lo, s0, v5
	v_ashrrev_i32_e32 v15, 31, v14
	v_lshlrev_b64 v[1:2], 3, v[9:10]
	v_add_co_ci_u32_e32 v67, vcc_lo, s1, v6, vcc_lo
	v_add_co_u32 v78, vcc_lo, s0, v12
	v_ashrrev_i32_e32 v17, 31, v16
	v_add_co_ci_u32_e32 v79, vcc_lo, s1, v13, vcc_lo
	v_lshlrev_b64 v[12:13], 3, v[14:15]
	v_add_nc_u32_e32 v14, s3, v16
	v_add_co_u32 v76, vcc_lo, s0, v1
	v_add_co_ci_u32_e32 v77, vcc_lo, s1, v2, vcc_lo
	v_lshlrev_b64 v[1:2], 3, v[16:17]
	s_delay_alu instid0(VALU_DEP_4)
	v_add_nc_u32_e32 v20, s3, v14
	v_add_co_u32 v80, vcc_lo, s0, v12
	v_ashrrev_i32_e32 v15, 31, v14
	v_add_co_ci_u32_e32 v81, vcc_lo, s1, v13, vcc_lo
	v_add_co_u32 v82, vcc_lo, s0, v1
	v_add_nc_u32_e32 v22, s3, v20
	v_add_co_ci_u32_e32 v83, vcc_lo, s1, v2, vcc_lo
	v_lshlrev_b64 v[1:2], 3, v[14:15]
	v_ashrrev_i32_e32 v21, 31, v20
	s_delay_alu instid0(VALU_DEP_4)
	v_ashrrev_i32_e32 v23, 31, v22
	v_add_nc_u32_e32 v24, s3, v22
	s_clause 0x7
	global_load_b64 v[4:5], v[74:75], off
	global_load_b64 v[6:7], v[70:71], off
	;; [unrolled: 1-line block ×8, first 2 shown]
	v_add_co_u32 v84, vcc_lo, s0, v1
	v_lshlrev_b64 v[20:21], 3, v[20:21]
	v_add_co_ci_u32_e32 v85, vcc_lo, s1, v2, vcc_lo
	v_lshlrev_b64 v[1:2], 3, v[22:23]
	v_add_nc_u32_e32 v22, s3, v24
	v_ashrrev_i32_e32 v25, 31, v24
	v_add_co_u32 v92, vcc_lo, s0, v20
	v_add_co_ci_u32_e32 v93, vcc_lo, s1, v21, vcc_lo
	s_delay_alu instid0(VALU_DEP_4) | instskip(NEXT) | instid1(VALU_DEP_4)
	v_ashrrev_i32_e32 v23, 31, v22
	v_lshlrev_b64 v[20:21], 3, v[24:25]
	v_add_co_u32 v88, vcc_lo, s0, v1
	v_add_co_ci_u32_e32 v89, vcc_lo, s1, v2, vcc_lo
	s_delay_alu instid0(VALU_DEP_4) | instskip(NEXT) | instid1(VALU_DEP_4)
	v_lshlrev_b64 v[1:2], 3, v[22:23]
	v_add_co_u32 v90, vcc_lo, s0, v20
	v_add_co_ci_u32_e32 v91, vcc_lo, s1, v21, vcc_lo
	s_cmpk_lg_i32 s17, 0x84
	s_delay_alu instid0(VALU_DEP_3) | instskip(NEXT) | instid1(VALU_DEP_4)
	v_add_co_u32 v86, vcc_lo, s0, v1
	v_add_co_ci_u32_e32 v87, vcc_lo, s1, v2, vcc_lo
	v_mov_b32_e32 v1, 0
	s_clause 0x5
	global_load_b64 v[20:21], v[84:85], off
	global_load_b64 v[22:23], v[92:93], off
	;; [unrolled: 1-line block ×4, first 2 shown]
	global_load_b64 v[2:3], v36, s[0:1]
	global_load_b64 v[28:29], v[86:87], off
	v_cmp_eq_u32_e64 s0, 0, v0
	s_cselect_b32 s14, -1, 0
	s_cmpk_eq_i32 s17, 0x84
	s_cbranch_scc1 .LBB77_3
; %bb.2:
	v_cmp_eq_u32_e64 s1, 1, v0
	v_cmp_eq_u32_e64 s2, 2, v0
	v_cmp_eq_u32_e64 s3, 3, v0
	v_cmp_eq_u32_e64 s4, 4, v0
	v_cmp_eq_u32_e64 s5, 5, v0
	s_waitcnt vmcnt(1)
	v_cndmask_b32_e64 v30, v3, v5, s1
	v_cndmask_b32_e64 v31, v2, v4, s1
	v_cmp_eq_u32_e64 s6, 6, v0
	v_cmp_eq_u32_e64 s7, 7, v0
	;; [unrolled: 1-line block ×3, first 2 shown]
	v_cndmask_b32_e64 v30, v30, v7, s2
	v_cndmask_b32_e64 v31, v31, v6, s2
	v_cmp_eq_u32_e64 s9, 9, v0
	v_cmp_eq_u32_e64 s10, 10, v0
	;; [unrolled: 1-line block ×3, first 2 shown]
	v_cndmask_b32_e64 v30, v30, v9, s3
	v_cndmask_b32_e64 v31, v31, v8, s3
	v_cmp_eq_u32_e64 s12, 12, v0
	v_cmp_eq_u32_e64 s13, 13, v0
	s_delay_alu instid0(VALU_DEP_4) | instskip(NEXT) | instid1(VALU_DEP_4)
	v_cndmask_b32_e64 v30, v30, v11, s4
	v_cndmask_b32_e64 v31, v31, v10, s4
	s_delay_alu instid0(VALU_DEP_2) | instskip(NEXT) | instid1(VALU_DEP_2)
	v_cndmask_b32_e64 v30, v30, v13, s5
	v_cndmask_b32_e64 v31, v31, v12, s5
	s_delay_alu instid0(VALU_DEP_2) | instskip(NEXT) | instid1(VALU_DEP_2)
	;; [unrolled: 3-line block ×8, first 2 shown]
	v_cndmask_b32_e64 v30, v30, v27, s12
	v_cndmask_b32_e64 v32, v31, v26, s12
	s_waitcnt vmcnt(0)
	s_delay_alu instid0(VALU_DEP_2) | instskip(NEXT) | instid1(VALU_DEP_2)
	v_cndmask_b32_e64 v31, v30, v29, s13
	v_cndmask_b32_e64 v30, v32, v28, s13
	s_delay_alu instid0(VALU_DEP_1) | instskip(SKIP_1) | instid1(VALU_DEP_2)
	v_div_scale_f64 v[32:33], null, v[30:31], v[30:31], 1.0
	v_div_scale_f64 v[39:40], vcc_lo, 1.0, v[30:31], 1.0
	v_rcp_f64_e32 v[34:35], v[32:33]
	s_waitcnt_depctr 0xfff
	v_fma_f64 v[37:38], -v[32:33], v[34:35], 1.0
	s_delay_alu instid0(VALU_DEP_1) | instskip(NEXT) | instid1(VALU_DEP_1)
	v_fma_f64 v[34:35], v[34:35], v[37:38], v[34:35]
	v_fma_f64 v[37:38], -v[32:33], v[34:35], 1.0
	s_delay_alu instid0(VALU_DEP_1) | instskip(NEXT) | instid1(VALU_DEP_1)
	v_fma_f64 v[34:35], v[34:35], v[37:38], v[34:35]
	v_mul_f64 v[37:38], v[39:40], v[34:35]
	s_delay_alu instid0(VALU_DEP_1) | instskip(NEXT) | instid1(VALU_DEP_1)
	v_fma_f64 v[32:33], -v[32:33], v[37:38], v[39:40]
	v_div_fmas_f64 v[32:33], v[32:33], v[34:35], v[37:38]
	s_delay_alu instid0(VALU_DEP_1) | instskip(NEXT) | instid1(VALU_DEP_1)
	v_div_fixup_f64 v[34:35], v[32:33], v[30:31], 1.0
	v_cndmask_b32_e64 v29, v29, v35, s13
	s_delay_alu instid0(VALU_DEP_2)
	v_cndmask_b32_e64 v28, v28, v34, s13
	v_cndmask_b32_e64 v27, v27, v35, s12
	;; [unrolled: 1-line block ×27, first 2 shown]
	v_xor_b32_e32 v35, 0x80000000, v35
.LBB77_3:
	v_add_nc_u32_e32 v96, 0x70, v36
	s_cmpk_eq_i32 s16, 0x79
	ds_store_b64 v36, v[34:35]
	s_cbranch_scc1 .LBB77_7
; %bb.4:
	s_waitcnt vmcnt(0)
	v_dual_mov_b32 v65, v33 :: v_dual_mov_b32 v64, v32
	v_dual_mov_b32 v63, v31 :: v_dual_mov_b32 v62, v30
	;; [unrolled: 1-line block ×16, first 2 shown]
	v_cmp_eq_u32_e64 s0, 13, v0
	ds_store_b64 v96, v[26:27]
	s_waitcnt lgkmcnt(0)
	s_barrier
	buffer_gl0_inv
	s_and_saveexec_b32 s1, s0
	s_cbranch_execz .LBB77_11
; %bb.5:
	s_and_b32 vcc_lo, exec_lo, s14
	s_cbranch_vccz .LBB77_8
; %bb.6:
	v_cmp_eq_u32_e32 vcc_lo, 1, v0
	v_dual_cndmask_b32 v34, v3, v5 :: v_dual_cndmask_b32 v35, v2, v4
	v_cmp_eq_u32_e32 vcc_lo, 2, v0
	s_delay_alu instid0(VALU_DEP_2) | instskip(SKIP_1) | instid1(VALU_DEP_2)
	v_dual_cndmask_b32 v34, v34, v7 :: v_dual_cndmask_b32 v35, v35, v6
	v_cmp_eq_u32_e32 vcc_lo, 3, v0
	v_dual_cndmask_b32 v34, v34, v9 :: v_dual_cndmask_b32 v35, v35, v8
	v_cmp_eq_u32_e32 vcc_lo, 4, v0
	s_delay_alu instid0(VALU_DEP_2) | instskip(SKIP_1) | instid1(VALU_DEP_2)
	v_dual_cndmask_b32 v34, v34, v11 :: v_dual_cndmask_b32 v35, v35, v10
	;; [unrolled: 5-line block ×4, first 2 shown]
	v_cmp_eq_u32_e32 vcc_lo, 9, v0
	v_dual_cndmask_b32 v34, v34, v21 :: v_dual_cndmask_b32 v35, v35, v20
	v_cmp_eq_u32_e32 vcc_lo, 10, v0
	s_delay_alu instid0(VALU_DEP_2) | instskip(SKIP_4) | instid1(VALU_DEP_2)
	v_dual_cndmask_b32 v36, v34, v23 :: v_dual_cndmask_b32 v37, v35, v22
	v_cmp_eq_u32_e32 vcc_lo, 11, v0
	ds_load_b64 v[34:35], v96
	v_dual_cndmask_b32 v36, v36, v25 :: v_dual_cndmask_b32 v37, v37, v24
	v_cmp_eq_u32_e32 vcc_lo, 12, v0
	v_cndmask_b32_e32 v36, v36, v27, vcc_lo
	s_delay_alu instid0(VALU_DEP_3) | instskip(SKIP_1) | instid1(VALU_DEP_2)
	v_cndmask_b32_e32 v38, v37, v26, vcc_lo
	v_cmp_eq_u32_e32 vcc_lo, 13, v0
	v_dual_cndmask_b32 v37, v36, v29 :: v_dual_cndmask_b32 v36, v38, v28
	s_waitcnt lgkmcnt(0)
	s_delay_alu instid0(VALU_DEP_1)
	v_mul_f64 v[34:35], v[36:37], v[34:35]
	s_cbranch_execz .LBB77_9
	s_branch .LBB77_10
.LBB77_7:
                                        ; implicit-def: $vgpr34_vgpr35_vgpr36_vgpr37_vgpr38_vgpr39_vgpr40_vgpr41_vgpr42_vgpr43_vgpr44_vgpr45_vgpr46_vgpr47_vgpr48_vgpr49_vgpr50_vgpr51_vgpr52_vgpr53_vgpr54_vgpr55_vgpr56_vgpr57_vgpr58_vgpr59_vgpr60_vgpr61_vgpr62_vgpr63_vgpr64_vgpr65
	s_cbranch_execnz .LBB77_196
	s_branch .LBB77_333
.LBB77_8:
                                        ; implicit-def: $vgpr34_vgpr35
.LBB77_9:
	ds_load_b64 v[34:35], v96
.LBB77_10:
	v_mov_b32_e32 v36, 0
	v_dual_mov_b32 v38, v6 :: v_dual_mov_b32 v41, v9
	v_dual_mov_b32 v40, v8 :: v_dual_mov_b32 v43, v11
	ds_load_b64 v[36:37], v36 offset:96
	v_dual_mov_b32 v42, v10 :: v_dual_mov_b32 v45, v13
	v_dual_mov_b32 v44, v12 :: v_dual_mov_b32 v47, v15
	;; [unrolled: 1-line block ×9, first 2 shown]
	s_waitcnt lgkmcnt(0)
	v_mul_f64 v[58:59], v[34:35], v[36:37]
	v_dual_mov_b32 v34, v2 :: v_dual_mov_b32 v37, v5
	v_dual_mov_b32 v35, v3 :: v_dual_mov_b32 v36, v4
.LBB77_11:
	s_or_b32 exec_lo, exec_lo, s1
	v_cmp_lt_u32_e64 s1, 11, v0
	ds_store_b64 v96, v[56:57]
	s_waitcnt lgkmcnt(0)
	s_barrier
	buffer_gl0_inv
	s_and_saveexec_b32 s2, s1
	s_cbranch_execz .LBB77_19
; %bb.12:
	s_and_not1_b32 vcc_lo, exec_lo, s14
	s_cbranch_vccnz .LBB77_14
; %bb.13:
	v_cmp_eq_u32_e32 vcc_lo, 1, v0
	v_dual_cndmask_b32 v62, v35, v37 :: v_dual_cndmask_b32 v63, v34, v36
	v_cmp_eq_u32_e32 vcc_lo, 2, v0
	s_delay_alu instid0(VALU_DEP_2) | instskip(SKIP_1) | instid1(VALU_DEP_2)
	v_dual_cndmask_b32 v62, v62, v39 :: v_dual_cndmask_b32 v63, v63, v38
	v_cmp_eq_u32_e32 vcc_lo, 3, v0
	v_dual_cndmask_b32 v62, v62, v41 :: v_dual_cndmask_b32 v63, v63, v40
	v_cmp_eq_u32_e32 vcc_lo, 4, v0
	s_delay_alu instid0(VALU_DEP_2) | instskip(SKIP_1) | instid1(VALU_DEP_2)
	v_dual_cndmask_b32 v62, v62, v43 :: v_dual_cndmask_b32 v63, v63, v42
	v_cmp_eq_u32_e32 vcc_lo, 5, v0
	v_dual_cndmask_b32 v62, v62, v45 :: v_dual_cndmask_b32 v63, v63, v44
	v_cmp_eq_u32_e32 vcc_lo, 6, v0
	s_delay_alu instid0(VALU_DEP_2) | instskip(SKIP_1) | instid1(VALU_DEP_2)
	v_dual_cndmask_b32 v62, v62, v47 :: v_dual_cndmask_b32 v63, v63, v46
	v_cmp_eq_u32_e32 vcc_lo, 7, v0
	v_dual_cndmask_b32 v62, v62, v49 :: v_dual_cndmask_b32 v63, v63, v48
	v_cmp_eq_u32_e32 vcc_lo, 8, v0
	s_delay_alu instid0(VALU_DEP_2) | instskip(SKIP_1) | instid1(VALU_DEP_2)
	v_dual_cndmask_b32 v62, v62, v51 :: v_dual_cndmask_b32 v63, v63, v50
	v_cmp_eq_u32_e32 vcc_lo, 9, v0
	v_dual_cndmask_b32 v62, v62, v53 :: v_dual_cndmask_b32 v63, v63, v52
	v_cmp_eq_u32_e32 vcc_lo, 10, v0
	s_delay_alu instid0(VALU_DEP_2) | instskip(SKIP_4) | instid1(VALU_DEP_2)
	v_dual_cndmask_b32 v64, v62, v55 :: v_dual_cndmask_b32 v65, v63, v54
	v_cmp_eq_u32_e32 vcc_lo, 11, v0
	ds_load_b64 v[62:63], v96
	v_dual_cndmask_b32 v57, v64, v57 :: v_dual_cndmask_b32 v56, v65, v56
	v_cmp_eq_u32_e32 vcc_lo, 12, v0
	v_dual_cndmask_b32 v57, v57, v59 :: v_dual_cndmask_b32 v56, v56, v58
	v_cmp_eq_u32_e32 vcc_lo, 13, v0
	s_delay_alu instid0(VALU_DEP_2) | instskip(SKIP_1) | instid1(VALU_DEP_1)
	v_dual_cndmask_b32 v57, v57, v61 :: v_dual_cndmask_b32 v56, v56, v60
	s_waitcnt lgkmcnt(0)
	v_mul_f64 v[56:57], v[56:57], v[62:63]
	s_cbranch_execz .LBB77_15
	s_branch .LBB77_16
.LBB77_14:
                                        ; implicit-def: $vgpr56_vgpr57
.LBB77_15:
	ds_load_b64 v[56:57], v96
.LBB77_16:
	s_and_saveexec_b32 s3, s0
	s_cbranch_execz .LBB77_18
; %bb.17:
	v_mov_b32_e32 v62, 0
	ds_load_b64 v[62:63], v62 offset:208
	s_waitcnt lgkmcnt(0)
	v_fma_f64 v[56:57], v[58:59], v[62:63], v[56:57]
.LBB77_18:
	s_or_b32 exec_lo, exec_lo, s3
	v_mov_b32_e32 v62, 0
	ds_load_b64 v[62:63], v62 offset:88
	s_waitcnt lgkmcnt(0)
	v_mul_f64 v[56:57], v[56:57], v[62:63]
.LBB77_19:
	s_or_b32 exec_lo, exec_lo, s2
	v_cmp_lt_u32_e64 s0, 10, v0
	ds_store_b64 v96, v[54:55]
	s_waitcnt lgkmcnt(0)
	s_barrier
	buffer_gl0_inv
	s_and_saveexec_b32 s4, s0
	s_cbranch_execz .LBB77_35
; %bb.20:
	s_and_not1_b32 vcc_lo, exec_lo, s14
	s_cbranch_vccnz .LBB77_22
; %bb.21:
	v_cmp_eq_u32_e32 vcc_lo, 1, v0
	v_dual_cndmask_b32 v94, v35, v37 :: v_dual_cndmask_b32 v95, v34, v36
	v_cmp_eq_u32_e32 vcc_lo, 2, v0
	s_delay_alu instid0(VALU_DEP_2) | instskip(SKIP_1) | instid1(VALU_DEP_2)
	v_dual_cndmask_b32 v94, v94, v39 :: v_dual_cndmask_b32 v95, v95, v38
	v_cmp_eq_u32_e32 vcc_lo, 3, v0
	v_dual_cndmask_b32 v94, v94, v41 :: v_dual_cndmask_b32 v95, v95, v40
	v_cmp_eq_u32_e32 vcc_lo, 4, v0
	s_delay_alu instid0(VALU_DEP_2) | instskip(SKIP_1) | instid1(VALU_DEP_2)
	v_dual_cndmask_b32 v94, v94, v43 :: v_dual_cndmask_b32 v95, v95, v42
	;; [unrolled: 5-line block ×4, first 2 shown]
	v_cmp_eq_u32_e32 vcc_lo, 9, v0
	v_dual_cndmask_b32 v94, v94, v53 :: v_dual_cndmask_b32 v95, v95, v52
	v_cmp_eq_u32_e32 vcc_lo, 10, v0
	s_delay_alu instid0(VALU_DEP_2) | instskip(SKIP_4) | instid1(VALU_DEP_2)
	v_dual_cndmask_b32 v97, v94, v55 :: v_dual_cndmask_b32 v98, v95, v54
	v_cmp_eq_u32_e32 vcc_lo, 11, v0
	ds_load_b64 v[94:95], v96
	v_dual_cndmask_b32 v97, v97, v57 :: v_dual_cndmask_b32 v98, v98, v56
	v_cmp_eq_u32_e32 vcc_lo, 12, v0
	v_cndmask_b32_e32 v97, v97, v59, vcc_lo
	s_delay_alu instid0(VALU_DEP_3) | instskip(SKIP_1) | instid1(VALU_DEP_2)
	v_cndmask_b32_e32 v99, v98, v58, vcc_lo
	v_cmp_eq_u32_e32 vcc_lo, 13, v0
	v_dual_cndmask_b32 v98, v97, v61 :: v_dual_cndmask_b32 v97, v99, v60
	s_waitcnt lgkmcnt(0)
	s_delay_alu instid0(VALU_DEP_1)
	v_mul_f64 v[94:95], v[97:98], v[94:95]
	s_cbranch_execz .LBB77_23
	s_branch .LBB77_24
.LBB77_22:
                                        ; implicit-def: $vgpr94_vgpr95
.LBB77_23:
	ds_load_b64 v[94:95], v96
.LBB77_24:
	s_and_saveexec_b32 s5, s1
	s_cbranch_execz .LBB77_34
; %bb.25:
	v_dual_mov_b32 v99, 11 :: v_dual_add_nc_u32 v98, -12, v0
	v_add_nc_u32_e32 v97, -11, v0
	s_mov_b32 s1, exec_lo
	s_delay_alu instid0(VALU_DEP_2)
	v_cmpx_lt_u32_e32 6, v98
	s_cbranch_execz .LBB77_29
; %bb.26:
	s_delay_alu instid0(VALU_DEP_2) | instskip(SKIP_3) | instid1(VALU_DEP_1)
	v_and_b32_e32 v98, -8, v97
	s_mov_b32 s6, 0
	s_mov_b64 s[2:3], 18
	s_movk_i32 s7, 0xc8
	v_sub_nc_u32_e32 v98, 0, v98
.LBB77_27:                              ; =>This Inner Loop Header: Depth=1
	v_mov_b32_e32 v109, s7
	s_lshl_b32 s8, s2, 1
	s_delay_alu instid0(SALU_CYCLE_1)
	s_add_i32 m0, s8, -13
	v_movrels_b32_e32 v108, v34
	ds_load_2addr_b64 v[99:102], v109 offset1:1
	ds_load_2addr_b64 v[103:106], v109 offset0:2 offset1:3
	s_add_i32 m0, s8, -14
	v_movrels_b32_e32 v107, v34
	s_add_i32 m0, s8, -11
	s_waitcnt lgkmcnt(1)
	s_delay_alu instid0(VALU_DEP_1) | instskip(SKIP_4) | instid1(VALU_DEP_1)
	v_fma_f64 v[94:95], v[107:108], v[99:100], v[94:95]
	v_movrels_b32_e32 v100, v34
	s_add_i32 m0, s8, -12
	v_movrels_b32_e32 v99, v34
	s_add_i32 m0, s8, -9
	v_fma_f64 v[94:95], v[99:100], v[101:102], v[94:95]
	v_movrels_b32_e32 v100, v34
	s_add_i32 m0, s8, -10
	v_movrels_b32_e32 v99, v34
	s_add_i32 m0, s8, -7
	s_waitcnt lgkmcnt(0)
	s_delay_alu instid0(VALU_DEP_1)
	v_fma_f64 v[94:95], v[99:100], v[103:104], v[94:95]
	v_movrels_b32_e32 v100, v34
	s_add_i32 m0, s8, -8
	v_movrels_b32_e32 v99, v34
	s_add_i32 m0, s8, -5
	;; [unrolled: 2-line block ×4, first 2 shown]
	v_fma_f64 v[94:95], v[99:100], v[105:106], v[94:95]
	ds_load_2addr_b64 v[99:102], v109 offset0:4 offset1:5
	ds_load_2addr_b64 v[103:106], v109 offset0:6 offset1:7
	s_waitcnt lgkmcnt(1)
	v_fma_f64 v[94:95], v[107:108], v[99:100], v[94:95]
	v_movrels_b32_e32 v100, v34
	s_add_i32 m0, s8, -4
	v_movrels_b32_e32 v99, v34
	s_add_i32 m0, s8, -1
	s_delay_alu instid0(VALU_DEP_1)
	v_fma_f64 v[94:95], v[99:100], v[101:102], v[94:95]
	v_movrels_b32_e32 v100, v34
	s_add_i32 m0, s8, -2
	s_add_u32 s2, s2, 8
	v_movrels_b32_e32 v99, v34
	s_mov_b32 m0, s8
	s_addc_u32 s3, s3, 0
	s_add_i32 s8, s2, -7
	s_add_i32 s7, s7, 64
	s_waitcnt lgkmcnt(0)
	s_delay_alu instid0(VALU_DEP_3) | instskip(SKIP_2) | instid1(VALU_DEP_1)
	v_fma_f64 v[94:95], v[99:100], v[103:104], v[94:95]
	v_movrels_b32_e32 v100, v35
	v_movrels_b32_e32 v99, v34
	v_fma_f64 v[94:95], v[99:100], v[105:106], v[94:95]
	v_add_nc_u32_e32 v99, s2, v98
	s_delay_alu instid0(VALU_DEP_1) | instskip(SKIP_2) | instid1(SALU_CYCLE_1)
	v_cmp_eq_u32_e32 vcc_lo, 18, v99
	v_mov_b32_e32 v99, s8
	s_or_b32 s6, vcc_lo, s6
	s_and_not1_b32 exec_lo, exec_lo, s6
	s_cbranch_execnz .LBB77_27
; %bb.28:
	s_or_b32 exec_lo, exec_lo, s6
.LBB77_29:
	s_delay_alu instid0(SALU_CYCLE_1) | instskip(SKIP_3) | instid1(VALU_DEP_1)
	s_or_b32 exec_lo, exec_lo, s1
	v_and_b32_e32 v62, 7, v97
	s_mov_b32 s3, 0
	s_mov_b32 s2, exec_lo
	v_cmpx_ne_u32_e32 0, v62
	s_cbranch_execz .LBB77_33
; %bb.30:
	v_lshl_add_u32 v63, v99, 3, 0x70
	v_mov_b32_e32 v64, 0
.LBB77_31:                              ; =>This Inner Loop Header: Depth=1
	v_cmp_eq_u32_e32 vcc_lo, 1, v99
	v_cmp_eq_u32_e64 s1, 2, v99
	v_dual_cndmask_b32 v65, v35, v37 :: v_dual_add_nc_u32 v62, -1, v62
	v_cndmask_b32_e32 v97, v34, v36, vcc_lo
	v_cmp_eq_u32_e32 vcc_lo, 3, v99
	s_delay_alu instid0(VALU_DEP_3) | instskip(NEXT) | instid1(VALU_DEP_3)
	v_cndmask_b32_e64 v65, v65, v39, s1
	v_cndmask_b32_e64 v97, v97, v38, s1
	v_cmp_eq_u32_e64 s1, 4, v99
	s_delay_alu instid0(VALU_DEP_3) | instskip(NEXT) | instid1(VALU_DEP_3)
	v_cndmask_b32_e32 v65, v65, v41, vcc_lo
	v_cndmask_b32_e32 v97, v97, v40, vcc_lo
	v_cmp_eq_u32_e32 vcc_lo, 5, v99
	s_delay_alu instid0(VALU_DEP_3) | instskip(NEXT) | instid1(VALU_DEP_3)
	v_cndmask_b32_e64 v65, v65, v43, s1
	v_cndmask_b32_e64 v97, v97, v42, s1
	v_cmp_eq_u32_e64 s1, 6, v99
	s_delay_alu instid0(VALU_DEP_3) | instskip(NEXT) | instid1(VALU_DEP_3)
	v_cndmask_b32_e32 v65, v65, v45, vcc_lo
	;; [unrolled: 8-line block ×4, first 2 shown]
	v_cndmask_b32_e32 v100, v97, v52, vcc_lo
	ds_load_b64 v[97:98], v63
	v_cmp_eq_u32_e32 vcc_lo, 11, v99
	v_add_nc_u32_e32 v63, 8, v63
	v_cndmask_b32_e64 v65, v65, v55, s1
	v_cndmask_b32_e64 v100, v100, v54, s1
	v_cmp_eq_u32_e64 s1, 12, v99
	s_delay_alu instid0(VALU_DEP_2) | instskip(SKIP_1) | instid1(VALU_DEP_2)
	v_dual_cndmask_b32 v65, v65, v57 :: v_dual_cndmask_b32 v100, v100, v56
	v_cmp_eq_u32_e32 vcc_lo, 13, v99
	v_cndmask_b32_e64 v65, v65, v59, s1
	s_delay_alu instid0(VALU_DEP_3) | instskip(SKIP_1) | instid1(VALU_DEP_1)
	v_cndmask_b32_e64 v100, v100, v58, s1
	v_add_co_u32 v99, s1, v99, 1
	v_add_co_ci_u32_e64 v64, s1, 0, v64, s1
	s_delay_alu instid0(VALU_DEP_3) | instskip(SKIP_2) | instid1(VALU_DEP_2)
	v_dual_cndmask_b32 v100, v100, v60 :: v_dual_cndmask_b32 v101, v65, v61
	v_cmp_eq_u32_e32 vcc_lo, 0, v62
	s_waitcnt lgkmcnt(0)
	v_fma_f64 v[94:95], v[100:101], v[97:98], v[94:95]
	s_or_b32 s3, vcc_lo, s3
	s_delay_alu instid0(SALU_CYCLE_1)
	s_and_not1_b32 exec_lo, exec_lo, s3
	s_cbranch_execnz .LBB77_31
; %bb.32:
	s_or_b32 exec_lo, exec_lo, s3
.LBB77_33:
	s_delay_alu instid0(SALU_CYCLE_1)
	s_or_b32 exec_lo, exec_lo, s2
.LBB77_34:
	s_delay_alu instid0(SALU_CYCLE_1)
	s_or_b32 exec_lo, exec_lo, s5
	v_mov_b32_e32 v54, 0
	ds_load_b64 v[54:55], v54 offset:80
	s_waitcnt lgkmcnt(0)
	v_mul_f64 v[54:55], v[94:95], v[54:55]
.LBB77_35:
	s_or_b32 exec_lo, exec_lo, s4
	v_cmp_lt_u32_e64 s1, 9, v0
	ds_store_b64 v96, v[52:53]
	s_waitcnt lgkmcnt(0)
	s_barrier
	buffer_gl0_inv
	s_and_saveexec_b32 s4, s1
	s_cbranch_execz .LBB77_51
; %bb.36:
	s_and_not1_b32 vcc_lo, exec_lo, s14
	s_cbranch_vccnz .LBB77_38
; %bb.37:
	v_cmp_eq_u32_e32 vcc_lo, 1, v0
	v_dual_cndmask_b32 v94, v35, v37 :: v_dual_cndmask_b32 v95, v34, v36
	v_cmp_eq_u32_e32 vcc_lo, 2, v0
	s_delay_alu instid0(VALU_DEP_2) | instskip(SKIP_1) | instid1(VALU_DEP_2)
	v_dual_cndmask_b32 v94, v94, v39 :: v_dual_cndmask_b32 v95, v95, v38
	v_cmp_eq_u32_e32 vcc_lo, 3, v0
	v_dual_cndmask_b32 v94, v94, v41 :: v_dual_cndmask_b32 v95, v95, v40
	v_cmp_eq_u32_e32 vcc_lo, 4, v0
	s_delay_alu instid0(VALU_DEP_2) | instskip(SKIP_1) | instid1(VALU_DEP_2)
	v_dual_cndmask_b32 v94, v94, v43 :: v_dual_cndmask_b32 v95, v95, v42
	;; [unrolled: 5-line block ×4, first 2 shown]
	v_cmp_eq_u32_e32 vcc_lo, 9, v0
	v_dual_cndmask_b32 v94, v94, v53 :: v_dual_cndmask_b32 v95, v95, v52
	v_cmp_eq_u32_e32 vcc_lo, 10, v0
	s_delay_alu instid0(VALU_DEP_2) | instskip(SKIP_4) | instid1(VALU_DEP_2)
	v_dual_cndmask_b32 v97, v94, v55 :: v_dual_cndmask_b32 v98, v95, v54
	v_cmp_eq_u32_e32 vcc_lo, 11, v0
	ds_load_b64 v[94:95], v96
	v_dual_cndmask_b32 v97, v97, v57 :: v_dual_cndmask_b32 v98, v98, v56
	v_cmp_eq_u32_e32 vcc_lo, 12, v0
	v_cndmask_b32_e32 v97, v97, v59, vcc_lo
	s_delay_alu instid0(VALU_DEP_3) | instskip(SKIP_1) | instid1(VALU_DEP_2)
	v_cndmask_b32_e32 v99, v98, v58, vcc_lo
	v_cmp_eq_u32_e32 vcc_lo, 13, v0
	v_dual_cndmask_b32 v98, v97, v61 :: v_dual_cndmask_b32 v97, v99, v60
	s_waitcnt lgkmcnt(0)
	s_delay_alu instid0(VALU_DEP_1)
	v_mul_f64 v[94:95], v[97:98], v[94:95]
	s_cbranch_execz .LBB77_39
	s_branch .LBB77_40
.LBB77_38:
                                        ; implicit-def: $vgpr94_vgpr95
.LBB77_39:
	ds_load_b64 v[94:95], v96
.LBB77_40:
	s_and_saveexec_b32 s5, s0
	s_cbranch_execz .LBB77_50
; %bb.41:
	v_add_nc_u32_e32 v98, -11, v0
	v_add_nc_u32_e32 v97, -10, v0
	s_delay_alu instid0(VALU_DEP_2)
	v_cmp_lt_u32_e32 vcc_lo, 6, v98
	v_mov_b32_e32 v98, 10
	s_and_saveexec_b32 s0, vcc_lo
	s_cbranch_execz .LBB77_45
; %bb.42:
	v_and_b32_e32 v98, -8, v97
	s_mov_b32 s6, 0
	s_mov_b64 s[2:3], 17
	s_movk_i32 s7, 0xc0
	s_delay_alu instid0(VALU_DEP_1)
	v_sub_nc_u32_e32 v99, 0, v98
.LBB77_43:                              ; =>This Inner Loop Header: Depth=1
	v_mov_b32_e32 v98, s7
	s_lshl_b32 s8, s2, 1
	s_delay_alu instid0(SALU_CYCLE_1)
	s_add_i32 m0, s8, -13
	v_movrels_b32_e32 v109, v34
	ds_load_b128 v[100:103], v98
	ds_load_b128 v[104:107], v98 offset:16
	s_add_i32 m0, s8, -14
	v_movrels_b32_e32 v108, v34
	s_add_i32 m0, s8, -11
	s_waitcnt lgkmcnt(1)
	s_delay_alu instid0(VALU_DEP_1) | instskip(SKIP_4) | instid1(VALU_DEP_1)
	v_fma_f64 v[94:95], v[108:109], v[100:101], v[94:95]
	v_movrels_b32_e32 v101, v34
	s_add_i32 m0, s8, -12
	v_movrels_b32_e32 v100, v34
	s_add_i32 m0, s8, -9
	v_fma_f64 v[94:95], v[100:101], v[102:103], v[94:95]
	v_movrels_b32_e32 v101, v34
	s_add_i32 m0, s8, -10
	v_movrels_b32_e32 v100, v34
	s_add_i32 m0, s8, -7
	s_waitcnt lgkmcnt(0)
	s_delay_alu instid0(VALU_DEP_1)
	v_fma_f64 v[94:95], v[100:101], v[104:105], v[94:95]
	v_movrels_b32_e32 v101, v34
	s_add_i32 m0, s8, -8
	v_movrels_b32_e32 v100, v34
	s_add_i32 m0, s8, -5
	;; [unrolled: 2-line block ×4, first 2 shown]
	v_fma_f64 v[94:95], v[100:101], v[106:107], v[94:95]
	ds_load_b128 v[100:103], v98 offset:32
	ds_load_b128 v[104:107], v98 offset:48
	s_waitcnt lgkmcnt(1)
	v_fma_f64 v[94:95], v[108:109], v[100:101], v[94:95]
	v_movrels_b32_e32 v101, v34
	s_add_i32 m0, s8, -4
	v_movrels_b32_e32 v100, v34
	s_add_i32 m0, s8, -1
	s_delay_alu instid0(VALU_DEP_1)
	v_fma_f64 v[94:95], v[100:101], v[102:103], v[94:95]
	v_movrels_b32_e32 v101, v34
	s_add_i32 m0, s8, -2
	s_add_u32 s2, s2, 8
	v_movrels_b32_e32 v100, v34
	s_mov_b32 m0, s8
	v_add_nc_u32_e32 v98, s2, v99
	s_addc_u32 s3, s3, 0
	s_add_i32 s8, s2, -7
	s_add_i32 s7, s7, 64
	s_delay_alu instid0(VALU_DEP_1)
	v_cmp_eq_u32_e32 vcc_lo, 17, v98
	v_mov_b32_e32 v98, s8
	s_or_b32 s6, vcc_lo, s6
	s_waitcnt lgkmcnt(0)
	v_fma_f64 v[94:95], v[100:101], v[104:105], v[94:95]
	v_movrels_b32_e32 v101, v35
	v_movrels_b32_e32 v100, v34
	s_delay_alu instid0(VALU_DEP_1)
	v_fma_f64 v[94:95], v[100:101], v[106:107], v[94:95]
	s_and_not1_b32 exec_lo, exec_lo, s6
	s_cbranch_execnz .LBB77_43
; %bb.44:
	s_or_b32 exec_lo, exec_lo, s6
.LBB77_45:
	s_delay_alu instid0(SALU_CYCLE_1) | instskip(SKIP_3) | instid1(VALU_DEP_1)
	s_or_b32 exec_lo, exec_lo, s0
	v_and_b32_e32 v62, 7, v97
	s_mov_b32 s3, 0
	s_mov_b32 s2, exec_lo
	v_cmpx_ne_u32_e32 0, v62
	s_cbranch_execz .LBB77_49
; %bb.46:
	v_lshl_add_u32 v63, v98, 3, 0x70
	v_mov_b32_e32 v64, 0
.LBB77_47:                              ; =>This Inner Loop Header: Depth=1
	v_cmp_eq_u32_e32 vcc_lo, 1, v98
	v_cmp_eq_u32_e64 s0, 2, v98
	ds_load_b64 v[99:100], v63
	v_add_nc_u32_e32 v63, 8, v63
	v_dual_cndmask_b32 v65, v35, v37 :: v_dual_add_nc_u32 v62, -1, v62
	v_cndmask_b32_e32 v97, v34, v36, vcc_lo
	v_cmp_eq_u32_e32 vcc_lo, 3, v98
	s_delay_alu instid0(VALU_DEP_3) | instskip(NEXT) | instid1(VALU_DEP_3)
	v_cndmask_b32_e64 v65, v65, v39, s0
	v_cndmask_b32_e64 v97, v97, v38, s0
	v_cmp_eq_u32_e64 s0, 4, v98
	s_delay_alu instid0(VALU_DEP_3) | instskip(NEXT) | instid1(VALU_DEP_3)
	v_cndmask_b32_e32 v65, v65, v41, vcc_lo
	v_cndmask_b32_e32 v97, v97, v40, vcc_lo
	v_cmp_eq_u32_e32 vcc_lo, 5, v98
	s_delay_alu instid0(VALU_DEP_3) | instskip(NEXT) | instid1(VALU_DEP_3)
	v_cndmask_b32_e64 v65, v65, v43, s0
	v_cndmask_b32_e64 v97, v97, v42, s0
	v_cmp_eq_u32_e64 s0, 6, v98
	s_delay_alu instid0(VALU_DEP_3) | instskip(NEXT) | instid1(VALU_DEP_3)
	v_cndmask_b32_e32 v65, v65, v45, vcc_lo
	;; [unrolled: 8-line block ×5, first 2 shown]
	v_cndmask_b32_e32 v97, v97, v56, vcc_lo
	v_cmp_eq_u32_e32 vcc_lo, 13, v98
	s_delay_alu instid0(VALU_DEP_3) | instskip(NEXT) | instid1(VALU_DEP_3)
	v_cndmask_b32_e64 v65, v65, v59, s0
	v_cndmask_b32_e64 v97, v97, v58, s0
	v_add_co_u32 v98, s0, v98, 1
	s_delay_alu instid0(VALU_DEP_1) | instskip(NEXT) | instid1(VALU_DEP_4)
	v_add_co_ci_u32_e64 v64, s0, 0, v64, s0
	v_cndmask_b32_e32 v102, v65, v61, vcc_lo
	s_delay_alu instid0(VALU_DEP_4) | instskip(SKIP_2) | instid1(VALU_DEP_2)
	v_cndmask_b32_e32 v101, v97, v60, vcc_lo
	v_cmp_eq_u32_e32 vcc_lo, 0, v62
	s_waitcnt lgkmcnt(0)
	v_fma_f64 v[94:95], v[101:102], v[99:100], v[94:95]
	s_or_b32 s3, vcc_lo, s3
	s_delay_alu instid0(SALU_CYCLE_1)
	s_and_not1_b32 exec_lo, exec_lo, s3
	s_cbranch_execnz .LBB77_47
; %bb.48:
	s_or_b32 exec_lo, exec_lo, s3
.LBB77_49:
	s_delay_alu instid0(SALU_CYCLE_1)
	s_or_b32 exec_lo, exec_lo, s2
.LBB77_50:
	s_delay_alu instid0(SALU_CYCLE_1)
	s_or_b32 exec_lo, exec_lo, s5
	v_mov_b32_e32 v52, 0
	ds_load_b64 v[52:53], v52 offset:72
	s_waitcnt lgkmcnt(0)
	v_mul_f64 v[52:53], v[94:95], v[52:53]
.LBB77_51:
	s_or_b32 exec_lo, exec_lo, s4
	v_cmp_lt_u32_e64 s0, 8, v0
	ds_store_b64 v96, v[50:51]
	s_waitcnt lgkmcnt(0)
	s_barrier
	buffer_gl0_inv
	s_and_saveexec_b32 s4, s0
	s_cbranch_execz .LBB77_67
; %bb.52:
	s_and_not1_b32 vcc_lo, exec_lo, s14
	s_cbranch_vccnz .LBB77_54
; %bb.53:
	v_cmp_eq_u32_e32 vcc_lo, 1, v0
	v_dual_cndmask_b32 v94, v35, v37 :: v_dual_cndmask_b32 v95, v34, v36
	v_cmp_eq_u32_e32 vcc_lo, 2, v0
	s_delay_alu instid0(VALU_DEP_2) | instskip(SKIP_1) | instid1(VALU_DEP_2)
	v_dual_cndmask_b32 v94, v94, v39 :: v_dual_cndmask_b32 v95, v95, v38
	v_cmp_eq_u32_e32 vcc_lo, 3, v0
	v_dual_cndmask_b32 v94, v94, v41 :: v_dual_cndmask_b32 v95, v95, v40
	v_cmp_eq_u32_e32 vcc_lo, 4, v0
	s_delay_alu instid0(VALU_DEP_2) | instskip(SKIP_1) | instid1(VALU_DEP_2)
	v_dual_cndmask_b32 v94, v94, v43 :: v_dual_cndmask_b32 v95, v95, v42
	v_cmp_eq_u32_e32 vcc_lo, 5, v0
	v_dual_cndmask_b32 v94, v94, v45 :: v_dual_cndmask_b32 v95, v95, v44
	v_cmp_eq_u32_e32 vcc_lo, 6, v0
	s_delay_alu instid0(VALU_DEP_2) | instskip(SKIP_1) | instid1(VALU_DEP_2)
	v_dual_cndmask_b32 v94, v94, v47 :: v_dual_cndmask_b32 v95, v95, v46
	v_cmp_eq_u32_e32 vcc_lo, 7, v0
	v_dual_cndmask_b32 v94, v94, v49 :: v_dual_cndmask_b32 v95, v95, v48
	v_cmp_eq_u32_e32 vcc_lo, 8, v0
	s_delay_alu instid0(VALU_DEP_2) | instskip(SKIP_1) | instid1(VALU_DEP_2)
	v_dual_cndmask_b32 v94, v94, v51 :: v_dual_cndmask_b32 v95, v95, v50
	v_cmp_eq_u32_e32 vcc_lo, 9, v0
	v_dual_cndmask_b32 v94, v94, v53 :: v_dual_cndmask_b32 v95, v95, v52
	v_cmp_eq_u32_e32 vcc_lo, 10, v0
	s_delay_alu instid0(VALU_DEP_2) | instskip(SKIP_4) | instid1(VALU_DEP_2)
	v_dual_cndmask_b32 v97, v94, v55 :: v_dual_cndmask_b32 v98, v95, v54
	v_cmp_eq_u32_e32 vcc_lo, 11, v0
	ds_load_b64 v[94:95], v96
	v_dual_cndmask_b32 v97, v97, v57 :: v_dual_cndmask_b32 v98, v98, v56
	v_cmp_eq_u32_e32 vcc_lo, 12, v0
	v_cndmask_b32_e32 v97, v97, v59, vcc_lo
	s_delay_alu instid0(VALU_DEP_3) | instskip(SKIP_1) | instid1(VALU_DEP_2)
	v_cndmask_b32_e32 v99, v98, v58, vcc_lo
	v_cmp_eq_u32_e32 vcc_lo, 13, v0
	v_dual_cndmask_b32 v98, v97, v61 :: v_dual_cndmask_b32 v97, v99, v60
	s_waitcnt lgkmcnt(0)
	s_delay_alu instid0(VALU_DEP_1)
	v_mul_f64 v[94:95], v[97:98], v[94:95]
	s_cbranch_execz .LBB77_55
	s_branch .LBB77_56
.LBB77_54:
                                        ; implicit-def: $vgpr94_vgpr95
.LBB77_55:
	ds_load_b64 v[94:95], v96
.LBB77_56:
	s_and_saveexec_b32 s5, s1
	s_cbranch_execz .LBB77_66
; %bb.57:
	v_dual_mov_b32 v99, 9 :: v_dual_add_nc_u32 v98, -10, v0
	v_add_nc_u32_e32 v97, -9, v0
	s_mov_b32 s1, exec_lo
	s_delay_alu instid0(VALU_DEP_2)
	v_cmpx_lt_u32_e32 6, v98
	s_cbranch_execz .LBB77_61
; %bb.58:
	s_delay_alu instid0(VALU_DEP_2) | instskip(SKIP_3) | instid1(VALU_DEP_1)
	v_and_b32_e32 v98, -8, v97
	s_mov_b32 s6, 0
	s_mov_b64 s[2:3], 16
	s_movk_i32 s7, 0xb8
	v_sub_nc_u32_e32 v98, 0, v98
.LBB77_59:                              ; =>This Inner Loop Header: Depth=1
	v_mov_b32_e32 v109, s7
	s_lshl_b32 s8, s2, 1
	s_delay_alu instid0(SALU_CYCLE_1)
	s_add_i32 m0, s8, -13
	v_movrels_b32_e32 v108, v34
	ds_load_2addr_b64 v[99:102], v109 offset1:1
	ds_load_2addr_b64 v[103:106], v109 offset0:2 offset1:3
	s_add_i32 m0, s8, -14
	v_movrels_b32_e32 v107, v34
	s_add_i32 m0, s8, -11
	s_waitcnt lgkmcnt(1)
	s_delay_alu instid0(VALU_DEP_1) | instskip(SKIP_4) | instid1(VALU_DEP_1)
	v_fma_f64 v[94:95], v[107:108], v[99:100], v[94:95]
	v_movrels_b32_e32 v100, v34
	s_add_i32 m0, s8, -12
	v_movrels_b32_e32 v99, v34
	s_add_i32 m0, s8, -9
	v_fma_f64 v[94:95], v[99:100], v[101:102], v[94:95]
	v_movrels_b32_e32 v100, v34
	s_add_i32 m0, s8, -10
	v_movrels_b32_e32 v99, v34
	s_add_i32 m0, s8, -7
	s_waitcnt lgkmcnt(0)
	s_delay_alu instid0(VALU_DEP_1)
	v_fma_f64 v[94:95], v[99:100], v[103:104], v[94:95]
	v_movrels_b32_e32 v100, v34
	s_add_i32 m0, s8, -8
	v_movrels_b32_e32 v99, v34
	s_add_i32 m0, s8, -5
	;; [unrolled: 2-line block ×4, first 2 shown]
	v_fma_f64 v[94:95], v[99:100], v[105:106], v[94:95]
	ds_load_2addr_b64 v[99:102], v109 offset0:4 offset1:5
	ds_load_2addr_b64 v[103:106], v109 offset0:6 offset1:7
	s_waitcnt lgkmcnt(1)
	v_fma_f64 v[94:95], v[107:108], v[99:100], v[94:95]
	v_movrels_b32_e32 v100, v34
	s_add_i32 m0, s8, -4
	v_movrels_b32_e32 v99, v34
	s_add_i32 m0, s8, -1
	s_delay_alu instid0(VALU_DEP_1)
	v_fma_f64 v[94:95], v[99:100], v[101:102], v[94:95]
	v_movrels_b32_e32 v100, v34
	s_add_i32 m0, s8, -2
	s_add_u32 s2, s2, 8
	v_movrels_b32_e32 v99, v34
	s_mov_b32 m0, s8
	s_addc_u32 s3, s3, 0
	s_add_i32 s8, s2, -7
	s_add_i32 s7, s7, 64
	s_waitcnt lgkmcnt(0)
	s_delay_alu instid0(VALU_DEP_3) | instskip(SKIP_2) | instid1(VALU_DEP_1)
	v_fma_f64 v[94:95], v[99:100], v[103:104], v[94:95]
	v_movrels_b32_e32 v100, v35
	v_movrels_b32_e32 v99, v34
	v_fma_f64 v[94:95], v[99:100], v[105:106], v[94:95]
	v_add_nc_u32_e32 v99, s2, v98
	s_delay_alu instid0(VALU_DEP_1) | instskip(SKIP_2) | instid1(SALU_CYCLE_1)
	v_cmp_eq_u32_e32 vcc_lo, 16, v99
	v_mov_b32_e32 v99, s8
	s_or_b32 s6, vcc_lo, s6
	s_and_not1_b32 exec_lo, exec_lo, s6
	s_cbranch_execnz .LBB77_59
; %bb.60:
	s_or_b32 exec_lo, exec_lo, s6
.LBB77_61:
	s_delay_alu instid0(SALU_CYCLE_1) | instskip(SKIP_3) | instid1(VALU_DEP_1)
	s_or_b32 exec_lo, exec_lo, s1
	v_and_b32_e32 v62, 7, v97
	s_mov_b32 s3, 0
	s_mov_b32 s2, exec_lo
	v_cmpx_ne_u32_e32 0, v62
	s_cbranch_execz .LBB77_65
; %bb.62:
	v_lshl_add_u32 v63, v99, 3, 0x70
	v_mov_b32_e32 v64, 0
.LBB77_63:                              ; =>This Inner Loop Header: Depth=1
	v_cmp_eq_u32_e32 vcc_lo, 1, v99
	v_cmp_eq_u32_e64 s1, 2, v99
	v_dual_cndmask_b32 v65, v35, v37 :: v_dual_add_nc_u32 v62, -1, v62
	v_cndmask_b32_e32 v97, v34, v36, vcc_lo
	v_cmp_eq_u32_e32 vcc_lo, 3, v99
	s_delay_alu instid0(VALU_DEP_3) | instskip(NEXT) | instid1(VALU_DEP_3)
	v_cndmask_b32_e64 v65, v65, v39, s1
	v_cndmask_b32_e64 v97, v97, v38, s1
	v_cmp_eq_u32_e64 s1, 4, v99
	s_delay_alu instid0(VALU_DEP_3) | instskip(NEXT) | instid1(VALU_DEP_3)
	v_cndmask_b32_e32 v65, v65, v41, vcc_lo
	v_cndmask_b32_e32 v97, v97, v40, vcc_lo
	v_cmp_eq_u32_e32 vcc_lo, 5, v99
	s_delay_alu instid0(VALU_DEP_3) | instskip(NEXT) | instid1(VALU_DEP_3)
	v_cndmask_b32_e64 v65, v65, v43, s1
	v_cndmask_b32_e64 v97, v97, v42, s1
	v_cmp_eq_u32_e64 s1, 6, v99
	s_delay_alu instid0(VALU_DEP_3) | instskip(NEXT) | instid1(VALU_DEP_3)
	v_cndmask_b32_e32 v65, v65, v45, vcc_lo
	;; [unrolled: 8-line block ×4, first 2 shown]
	v_cndmask_b32_e32 v100, v97, v52, vcc_lo
	ds_load_b64 v[97:98], v63
	v_cmp_eq_u32_e32 vcc_lo, 11, v99
	v_add_nc_u32_e32 v63, 8, v63
	v_cndmask_b32_e64 v65, v65, v55, s1
	v_cndmask_b32_e64 v100, v100, v54, s1
	v_cmp_eq_u32_e64 s1, 12, v99
	s_delay_alu instid0(VALU_DEP_2) | instskip(SKIP_1) | instid1(VALU_DEP_2)
	v_dual_cndmask_b32 v65, v65, v57 :: v_dual_cndmask_b32 v100, v100, v56
	v_cmp_eq_u32_e32 vcc_lo, 13, v99
	v_cndmask_b32_e64 v65, v65, v59, s1
	s_delay_alu instid0(VALU_DEP_3) | instskip(SKIP_1) | instid1(VALU_DEP_1)
	v_cndmask_b32_e64 v100, v100, v58, s1
	v_add_co_u32 v99, s1, v99, 1
	v_add_co_ci_u32_e64 v64, s1, 0, v64, s1
	s_delay_alu instid0(VALU_DEP_3) | instskip(SKIP_2) | instid1(VALU_DEP_2)
	v_dual_cndmask_b32 v100, v100, v60 :: v_dual_cndmask_b32 v101, v65, v61
	v_cmp_eq_u32_e32 vcc_lo, 0, v62
	s_waitcnt lgkmcnt(0)
	v_fma_f64 v[94:95], v[100:101], v[97:98], v[94:95]
	s_or_b32 s3, vcc_lo, s3
	s_delay_alu instid0(SALU_CYCLE_1)
	s_and_not1_b32 exec_lo, exec_lo, s3
	s_cbranch_execnz .LBB77_63
; %bb.64:
	s_or_b32 exec_lo, exec_lo, s3
.LBB77_65:
	s_delay_alu instid0(SALU_CYCLE_1)
	s_or_b32 exec_lo, exec_lo, s2
.LBB77_66:
	s_delay_alu instid0(SALU_CYCLE_1)
	s_or_b32 exec_lo, exec_lo, s5
	v_mov_b32_e32 v50, 0
	ds_load_b64 v[50:51], v50 offset:64
	s_waitcnt lgkmcnt(0)
	v_mul_f64 v[50:51], v[94:95], v[50:51]
.LBB77_67:
	s_or_b32 exec_lo, exec_lo, s4
	v_cmp_lt_u32_e64 s1, 7, v0
	ds_store_b64 v96, v[48:49]
	s_waitcnt lgkmcnt(0)
	s_barrier
	buffer_gl0_inv
	s_and_saveexec_b32 s4, s1
	s_cbranch_execz .LBB77_83
; %bb.68:
	s_and_not1_b32 vcc_lo, exec_lo, s14
	s_cbranch_vccnz .LBB77_70
; %bb.69:
	v_cmp_eq_u32_e32 vcc_lo, 1, v0
	v_dual_cndmask_b32 v94, v35, v37 :: v_dual_cndmask_b32 v95, v34, v36
	v_cmp_eq_u32_e32 vcc_lo, 2, v0
	s_delay_alu instid0(VALU_DEP_2) | instskip(SKIP_1) | instid1(VALU_DEP_2)
	v_dual_cndmask_b32 v94, v94, v39 :: v_dual_cndmask_b32 v95, v95, v38
	v_cmp_eq_u32_e32 vcc_lo, 3, v0
	v_dual_cndmask_b32 v94, v94, v41 :: v_dual_cndmask_b32 v95, v95, v40
	v_cmp_eq_u32_e32 vcc_lo, 4, v0
	s_delay_alu instid0(VALU_DEP_2) | instskip(SKIP_1) | instid1(VALU_DEP_2)
	v_dual_cndmask_b32 v94, v94, v43 :: v_dual_cndmask_b32 v95, v95, v42
	;; [unrolled: 5-line block ×4, first 2 shown]
	v_cmp_eq_u32_e32 vcc_lo, 9, v0
	v_dual_cndmask_b32 v94, v94, v53 :: v_dual_cndmask_b32 v95, v95, v52
	v_cmp_eq_u32_e32 vcc_lo, 10, v0
	s_delay_alu instid0(VALU_DEP_2) | instskip(SKIP_4) | instid1(VALU_DEP_2)
	v_dual_cndmask_b32 v97, v94, v55 :: v_dual_cndmask_b32 v98, v95, v54
	v_cmp_eq_u32_e32 vcc_lo, 11, v0
	ds_load_b64 v[94:95], v96
	v_dual_cndmask_b32 v97, v97, v57 :: v_dual_cndmask_b32 v98, v98, v56
	v_cmp_eq_u32_e32 vcc_lo, 12, v0
	v_cndmask_b32_e32 v97, v97, v59, vcc_lo
	s_delay_alu instid0(VALU_DEP_3) | instskip(SKIP_1) | instid1(VALU_DEP_2)
	v_cndmask_b32_e32 v99, v98, v58, vcc_lo
	v_cmp_eq_u32_e32 vcc_lo, 13, v0
	v_dual_cndmask_b32 v98, v97, v61 :: v_dual_cndmask_b32 v97, v99, v60
	s_waitcnt lgkmcnt(0)
	s_delay_alu instid0(VALU_DEP_1)
	v_mul_f64 v[94:95], v[97:98], v[94:95]
	s_cbranch_execz .LBB77_71
	s_branch .LBB77_72
.LBB77_70:
                                        ; implicit-def: $vgpr94_vgpr95
.LBB77_71:
	ds_load_b64 v[94:95], v96
.LBB77_72:
	s_and_saveexec_b32 s5, s0
	s_cbranch_execz .LBB77_82
; %bb.73:
	v_add_nc_u32_e32 v97, -9, v0
	s_delay_alu instid0(VALU_DEP_1)
	v_cmp_lt_u32_e32 vcc_lo, 6, v97
	v_mov_b32_e32 v97, 8
	s_and_saveexec_b32 s0, vcc_lo
	s_cbranch_execz .LBB77_77
; %bb.74:
	v_and_b32_e32 v97, 8, v0
	s_mov_b32 s6, 0
	s_mov_b64 s[2:3], 15
	s_movk_i32 s7, 0xb0
	s_delay_alu instid0(VALU_DEP_1)
	v_sub_nc_u32_e32 v98, 0, v97
.LBB77_75:                              ; =>This Inner Loop Header: Depth=1
	v_mov_b32_e32 v97, s7
	s_lshl_b32 s8, s2, 1
	s_delay_alu instid0(SALU_CYCLE_1)
	s_add_i32 m0, s8, -13
	v_movrels_b32_e32 v108, v34
	ds_load_b128 v[99:102], v97
	ds_load_b128 v[103:106], v97 offset:16
	s_add_i32 m0, s8, -14
	v_movrels_b32_e32 v107, v34
	s_add_i32 m0, s8, -11
	s_waitcnt lgkmcnt(1)
	s_delay_alu instid0(VALU_DEP_1) | instskip(SKIP_4) | instid1(VALU_DEP_1)
	v_fma_f64 v[94:95], v[107:108], v[99:100], v[94:95]
	v_movrels_b32_e32 v100, v34
	s_add_i32 m0, s8, -12
	v_movrels_b32_e32 v99, v34
	s_add_i32 m0, s8, -9
	v_fma_f64 v[94:95], v[99:100], v[101:102], v[94:95]
	v_movrels_b32_e32 v100, v34
	s_add_i32 m0, s8, -10
	v_movrels_b32_e32 v99, v34
	s_add_i32 m0, s8, -7
	s_waitcnt lgkmcnt(0)
	s_delay_alu instid0(VALU_DEP_1)
	v_fma_f64 v[94:95], v[99:100], v[103:104], v[94:95]
	v_movrels_b32_e32 v100, v34
	s_add_i32 m0, s8, -8
	v_movrels_b32_e32 v99, v34
	s_add_i32 m0, s8, -5
	;; [unrolled: 2-line block ×4, first 2 shown]
	v_fma_f64 v[94:95], v[99:100], v[105:106], v[94:95]
	ds_load_b128 v[99:102], v97 offset:32
	ds_load_b128 v[103:106], v97 offset:48
	s_waitcnt lgkmcnt(1)
	v_fma_f64 v[94:95], v[107:108], v[99:100], v[94:95]
	v_movrels_b32_e32 v100, v34
	s_add_i32 m0, s8, -4
	v_movrels_b32_e32 v99, v34
	s_add_i32 m0, s8, -1
	s_delay_alu instid0(VALU_DEP_1)
	v_fma_f64 v[94:95], v[99:100], v[101:102], v[94:95]
	v_movrels_b32_e32 v100, v34
	s_add_i32 m0, s8, -2
	s_add_u32 s2, s2, 8
	v_movrels_b32_e32 v99, v34
	s_mov_b32 m0, s8
	v_add_nc_u32_e32 v97, s2, v98
	s_addc_u32 s3, s3, 0
	s_add_i32 s8, s2, -7
	s_add_i32 s7, s7, 64
	s_delay_alu instid0(VALU_DEP_1)
	v_cmp_eq_u32_e32 vcc_lo, 7, v97
	v_mov_b32_e32 v97, s8
	s_or_b32 s6, vcc_lo, s6
	s_waitcnt lgkmcnt(0)
	v_fma_f64 v[94:95], v[99:100], v[103:104], v[94:95]
	v_movrels_b32_e32 v100, v35
	v_movrels_b32_e32 v99, v34
	s_delay_alu instid0(VALU_DEP_1)
	v_fma_f64 v[94:95], v[99:100], v[105:106], v[94:95]
	s_and_not1_b32 exec_lo, exec_lo, s6
	s_cbranch_execnz .LBB77_75
; %bb.76:
	s_or_b32 exec_lo, exec_lo, s6
.LBB77_77:
	s_delay_alu instid0(SALU_CYCLE_1) | instskip(SKIP_3) | instid1(VALU_DEP_1)
	s_or_b32 exec_lo, exec_lo, s0
	v_and_b32_e32 v62, 7, v0
	s_mov_b32 s3, 0
	s_mov_b32 s2, exec_lo
	v_cmpx_ne_u32_e32 0, v62
	s_cbranch_execz .LBB77_81
; %bb.78:
	v_lshl_add_u32 v63, v97, 3, 0x70
	v_mov_b32_e32 v64, 0
.LBB77_79:                              ; =>This Inner Loop Header: Depth=1
	v_cmp_eq_u32_e32 vcc_lo, 1, v97
	v_cmp_eq_u32_e64 s0, 2, v97
	v_dual_cndmask_b32 v65, v35, v37 :: v_dual_add_nc_u32 v62, -1, v62
	v_cndmask_b32_e32 v98, v34, v36, vcc_lo
	v_cmp_eq_u32_e32 vcc_lo, 3, v97
	s_delay_alu instid0(VALU_DEP_3) | instskip(NEXT) | instid1(VALU_DEP_3)
	v_cndmask_b32_e64 v65, v65, v39, s0
	v_cndmask_b32_e64 v98, v98, v38, s0
	v_cmp_eq_u32_e64 s0, 4, v97
	s_delay_alu instid0(VALU_DEP_2) | instskip(SKIP_1) | instid1(VALU_DEP_2)
	v_dual_cndmask_b32 v65, v65, v41 :: v_dual_cndmask_b32 v98, v98, v40
	v_cmp_eq_u32_e32 vcc_lo, 5, v97
	v_cndmask_b32_e64 v65, v65, v43, s0
	s_delay_alu instid0(VALU_DEP_3) | instskip(SKIP_1) | instid1(VALU_DEP_2)
	v_cndmask_b32_e64 v98, v98, v42, s0
	v_cmp_eq_u32_e64 s0, 6, v97
	v_dual_cndmask_b32 v65, v65, v45 :: v_dual_cndmask_b32 v98, v98, v44
	v_cmp_eq_u32_e32 vcc_lo, 7, v97
	s_delay_alu instid0(VALU_DEP_2) | instskip(NEXT) | instid1(VALU_DEP_3)
	v_cndmask_b32_e64 v65, v65, v47, s0
	v_cndmask_b32_e64 v98, v98, v46, s0
	v_cmp_eq_u32_e64 s0, 8, v97
	s_delay_alu instid0(VALU_DEP_2) | instskip(SKIP_1) | instid1(VALU_DEP_2)
	v_dual_cndmask_b32 v65, v65, v49 :: v_dual_cndmask_b32 v98, v98, v48
	v_cmp_eq_u32_e32 vcc_lo, 9, v97
	v_cndmask_b32_e64 v65, v65, v51, s0
	s_delay_alu instid0(VALU_DEP_3) | instskip(SKIP_1) | instid1(VALU_DEP_2)
	v_cndmask_b32_e64 v98, v98, v50, s0
	v_cmp_eq_u32_e64 s0, 10, v97
	v_dual_cndmask_b32 v65, v65, v53 :: v_dual_cndmask_b32 v100, v98, v52
	ds_load_b64 v[98:99], v63
	v_cmp_eq_u32_e32 vcc_lo, 11, v97
	v_add_nc_u32_e32 v63, 8, v63
	v_cndmask_b32_e64 v65, v65, v55, s0
	v_cndmask_b32_e64 v100, v100, v54, s0
	v_cmp_eq_u32_e64 s0, 12, v97
	s_delay_alu instid0(VALU_DEP_2) | instskip(SKIP_1) | instid1(VALU_DEP_2)
	v_dual_cndmask_b32 v65, v65, v57 :: v_dual_cndmask_b32 v100, v100, v56
	v_cmp_eq_u32_e32 vcc_lo, 13, v97
	v_cndmask_b32_e64 v65, v65, v59, s0
	s_delay_alu instid0(VALU_DEP_3) | instskip(SKIP_1) | instid1(VALU_DEP_1)
	v_cndmask_b32_e64 v100, v100, v58, s0
	v_add_co_u32 v97, s0, v97, 1
	v_add_co_ci_u32_e64 v64, s0, 0, v64, s0
	s_delay_alu instid0(VALU_DEP_3) | instskip(SKIP_2) | instid1(VALU_DEP_2)
	v_dual_cndmask_b32 v101, v65, v61 :: v_dual_cndmask_b32 v100, v100, v60
	v_cmp_eq_u32_e32 vcc_lo, 0, v62
	s_waitcnt lgkmcnt(0)
	v_fma_f64 v[94:95], v[100:101], v[98:99], v[94:95]
	s_or_b32 s3, vcc_lo, s3
	s_delay_alu instid0(SALU_CYCLE_1)
	s_and_not1_b32 exec_lo, exec_lo, s3
	s_cbranch_execnz .LBB77_79
; %bb.80:
	s_or_b32 exec_lo, exec_lo, s3
.LBB77_81:
	s_delay_alu instid0(SALU_CYCLE_1)
	s_or_b32 exec_lo, exec_lo, s2
.LBB77_82:
	s_delay_alu instid0(SALU_CYCLE_1)
	s_or_b32 exec_lo, exec_lo, s5
	v_mov_b32_e32 v48, 0
	ds_load_b64 v[48:49], v48 offset:56
	s_waitcnt lgkmcnt(0)
	v_mul_f64 v[48:49], v[94:95], v[48:49]
.LBB77_83:
	s_or_b32 exec_lo, exec_lo, s4
	v_cmp_lt_u32_e64 s0, 6, v0
	ds_store_b64 v96, v[46:47]
	s_waitcnt lgkmcnt(0)
	s_barrier
	buffer_gl0_inv
	s_and_saveexec_b32 s4, s0
	s_cbranch_execz .LBB77_99
; %bb.84:
	s_and_not1_b32 vcc_lo, exec_lo, s14
	s_cbranch_vccnz .LBB77_86
; %bb.85:
	v_cmp_eq_u32_e32 vcc_lo, 1, v0
	v_dual_cndmask_b32 v94, v35, v37 :: v_dual_cndmask_b32 v95, v34, v36
	v_cmp_eq_u32_e32 vcc_lo, 2, v0
	s_delay_alu instid0(VALU_DEP_2) | instskip(SKIP_1) | instid1(VALU_DEP_2)
	v_dual_cndmask_b32 v94, v94, v39 :: v_dual_cndmask_b32 v95, v95, v38
	v_cmp_eq_u32_e32 vcc_lo, 3, v0
	v_dual_cndmask_b32 v94, v94, v41 :: v_dual_cndmask_b32 v95, v95, v40
	v_cmp_eq_u32_e32 vcc_lo, 4, v0
	s_delay_alu instid0(VALU_DEP_2) | instskip(SKIP_1) | instid1(VALU_DEP_2)
	v_dual_cndmask_b32 v94, v94, v43 :: v_dual_cndmask_b32 v95, v95, v42
	;; [unrolled: 5-line block ×4, first 2 shown]
	v_cmp_eq_u32_e32 vcc_lo, 9, v0
	v_dual_cndmask_b32 v94, v94, v53 :: v_dual_cndmask_b32 v95, v95, v52
	v_cmp_eq_u32_e32 vcc_lo, 10, v0
	s_delay_alu instid0(VALU_DEP_2) | instskip(SKIP_4) | instid1(VALU_DEP_2)
	v_dual_cndmask_b32 v97, v94, v55 :: v_dual_cndmask_b32 v98, v95, v54
	v_cmp_eq_u32_e32 vcc_lo, 11, v0
	ds_load_b64 v[94:95], v96
	v_dual_cndmask_b32 v97, v97, v57 :: v_dual_cndmask_b32 v98, v98, v56
	v_cmp_eq_u32_e32 vcc_lo, 12, v0
	v_cndmask_b32_e32 v97, v97, v59, vcc_lo
	s_delay_alu instid0(VALU_DEP_3) | instskip(SKIP_1) | instid1(VALU_DEP_2)
	v_cndmask_b32_e32 v99, v98, v58, vcc_lo
	v_cmp_eq_u32_e32 vcc_lo, 13, v0
	v_dual_cndmask_b32 v98, v97, v61 :: v_dual_cndmask_b32 v97, v99, v60
	s_waitcnt lgkmcnt(0)
	s_delay_alu instid0(VALU_DEP_1)
	v_mul_f64 v[94:95], v[97:98], v[94:95]
	s_cbranch_execz .LBB77_87
	s_branch .LBB77_88
.LBB77_86:
                                        ; implicit-def: $vgpr94_vgpr95
.LBB77_87:
	ds_load_b64 v[94:95], v96
.LBB77_88:
	s_and_saveexec_b32 s5, s1
	s_cbranch_execz .LBB77_98
; %bb.89:
	v_dual_mov_b32 v99, 7 :: v_dual_add_nc_u32 v98, -8, v0
	v_add_nc_u32_e32 v97, -7, v0
	s_mov_b32 s1, exec_lo
	s_delay_alu instid0(VALU_DEP_2)
	v_cmpx_lt_u32_e32 6, v98
	s_cbranch_execz .LBB77_93
; %bb.90:
	s_delay_alu instid0(VALU_DEP_2) | instskip(SKIP_3) | instid1(VALU_DEP_1)
	v_and_b32_e32 v98, -8, v97
	s_mov_b32 s6, 0
	s_mov_b64 s[2:3], 14
	s_movk_i32 s7, 0xa8
	v_sub_nc_u32_e32 v98, 0, v98
.LBB77_91:                              ; =>This Inner Loop Header: Depth=1
	v_mov_b32_e32 v109, s7
	s_lshl_b32 s8, s2, 1
	s_delay_alu instid0(SALU_CYCLE_1)
	s_add_i32 m0, s8, -13
	v_movrels_b32_e32 v108, v34
	ds_load_2addr_b64 v[99:102], v109 offset1:1
	ds_load_2addr_b64 v[103:106], v109 offset0:2 offset1:3
	s_add_i32 m0, s8, -14
	v_movrels_b32_e32 v107, v34
	s_add_i32 m0, s8, -11
	s_waitcnt lgkmcnt(1)
	s_delay_alu instid0(VALU_DEP_1) | instskip(SKIP_4) | instid1(VALU_DEP_1)
	v_fma_f64 v[94:95], v[107:108], v[99:100], v[94:95]
	v_movrels_b32_e32 v100, v34
	s_add_i32 m0, s8, -12
	v_movrels_b32_e32 v99, v34
	s_add_i32 m0, s8, -9
	v_fma_f64 v[94:95], v[99:100], v[101:102], v[94:95]
	v_movrels_b32_e32 v100, v34
	s_add_i32 m0, s8, -10
	v_movrels_b32_e32 v99, v34
	s_add_i32 m0, s8, -7
	s_waitcnt lgkmcnt(0)
	s_delay_alu instid0(VALU_DEP_1)
	v_fma_f64 v[94:95], v[99:100], v[103:104], v[94:95]
	v_movrels_b32_e32 v100, v34
	s_add_i32 m0, s8, -8
	v_movrels_b32_e32 v99, v34
	s_add_i32 m0, s8, -5
	;; [unrolled: 2-line block ×4, first 2 shown]
	v_fma_f64 v[94:95], v[99:100], v[105:106], v[94:95]
	ds_load_2addr_b64 v[99:102], v109 offset0:4 offset1:5
	ds_load_2addr_b64 v[103:106], v109 offset0:6 offset1:7
	s_waitcnt lgkmcnt(1)
	v_fma_f64 v[94:95], v[107:108], v[99:100], v[94:95]
	v_movrels_b32_e32 v100, v34
	s_add_i32 m0, s8, -4
	v_movrels_b32_e32 v99, v34
	s_add_i32 m0, s8, -1
	s_delay_alu instid0(VALU_DEP_1)
	v_fma_f64 v[94:95], v[99:100], v[101:102], v[94:95]
	v_movrels_b32_e32 v100, v34
	s_add_i32 m0, s8, -2
	s_add_u32 s2, s2, 8
	v_movrels_b32_e32 v99, v34
	s_mov_b32 m0, s8
	s_addc_u32 s3, s3, 0
	s_add_i32 s8, s2, -7
	s_add_i32 s7, s7, 64
	s_waitcnt lgkmcnt(0)
	s_delay_alu instid0(VALU_DEP_3) | instskip(SKIP_2) | instid1(VALU_DEP_1)
	v_fma_f64 v[94:95], v[99:100], v[103:104], v[94:95]
	v_movrels_b32_e32 v100, v35
	v_movrels_b32_e32 v99, v34
	v_fma_f64 v[94:95], v[99:100], v[105:106], v[94:95]
	v_add_nc_u32_e32 v99, s2, v98
	s_delay_alu instid0(VALU_DEP_1) | instskip(SKIP_2) | instid1(SALU_CYCLE_1)
	v_cmp_eq_u32_e32 vcc_lo, 14, v99
	v_mov_b32_e32 v99, s8
	s_or_b32 s6, vcc_lo, s6
	s_and_not1_b32 exec_lo, exec_lo, s6
	s_cbranch_execnz .LBB77_91
; %bb.92:
	s_or_b32 exec_lo, exec_lo, s6
.LBB77_93:
	s_delay_alu instid0(SALU_CYCLE_1) | instskip(SKIP_3) | instid1(VALU_DEP_1)
	s_or_b32 exec_lo, exec_lo, s1
	v_and_b32_e32 v62, 7, v97
	s_mov_b32 s3, 0
	s_mov_b32 s2, exec_lo
	v_cmpx_ne_u32_e32 0, v62
	s_cbranch_execz .LBB77_97
; %bb.94:
	v_lshl_add_u32 v63, v99, 3, 0x70
	v_mov_b32_e32 v64, 0
.LBB77_95:                              ; =>This Inner Loop Header: Depth=1
	v_cmp_eq_u32_e32 vcc_lo, 1, v99
	v_cmp_eq_u32_e64 s1, 2, v99
	v_dual_cndmask_b32 v65, v35, v37 :: v_dual_add_nc_u32 v62, -1, v62
	v_cndmask_b32_e32 v97, v34, v36, vcc_lo
	v_cmp_eq_u32_e32 vcc_lo, 3, v99
	s_delay_alu instid0(VALU_DEP_3) | instskip(NEXT) | instid1(VALU_DEP_3)
	v_cndmask_b32_e64 v65, v65, v39, s1
	v_cndmask_b32_e64 v97, v97, v38, s1
	v_cmp_eq_u32_e64 s1, 4, v99
	s_delay_alu instid0(VALU_DEP_3) | instskip(NEXT) | instid1(VALU_DEP_3)
	v_cndmask_b32_e32 v65, v65, v41, vcc_lo
	v_cndmask_b32_e32 v97, v97, v40, vcc_lo
	v_cmp_eq_u32_e32 vcc_lo, 5, v99
	s_delay_alu instid0(VALU_DEP_3) | instskip(NEXT) | instid1(VALU_DEP_3)
	v_cndmask_b32_e64 v65, v65, v43, s1
	v_cndmask_b32_e64 v97, v97, v42, s1
	v_cmp_eq_u32_e64 s1, 6, v99
	s_delay_alu instid0(VALU_DEP_3) | instskip(NEXT) | instid1(VALU_DEP_3)
	v_cndmask_b32_e32 v65, v65, v45, vcc_lo
	v_cndmask_b32_e32 v97, v97, v44, vcc_lo
	v_cmp_eq_u32_e32 vcc_lo, 7, v99
	s_delay_alu instid0(VALU_DEP_3) | instskip(NEXT) | instid1(VALU_DEP_3)
	v_cndmask_b32_e64 v65, v65, v47, s1
	v_cndmask_b32_e64 v97, v97, v46, s1
	v_cmp_eq_u32_e64 s1, 8, v99
	s_delay_alu instid0(VALU_DEP_3) | instskip(NEXT) | instid1(VALU_DEP_3)
	v_cndmask_b32_e32 v65, v65, v49, vcc_lo
	v_cndmask_b32_e32 v97, v97, v48, vcc_lo
	v_cmp_eq_u32_e32 vcc_lo, 9, v99
	s_delay_alu instid0(VALU_DEP_3) | instskip(NEXT) | instid1(VALU_DEP_3)
	v_cndmask_b32_e64 v65, v65, v51, s1
	v_cndmask_b32_e64 v97, v97, v50, s1
	v_cmp_eq_u32_e64 s1, 10, v99
	s_delay_alu instid0(VALU_DEP_3) | instskip(NEXT) | instid1(VALU_DEP_3)
	v_cndmask_b32_e32 v65, v65, v53, vcc_lo
	v_cndmask_b32_e32 v100, v97, v52, vcc_lo
	ds_load_b64 v[97:98], v63
	v_cmp_eq_u32_e32 vcc_lo, 11, v99
	v_add_nc_u32_e32 v63, 8, v63
	v_cndmask_b32_e64 v65, v65, v55, s1
	v_cndmask_b32_e64 v100, v100, v54, s1
	v_cmp_eq_u32_e64 s1, 12, v99
	s_delay_alu instid0(VALU_DEP_2) | instskip(SKIP_1) | instid1(VALU_DEP_2)
	v_dual_cndmask_b32 v65, v65, v57 :: v_dual_cndmask_b32 v100, v100, v56
	v_cmp_eq_u32_e32 vcc_lo, 13, v99
	v_cndmask_b32_e64 v65, v65, v59, s1
	s_delay_alu instid0(VALU_DEP_3) | instskip(SKIP_1) | instid1(VALU_DEP_1)
	v_cndmask_b32_e64 v100, v100, v58, s1
	v_add_co_u32 v99, s1, v99, 1
	v_add_co_ci_u32_e64 v64, s1, 0, v64, s1
	s_delay_alu instid0(VALU_DEP_3) | instskip(SKIP_2) | instid1(VALU_DEP_2)
	v_dual_cndmask_b32 v100, v100, v60 :: v_dual_cndmask_b32 v101, v65, v61
	v_cmp_eq_u32_e32 vcc_lo, 0, v62
	s_waitcnt lgkmcnt(0)
	v_fma_f64 v[94:95], v[100:101], v[97:98], v[94:95]
	s_or_b32 s3, vcc_lo, s3
	s_delay_alu instid0(SALU_CYCLE_1)
	s_and_not1_b32 exec_lo, exec_lo, s3
	s_cbranch_execnz .LBB77_95
; %bb.96:
	s_or_b32 exec_lo, exec_lo, s3
.LBB77_97:
	s_delay_alu instid0(SALU_CYCLE_1)
	s_or_b32 exec_lo, exec_lo, s2
.LBB77_98:
	s_delay_alu instid0(SALU_CYCLE_1)
	s_or_b32 exec_lo, exec_lo, s5
	v_mov_b32_e32 v46, 0
	ds_load_b64 v[46:47], v46 offset:48
	s_waitcnt lgkmcnt(0)
	v_mul_f64 v[46:47], v[94:95], v[46:47]
.LBB77_99:
	s_or_b32 exec_lo, exec_lo, s4
	v_cmp_lt_u32_e64 s2, 5, v0
	ds_store_b64 v96, v[44:45]
	s_waitcnt lgkmcnt(0)
	s_barrier
	buffer_gl0_inv
	s_and_saveexec_b32 s3, s2
	s_cbranch_execz .LBB77_115
; %bb.100:
	s_and_not1_b32 vcc_lo, exec_lo, s14
	s_cbranch_vccnz .LBB77_102
; %bb.101:
	v_cmp_eq_u32_e32 vcc_lo, 1, v0
	v_dual_cndmask_b32 v94, v35, v37 :: v_dual_cndmask_b32 v95, v34, v36
	v_cmp_eq_u32_e32 vcc_lo, 2, v0
	s_delay_alu instid0(VALU_DEP_2) | instskip(SKIP_1) | instid1(VALU_DEP_2)
	v_dual_cndmask_b32 v94, v94, v39 :: v_dual_cndmask_b32 v95, v95, v38
	v_cmp_eq_u32_e32 vcc_lo, 3, v0
	v_dual_cndmask_b32 v94, v94, v41 :: v_dual_cndmask_b32 v95, v95, v40
	v_cmp_eq_u32_e32 vcc_lo, 4, v0
	s_delay_alu instid0(VALU_DEP_2) | instskip(SKIP_1) | instid1(VALU_DEP_2)
	v_dual_cndmask_b32 v94, v94, v43 :: v_dual_cndmask_b32 v95, v95, v42
	;; [unrolled: 5-line block ×4, first 2 shown]
	v_cmp_eq_u32_e32 vcc_lo, 9, v0
	v_dual_cndmask_b32 v94, v94, v53 :: v_dual_cndmask_b32 v95, v95, v52
	v_cmp_eq_u32_e32 vcc_lo, 10, v0
	s_delay_alu instid0(VALU_DEP_2) | instskip(SKIP_4) | instid1(VALU_DEP_2)
	v_dual_cndmask_b32 v97, v94, v55 :: v_dual_cndmask_b32 v98, v95, v54
	v_cmp_eq_u32_e32 vcc_lo, 11, v0
	ds_load_b64 v[94:95], v96
	v_dual_cndmask_b32 v97, v97, v57 :: v_dual_cndmask_b32 v98, v98, v56
	v_cmp_eq_u32_e32 vcc_lo, 12, v0
	v_cndmask_b32_e32 v97, v97, v59, vcc_lo
	s_delay_alu instid0(VALU_DEP_3) | instskip(SKIP_1) | instid1(VALU_DEP_2)
	v_cndmask_b32_e32 v99, v98, v58, vcc_lo
	v_cmp_eq_u32_e32 vcc_lo, 13, v0
	v_dual_cndmask_b32 v98, v97, v61 :: v_dual_cndmask_b32 v97, v99, v60
	s_waitcnt lgkmcnt(0)
	s_delay_alu instid0(VALU_DEP_1)
	v_mul_f64 v[94:95], v[97:98], v[94:95]
	s_cbranch_execz .LBB77_103
	s_branch .LBB77_104
.LBB77_102:
                                        ; implicit-def: $vgpr94_vgpr95
.LBB77_103:
	ds_load_b64 v[94:95], v96
.LBB77_104:
	s_and_saveexec_b32 s4, s0
	s_cbranch_execz .LBB77_114
; %bb.105:
	v_add_nc_u32_e32 v98, -7, v0
	v_add_nc_u32_e32 v97, -6, v0
	s_delay_alu instid0(VALU_DEP_2)
	v_cmp_lt_u32_e32 vcc_lo, 6, v98
	v_mov_b32_e32 v98, 6
	s_and_saveexec_b32 s5, vcc_lo
	s_cbranch_execz .LBB77_109
; %bb.106:
	v_and_b32_e32 v98, -8, v97
	s_mov_b32 s6, 0
	s_mov_b64 s[0:1], 13
	s_movk_i32 s7, 0xa0
	s_delay_alu instid0(VALU_DEP_1)
	v_sub_nc_u32_e32 v99, 0, v98
.LBB77_107:                             ; =>This Inner Loop Header: Depth=1
	v_mov_b32_e32 v98, s7
	s_lshl_b32 s8, s0, 1
	s_delay_alu instid0(SALU_CYCLE_1)
	s_add_i32 m0, s8, -13
	v_movrels_b32_e32 v109, v34
	ds_load_b128 v[100:103], v98
	ds_load_b128 v[104:107], v98 offset:16
	s_add_i32 m0, s8, -14
	v_movrels_b32_e32 v108, v34
	s_add_i32 m0, s8, -11
	s_waitcnt lgkmcnt(1)
	s_delay_alu instid0(VALU_DEP_1) | instskip(SKIP_4) | instid1(VALU_DEP_1)
	v_fma_f64 v[94:95], v[108:109], v[100:101], v[94:95]
	v_movrels_b32_e32 v101, v34
	s_add_i32 m0, s8, -12
	v_movrels_b32_e32 v100, v34
	s_add_i32 m0, s8, -9
	v_fma_f64 v[94:95], v[100:101], v[102:103], v[94:95]
	v_movrels_b32_e32 v101, v34
	s_add_i32 m0, s8, -10
	v_movrels_b32_e32 v100, v34
	s_add_i32 m0, s8, -7
	s_waitcnt lgkmcnt(0)
	s_delay_alu instid0(VALU_DEP_1)
	v_fma_f64 v[94:95], v[100:101], v[104:105], v[94:95]
	v_movrels_b32_e32 v101, v34
	s_add_i32 m0, s8, -8
	v_movrels_b32_e32 v100, v34
	s_add_i32 m0, s8, -5
	;; [unrolled: 2-line block ×4, first 2 shown]
	v_fma_f64 v[94:95], v[100:101], v[106:107], v[94:95]
	ds_load_b128 v[100:103], v98 offset:32
	ds_load_b128 v[104:107], v98 offset:48
	s_waitcnt lgkmcnt(1)
	v_fma_f64 v[94:95], v[108:109], v[100:101], v[94:95]
	v_movrels_b32_e32 v101, v34
	s_add_i32 m0, s8, -4
	v_movrels_b32_e32 v100, v34
	s_add_i32 m0, s8, -1
	s_delay_alu instid0(VALU_DEP_1)
	v_fma_f64 v[94:95], v[100:101], v[102:103], v[94:95]
	v_movrels_b32_e32 v101, v34
	s_add_i32 m0, s8, -2
	s_add_u32 s0, s0, 8
	v_movrels_b32_e32 v100, v34
	s_mov_b32 m0, s8
	v_add_nc_u32_e32 v98, s0, v99
	s_addc_u32 s1, s1, 0
	s_add_i32 s8, s0, -7
	s_add_i32 s7, s7, 64
	s_delay_alu instid0(VALU_DEP_1)
	v_cmp_eq_u32_e32 vcc_lo, 13, v98
	v_mov_b32_e32 v98, s8
	s_or_b32 s6, vcc_lo, s6
	s_waitcnt lgkmcnt(0)
	v_fma_f64 v[94:95], v[100:101], v[104:105], v[94:95]
	v_movrels_b32_e32 v101, v35
	v_movrels_b32_e32 v100, v34
	s_delay_alu instid0(VALU_DEP_1)
	v_fma_f64 v[94:95], v[100:101], v[106:107], v[94:95]
	s_and_not1_b32 exec_lo, exec_lo, s6
	s_cbranch_execnz .LBB77_107
; %bb.108:
	s_or_b32 exec_lo, exec_lo, s6
.LBB77_109:
	s_delay_alu instid0(SALU_CYCLE_1) | instskip(SKIP_3) | instid1(VALU_DEP_1)
	s_or_b32 exec_lo, exec_lo, s5
	v_and_b32_e32 v62, 7, v97
	s_mov_b32 s5, 0
	s_mov_b32 s1, exec_lo
	v_cmpx_ne_u32_e32 0, v62
	s_cbranch_execz .LBB77_113
; %bb.110:
	v_lshl_add_u32 v63, v98, 3, 0x70
	v_mov_b32_e32 v64, 0
.LBB77_111:                             ; =>This Inner Loop Header: Depth=1
	v_cmp_eq_u32_e32 vcc_lo, 1, v98
	v_cmp_eq_u32_e64 s0, 2, v98
	ds_load_b64 v[99:100], v63
	v_add_nc_u32_e32 v63, 8, v63
	v_dual_cndmask_b32 v65, v35, v37 :: v_dual_add_nc_u32 v62, -1, v62
	v_cndmask_b32_e32 v97, v34, v36, vcc_lo
	v_cmp_eq_u32_e32 vcc_lo, 3, v98
	s_delay_alu instid0(VALU_DEP_3) | instskip(NEXT) | instid1(VALU_DEP_3)
	v_cndmask_b32_e64 v65, v65, v39, s0
	v_cndmask_b32_e64 v97, v97, v38, s0
	v_cmp_eq_u32_e64 s0, 4, v98
	s_delay_alu instid0(VALU_DEP_3) | instskip(NEXT) | instid1(VALU_DEP_3)
	v_cndmask_b32_e32 v65, v65, v41, vcc_lo
	v_cndmask_b32_e32 v97, v97, v40, vcc_lo
	v_cmp_eq_u32_e32 vcc_lo, 5, v98
	s_delay_alu instid0(VALU_DEP_3) | instskip(NEXT) | instid1(VALU_DEP_3)
	v_cndmask_b32_e64 v65, v65, v43, s0
	v_cndmask_b32_e64 v97, v97, v42, s0
	v_cmp_eq_u32_e64 s0, 6, v98
	s_delay_alu instid0(VALU_DEP_3) | instskip(NEXT) | instid1(VALU_DEP_3)
	v_cndmask_b32_e32 v65, v65, v45, vcc_lo
	;; [unrolled: 8-line block ×5, first 2 shown]
	v_cndmask_b32_e32 v97, v97, v56, vcc_lo
	v_cmp_eq_u32_e32 vcc_lo, 13, v98
	s_delay_alu instid0(VALU_DEP_3) | instskip(NEXT) | instid1(VALU_DEP_3)
	v_cndmask_b32_e64 v65, v65, v59, s0
	v_cndmask_b32_e64 v97, v97, v58, s0
	v_add_co_u32 v98, s0, v98, 1
	s_delay_alu instid0(VALU_DEP_1) | instskip(NEXT) | instid1(VALU_DEP_4)
	v_add_co_ci_u32_e64 v64, s0, 0, v64, s0
	v_cndmask_b32_e32 v102, v65, v61, vcc_lo
	s_delay_alu instid0(VALU_DEP_4) | instskip(SKIP_2) | instid1(VALU_DEP_2)
	v_cndmask_b32_e32 v101, v97, v60, vcc_lo
	v_cmp_eq_u32_e32 vcc_lo, 0, v62
	s_waitcnt lgkmcnt(0)
	v_fma_f64 v[94:95], v[101:102], v[99:100], v[94:95]
	s_or_b32 s5, vcc_lo, s5
	s_delay_alu instid0(SALU_CYCLE_1)
	s_and_not1_b32 exec_lo, exec_lo, s5
	s_cbranch_execnz .LBB77_111
; %bb.112:
	s_or_b32 exec_lo, exec_lo, s5
.LBB77_113:
	s_delay_alu instid0(SALU_CYCLE_1)
	s_or_b32 exec_lo, exec_lo, s1
.LBB77_114:
	s_delay_alu instid0(SALU_CYCLE_1)
	s_or_b32 exec_lo, exec_lo, s4
	v_mov_b32_e32 v44, 0
	ds_load_b64 v[44:45], v44 offset:40
	s_waitcnt lgkmcnt(0)
	v_mul_f64 v[44:45], v[94:95], v[44:45]
.LBB77_115:
	s_or_b32 exec_lo, exec_lo, s3
	v_cmp_lt_u32_e64 s1, 4, v0
	ds_store_b64 v96, v[42:43]
	s_waitcnt lgkmcnt(0)
	s_barrier
	buffer_gl0_inv
	s_and_saveexec_b32 s4, s1
	s_cbranch_execz .LBB77_131
; %bb.116:
	s_and_not1_b32 vcc_lo, exec_lo, s14
	s_cbranch_vccnz .LBB77_118
; %bb.117:
	v_cmp_eq_u32_e32 vcc_lo, 1, v0
	v_dual_cndmask_b32 v94, v35, v37 :: v_dual_cndmask_b32 v95, v34, v36
	v_cmp_eq_u32_e32 vcc_lo, 2, v0
	s_delay_alu instid0(VALU_DEP_2) | instskip(SKIP_1) | instid1(VALU_DEP_2)
	v_dual_cndmask_b32 v94, v94, v39 :: v_dual_cndmask_b32 v95, v95, v38
	v_cmp_eq_u32_e32 vcc_lo, 3, v0
	v_dual_cndmask_b32 v94, v94, v41 :: v_dual_cndmask_b32 v95, v95, v40
	v_cmp_eq_u32_e32 vcc_lo, 4, v0
	s_delay_alu instid0(VALU_DEP_2) | instskip(SKIP_1) | instid1(VALU_DEP_2)
	v_dual_cndmask_b32 v94, v94, v43 :: v_dual_cndmask_b32 v95, v95, v42
	v_cmp_eq_u32_e32 vcc_lo, 5, v0
	v_dual_cndmask_b32 v94, v94, v45 :: v_dual_cndmask_b32 v95, v95, v44
	v_cmp_eq_u32_e32 vcc_lo, 6, v0
	s_delay_alu instid0(VALU_DEP_2) | instskip(SKIP_1) | instid1(VALU_DEP_2)
	v_dual_cndmask_b32 v94, v94, v47 :: v_dual_cndmask_b32 v95, v95, v46
	v_cmp_eq_u32_e32 vcc_lo, 7, v0
	v_dual_cndmask_b32 v94, v94, v49 :: v_dual_cndmask_b32 v95, v95, v48
	v_cmp_eq_u32_e32 vcc_lo, 8, v0
	s_delay_alu instid0(VALU_DEP_2) | instskip(SKIP_1) | instid1(VALU_DEP_2)
	v_dual_cndmask_b32 v94, v94, v51 :: v_dual_cndmask_b32 v95, v95, v50
	v_cmp_eq_u32_e32 vcc_lo, 9, v0
	v_dual_cndmask_b32 v94, v94, v53 :: v_dual_cndmask_b32 v95, v95, v52
	v_cmp_eq_u32_e32 vcc_lo, 10, v0
	s_delay_alu instid0(VALU_DEP_2) | instskip(SKIP_4) | instid1(VALU_DEP_2)
	v_dual_cndmask_b32 v97, v94, v55 :: v_dual_cndmask_b32 v98, v95, v54
	v_cmp_eq_u32_e32 vcc_lo, 11, v0
	ds_load_b64 v[94:95], v96
	v_dual_cndmask_b32 v97, v97, v57 :: v_dual_cndmask_b32 v98, v98, v56
	v_cmp_eq_u32_e32 vcc_lo, 12, v0
	v_cndmask_b32_e32 v97, v97, v59, vcc_lo
	s_delay_alu instid0(VALU_DEP_3) | instskip(SKIP_1) | instid1(VALU_DEP_2)
	v_cndmask_b32_e32 v99, v98, v58, vcc_lo
	v_cmp_eq_u32_e32 vcc_lo, 13, v0
	v_dual_cndmask_b32 v98, v97, v61 :: v_dual_cndmask_b32 v97, v99, v60
	s_waitcnt lgkmcnt(0)
	s_delay_alu instid0(VALU_DEP_1)
	v_mul_f64 v[94:95], v[97:98], v[94:95]
	s_cbranch_execz .LBB77_119
	s_branch .LBB77_120
.LBB77_118:
                                        ; implicit-def: $vgpr94_vgpr95
.LBB77_119:
	ds_load_b64 v[94:95], v96
.LBB77_120:
	s_and_saveexec_b32 s5, s2
	s_cbranch_execz .LBB77_130
; %bb.121:
	v_dual_mov_b32 v99, 5 :: v_dual_add_nc_u32 v98, -6, v0
	v_add_nc_u32_e32 v97, -5, v0
	s_mov_b32 s0, exec_lo
	s_delay_alu instid0(VALU_DEP_2)
	v_cmpx_lt_u32_e32 6, v98
	s_cbranch_execz .LBB77_125
; %bb.122:
	s_delay_alu instid0(VALU_DEP_2) | instskip(SKIP_3) | instid1(VALU_DEP_1)
	v_and_b32_e32 v98, -8, v97
	s_mov_b32 s6, 0
	s_mov_b64 s[2:3], 12
	s_movk_i32 s7, 0x98
	v_sub_nc_u32_e32 v98, 0, v98
.LBB77_123:                             ; =>This Inner Loop Header: Depth=1
	v_mov_b32_e32 v109, s7
	s_lshl_b32 s8, s2, 1
	s_delay_alu instid0(SALU_CYCLE_1)
	s_add_i32 m0, s8, -13
	v_movrels_b32_e32 v108, v34
	ds_load_2addr_b64 v[99:102], v109 offset1:1
	ds_load_2addr_b64 v[103:106], v109 offset0:2 offset1:3
	s_add_i32 m0, s8, -14
	v_movrels_b32_e32 v107, v34
	s_add_i32 m0, s8, -11
	s_waitcnt lgkmcnt(1)
	s_delay_alu instid0(VALU_DEP_1) | instskip(SKIP_4) | instid1(VALU_DEP_1)
	v_fma_f64 v[94:95], v[107:108], v[99:100], v[94:95]
	v_movrels_b32_e32 v100, v34
	s_add_i32 m0, s8, -12
	v_movrels_b32_e32 v99, v34
	s_add_i32 m0, s8, -9
	v_fma_f64 v[94:95], v[99:100], v[101:102], v[94:95]
	v_movrels_b32_e32 v100, v34
	s_add_i32 m0, s8, -10
	v_movrels_b32_e32 v99, v34
	s_add_i32 m0, s8, -7
	s_waitcnt lgkmcnt(0)
	s_delay_alu instid0(VALU_DEP_1)
	v_fma_f64 v[94:95], v[99:100], v[103:104], v[94:95]
	v_movrels_b32_e32 v100, v34
	s_add_i32 m0, s8, -8
	v_movrels_b32_e32 v99, v34
	s_add_i32 m0, s8, -5
	;; [unrolled: 2-line block ×4, first 2 shown]
	v_fma_f64 v[94:95], v[99:100], v[105:106], v[94:95]
	ds_load_2addr_b64 v[99:102], v109 offset0:4 offset1:5
	ds_load_2addr_b64 v[103:106], v109 offset0:6 offset1:7
	s_waitcnt lgkmcnt(1)
	v_fma_f64 v[94:95], v[107:108], v[99:100], v[94:95]
	v_movrels_b32_e32 v100, v34
	s_add_i32 m0, s8, -4
	v_movrels_b32_e32 v99, v34
	s_add_i32 m0, s8, -1
	s_delay_alu instid0(VALU_DEP_1)
	v_fma_f64 v[94:95], v[99:100], v[101:102], v[94:95]
	v_movrels_b32_e32 v100, v34
	s_add_i32 m0, s8, -2
	s_add_u32 s2, s2, 8
	v_movrels_b32_e32 v99, v34
	s_mov_b32 m0, s8
	s_addc_u32 s3, s3, 0
	s_add_i32 s8, s2, -7
	s_add_i32 s7, s7, 64
	s_waitcnt lgkmcnt(0)
	s_delay_alu instid0(VALU_DEP_3) | instskip(SKIP_2) | instid1(VALU_DEP_1)
	v_fma_f64 v[94:95], v[99:100], v[103:104], v[94:95]
	v_movrels_b32_e32 v100, v35
	v_movrels_b32_e32 v99, v34
	v_fma_f64 v[94:95], v[99:100], v[105:106], v[94:95]
	v_add_nc_u32_e32 v99, s2, v98
	s_delay_alu instid0(VALU_DEP_1) | instskip(SKIP_2) | instid1(SALU_CYCLE_1)
	v_cmp_eq_u32_e32 vcc_lo, 12, v99
	v_mov_b32_e32 v99, s8
	s_or_b32 s6, vcc_lo, s6
	s_and_not1_b32 exec_lo, exec_lo, s6
	s_cbranch_execnz .LBB77_123
; %bb.124:
	s_or_b32 exec_lo, exec_lo, s6
.LBB77_125:
	s_delay_alu instid0(SALU_CYCLE_1) | instskip(SKIP_3) | instid1(VALU_DEP_1)
	s_or_b32 exec_lo, exec_lo, s0
	v_and_b32_e32 v62, 7, v97
	s_mov_b32 s3, 0
	s_mov_b32 s2, exec_lo
	v_cmpx_ne_u32_e32 0, v62
	s_cbranch_execz .LBB77_129
; %bb.126:
	v_lshl_add_u32 v63, v99, 3, 0x70
	v_mov_b32_e32 v64, 0
.LBB77_127:                             ; =>This Inner Loop Header: Depth=1
	v_cmp_eq_u32_e32 vcc_lo, 1, v99
	v_cmp_eq_u32_e64 s0, 2, v99
	v_dual_cndmask_b32 v65, v35, v37 :: v_dual_add_nc_u32 v62, -1, v62
	v_cndmask_b32_e32 v97, v34, v36, vcc_lo
	v_cmp_eq_u32_e32 vcc_lo, 3, v99
	s_delay_alu instid0(VALU_DEP_3) | instskip(NEXT) | instid1(VALU_DEP_3)
	v_cndmask_b32_e64 v65, v65, v39, s0
	v_cndmask_b32_e64 v97, v97, v38, s0
	v_cmp_eq_u32_e64 s0, 4, v99
	s_delay_alu instid0(VALU_DEP_3) | instskip(NEXT) | instid1(VALU_DEP_3)
	v_cndmask_b32_e32 v65, v65, v41, vcc_lo
	v_cndmask_b32_e32 v97, v97, v40, vcc_lo
	v_cmp_eq_u32_e32 vcc_lo, 5, v99
	s_delay_alu instid0(VALU_DEP_3) | instskip(NEXT) | instid1(VALU_DEP_3)
	v_cndmask_b32_e64 v65, v65, v43, s0
	v_cndmask_b32_e64 v97, v97, v42, s0
	v_cmp_eq_u32_e64 s0, 6, v99
	s_delay_alu instid0(VALU_DEP_3) | instskip(NEXT) | instid1(VALU_DEP_3)
	v_cndmask_b32_e32 v65, v65, v45, vcc_lo
	;; [unrolled: 8-line block ×4, first 2 shown]
	v_cndmask_b32_e32 v100, v97, v52, vcc_lo
	ds_load_b64 v[97:98], v63
	v_cmp_eq_u32_e32 vcc_lo, 11, v99
	v_add_nc_u32_e32 v63, 8, v63
	v_cndmask_b32_e64 v65, v65, v55, s0
	v_cndmask_b32_e64 v100, v100, v54, s0
	v_cmp_eq_u32_e64 s0, 12, v99
	s_delay_alu instid0(VALU_DEP_2) | instskip(SKIP_1) | instid1(VALU_DEP_2)
	v_dual_cndmask_b32 v65, v65, v57 :: v_dual_cndmask_b32 v100, v100, v56
	v_cmp_eq_u32_e32 vcc_lo, 13, v99
	v_cndmask_b32_e64 v65, v65, v59, s0
	s_delay_alu instid0(VALU_DEP_3) | instskip(SKIP_1) | instid1(VALU_DEP_1)
	v_cndmask_b32_e64 v100, v100, v58, s0
	v_add_co_u32 v99, s0, v99, 1
	v_add_co_ci_u32_e64 v64, s0, 0, v64, s0
	s_delay_alu instid0(VALU_DEP_3) | instskip(SKIP_2) | instid1(VALU_DEP_2)
	v_dual_cndmask_b32 v100, v100, v60 :: v_dual_cndmask_b32 v101, v65, v61
	v_cmp_eq_u32_e32 vcc_lo, 0, v62
	s_waitcnt lgkmcnt(0)
	v_fma_f64 v[94:95], v[100:101], v[97:98], v[94:95]
	s_or_b32 s3, vcc_lo, s3
	s_delay_alu instid0(SALU_CYCLE_1)
	s_and_not1_b32 exec_lo, exec_lo, s3
	s_cbranch_execnz .LBB77_127
; %bb.128:
	s_or_b32 exec_lo, exec_lo, s3
.LBB77_129:
	s_delay_alu instid0(SALU_CYCLE_1)
	s_or_b32 exec_lo, exec_lo, s2
.LBB77_130:
	s_delay_alu instid0(SALU_CYCLE_1)
	s_or_b32 exec_lo, exec_lo, s5
	v_mov_b32_e32 v42, 0
	ds_load_b64 v[42:43], v42 offset:32
	s_waitcnt lgkmcnt(0)
	v_mul_f64 v[42:43], v[94:95], v[42:43]
.LBB77_131:
	s_or_b32 exec_lo, exec_lo, s4
	v_cmp_lt_u32_e64 s0, 3, v0
	ds_store_b64 v96, v[40:41]
	s_waitcnt lgkmcnt(0)
	s_barrier
	buffer_gl0_inv
	s_and_saveexec_b32 s4, s0
	s_cbranch_execz .LBB77_147
; %bb.132:
	s_and_not1_b32 vcc_lo, exec_lo, s14
	s_cbranch_vccnz .LBB77_134
; %bb.133:
	v_cmp_eq_u32_e32 vcc_lo, 1, v0
	v_dual_cndmask_b32 v94, v35, v37 :: v_dual_cndmask_b32 v95, v34, v36
	v_cmp_eq_u32_e32 vcc_lo, 2, v0
	s_delay_alu instid0(VALU_DEP_2) | instskip(SKIP_1) | instid1(VALU_DEP_2)
	v_dual_cndmask_b32 v94, v94, v39 :: v_dual_cndmask_b32 v95, v95, v38
	v_cmp_eq_u32_e32 vcc_lo, 3, v0
	v_dual_cndmask_b32 v94, v94, v41 :: v_dual_cndmask_b32 v95, v95, v40
	v_cmp_eq_u32_e32 vcc_lo, 4, v0
	s_delay_alu instid0(VALU_DEP_2) | instskip(SKIP_1) | instid1(VALU_DEP_2)
	v_dual_cndmask_b32 v94, v94, v43 :: v_dual_cndmask_b32 v95, v95, v42
	v_cmp_eq_u32_e32 vcc_lo, 5, v0
	v_dual_cndmask_b32 v94, v94, v45 :: v_dual_cndmask_b32 v95, v95, v44
	v_cmp_eq_u32_e32 vcc_lo, 6, v0
	s_delay_alu instid0(VALU_DEP_2) | instskip(SKIP_1) | instid1(VALU_DEP_2)
	v_dual_cndmask_b32 v94, v94, v47 :: v_dual_cndmask_b32 v95, v95, v46
	v_cmp_eq_u32_e32 vcc_lo, 7, v0
	v_dual_cndmask_b32 v94, v94, v49 :: v_dual_cndmask_b32 v95, v95, v48
	v_cmp_eq_u32_e32 vcc_lo, 8, v0
	s_delay_alu instid0(VALU_DEP_2) | instskip(SKIP_1) | instid1(VALU_DEP_2)
	v_dual_cndmask_b32 v94, v94, v51 :: v_dual_cndmask_b32 v95, v95, v50
	v_cmp_eq_u32_e32 vcc_lo, 9, v0
	v_dual_cndmask_b32 v94, v94, v53 :: v_dual_cndmask_b32 v95, v95, v52
	v_cmp_eq_u32_e32 vcc_lo, 10, v0
	s_delay_alu instid0(VALU_DEP_2) | instskip(SKIP_4) | instid1(VALU_DEP_2)
	v_dual_cndmask_b32 v97, v94, v55 :: v_dual_cndmask_b32 v98, v95, v54
	v_cmp_eq_u32_e32 vcc_lo, 11, v0
	ds_load_b64 v[94:95], v96
	v_dual_cndmask_b32 v97, v97, v57 :: v_dual_cndmask_b32 v98, v98, v56
	v_cmp_eq_u32_e32 vcc_lo, 12, v0
	v_cndmask_b32_e32 v97, v97, v59, vcc_lo
	s_delay_alu instid0(VALU_DEP_3) | instskip(SKIP_1) | instid1(VALU_DEP_2)
	v_cndmask_b32_e32 v99, v98, v58, vcc_lo
	v_cmp_eq_u32_e32 vcc_lo, 13, v0
	v_dual_cndmask_b32 v98, v97, v61 :: v_dual_cndmask_b32 v97, v99, v60
	s_waitcnt lgkmcnt(0)
	s_delay_alu instid0(VALU_DEP_1)
	v_mul_f64 v[94:95], v[97:98], v[94:95]
	s_cbranch_execz .LBB77_135
	s_branch .LBB77_136
.LBB77_134:
                                        ; implicit-def: $vgpr94_vgpr95
.LBB77_135:
	ds_load_b64 v[94:95], v96
.LBB77_136:
	s_and_saveexec_b32 s5, s1
	s_cbranch_execz .LBB77_146
; %bb.137:
	v_dual_mov_b32 v99, 4 :: v_dual_add_nc_u32 v98, -5, v0
	v_add_nc_u32_e32 v97, -4, v0
	s_mov_b32 s1, exec_lo
	s_delay_alu instid0(VALU_DEP_2)
	v_cmpx_lt_u32_e32 6, v98
	s_cbranch_execz .LBB77_141
; %bb.138:
	s_delay_alu instid0(VALU_DEP_2) | instskip(SKIP_3) | instid1(VALU_DEP_1)
	v_and_b32_e32 v98, -8, v97
	s_mov_b32 s6, 0
	s_mov_b64 s[2:3], 5
	s_movk_i32 s7, 0x90
	v_sub_nc_u32_e32 v98, 0, v98
.LBB77_139:                             ; =>This Inner Loop Header: Depth=1
	v_mov_b32_e32 v109, s7
	s_lshl_b32 s8, s2, 1
	s_delay_alu instid0(SALU_CYCLE_1)
	s_add_i32 m0, s8, -1
	s_add_i32 s9, s8, 3
	ds_load_b128 v[99:102], v109
	ds_load_b128 v[103:106], v109 offset:16
	v_movrels_b32_e32 v108, v34
	s_add_i32 m0, s8, -2
	s_add_i32 s10, s8, 2
	v_movrels_b32_e32 v107, v34
	s_mov_b32 m0, s8
	s_waitcnt lgkmcnt(1)
	s_delay_alu instid0(VALU_DEP_1) | instskip(SKIP_4) | instid1(VALU_DEP_1)
	v_fma_f64 v[94:95], v[107:108], v[99:100], v[94:95]
	v_movrels_b32_e32 v100, v35
	v_movrels_b32_e32 v99, v34
	s_mov_b32 m0, s9
	s_add_i32 s9, s8, 5
	v_fma_f64 v[94:95], v[99:100], v[101:102], v[94:95]
	v_movrels_b32_e32 v100, v34
	s_mov_b32 m0, s10
	s_add_i32 s10, s8, 4
	v_movrels_b32_e32 v99, v34
	s_mov_b32 m0, s9
	s_add_i32 s9, s8, 7
	s_waitcnt lgkmcnt(0)
	s_delay_alu instid0(VALU_DEP_1)
	v_fma_f64 v[94:95], v[99:100], v[103:104], v[94:95]
	v_movrels_b32_e32 v100, v34
	s_mov_b32 m0, s10
	s_add_i32 s10, s8, 6
	v_movrels_b32_e32 v99, v34
	s_mov_b32 m0, s9
	s_add_i32 s9, s8, 9
	;; [unrolled: 3-line block ×4, first 2 shown]
	v_fma_f64 v[94:95], v[99:100], v[105:106], v[94:95]
	ds_load_b128 v[99:102], v109 offset:32
	ds_load_b128 v[103:106], v109 offset:48
	s_waitcnt lgkmcnt(1)
	v_fma_f64 v[94:95], v[107:108], v[99:100], v[94:95]
	v_movrels_b32_e32 v100, v34
	s_mov_b32 m0, s10
	s_add_i32 s10, s8, 10
	v_movrels_b32_e32 v99, v34
	s_mov_b32 m0, s9
	s_add_i32 s9, s8, 13
	s_add_i32 s8, s8, 12
	s_add_u32 s2, s2, 8
	s_addc_u32 s3, s3, 0
	s_add_i32 s7, s7, 64
	s_delay_alu instid0(VALU_DEP_3)
	v_fma_f64 v[94:95], v[99:100], v[101:102], v[94:95]
	v_movrels_b32_e32 v100, v34
	s_mov_b32 m0, s10
	v_movrels_b32_e32 v99, v34
	s_mov_b32 m0, s9
	s_waitcnt lgkmcnt(0)
	s_delay_alu instid0(VALU_DEP_1) | instskip(SKIP_4) | instid1(VALU_DEP_1)
	v_fma_f64 v[94:95], v[99:100], v[103:104], v[94:95]
	v_movrels_b32_e32 v100, v34
	s_mov_b32 m0, s8
	s_add_i32 s8, s2, -1
	v_movrels_b32_e32 v99, v34
	v_fma_f64 v[94:95], v[99:100], v[105:106], v[94:95]
	v_add_nc_u32_e32 v99, s2, v98
	s_delay_alu instid0(VALU_DEP_1) | instskip(SKIP_2) | instid1(SALU_CYCLE_1)
	v_cmp_eq_u32_e32 vcc_lo, 5, v99
	v_mov_b32_e32 v99, s8
	s_or_b32 s6, vcc_lo, s6
	s_and_not1_b32 exec_lo, exec_lo, s6
	s_cbranch_execnz .LBB77_139
; %bb.140:
	s_or_b32 exec_lo, exec_lo, s6
.LBB77_141:
	s_delay_alu instid0(SALU_CYCLE_1) | instskip(SKIP_3) | instid1(VALU_DEP_1)
	s_or_b32 exec_lo, exec_lo, s1
	v_and_b32_e32 v62, 7, v97
	s_mov_b32 s3, 0
	s_mov_b32 s2, exec_lo
	v_cmpx_ne_u32_e32 0, v62
	s_cbranch_execz .LBB77_145
; %bb.142:
	v_lshl_add_u32 v63, v99, 3, 0x70
	v_mov_b32_e32 v64, 0
.LBB77_143:                             ; =>This Inner Loop Header: Depth=1
	v_cmp_eq_u32_e32 vcc_lo, 1, v99
	v_cmp_eq_u32_e64 s1, 2, v99
	v_dual_cndmask_b32 v65, v35, v37 :: v_dual_add_nc_u32 v62, -1, v62
	v_cndmask_b32_e32 v97, v34, v36, vcc_lo
	v_cmp_eq_u32_e32 vcc_lo, 3, v99
	s_delay_alu instid0(VALU_DEP_3) | instskip(NEXT) | instid1(VALU_DEP_3)
	v_cndmask_b32_e64 v65, v65, v39, s1
	v_cndmask_b32_e64 v97, v97, v38, s1
	v_cmp_eq_u32_e64 s1, 4, v99
	s_delay_alu instid0(VALU_DEP_3) | instskip(NEXT) | instid1(VALU_DEP_3)
	v_cndmask_b32_e32 v65, v65, v41, vcc_lo
	v_cndmask_b32_e32 v97, v97, v40, vcc_lo
	v_cmp_eq_u32_e32 vcc_lo, 5, v99
	s_delay_alu instid0(VALU_DEP_3) | instskip(NEXT) | instid1(VALU_DEP_3)
	v_cndmask_b32_e64 v65, v65, v43, s1
	v_cndmask_b32_e64 v97, v97, v42, s1
	v_cmp_eq_u32_e64 s1, 6, v99
	s_delay_alu instid0(VALU_DEP_3) | instskip(NEXT) | instid1(VALU_DEP_3)
	v_cndmask_b32_e32 v65, v65, v45, vcc_lo
	;; [unrolled: 8-line block ×4, first 2 shown]
	v_cndmask_b32_e32 v100, v97, v52, vcc_lo
	ds_load_b64 v[97:98], v63
	v_cmp_eq_u32_e32 vcc_lo, 11, v99
	v_add_nc_u32_e32 v63, 8, v63
	v_cndmask_b32_e64 v65, v65, v55, s1
	v_cndmask_b32_e64 v100, v100, v54, s1
	v_cmp_eq_u32_e64 s1, 12, v99
	s_delay_alu instid0(VALU_DEP_2) | instskip(SKIP_1) | instid1(VALU_DEP_2)
	v_dual_cndmask_b32 v65, v65, v57 :: v_dual_cndmask_b32 v100, v100, v56
	v_cmp_eq_u32_e32 vcc_lo, 13, v99
	v_cndmask_b32_e64 v65, v65, v59, s1
	s_delay_alu instid0(VALU_DEP_3) | instskip(SKIP_1) | instid1(VALU_DEP_1)
	v_cndmask_b32_e64 v100, v100, v58, s1
	v_add_co_u32 v99, s1, v99, 1
	v_add_co_ci_u32_e64 v64, s1, 0, v64, s1
	s_delay_alu instid0(VALU_DEP_3) | instskip(SKIP_2) | instid1(VALU_DEP_2)
	v_dual_cndmask_b32 v100, v100, v60 :: v_dual_cndmask_b32 v101, v65, v61
	v_cmp_eq_u32_e32 vcc_lo, 0, v62
	s_waitcnt lgkmcnt(0)
	v_fma_f64 v[94:95], v[100:101], v[97:98], v[94:95]
	s_or_b32 s3, vcc_lo, s3
	s_delay_alu instid0(SALU_CYCLE_1)
	s_and_not1_b32 exec_lo, exec_lo, s3
	s_cbranch_execnz .LBB77_143
; %bb.144:
	s_or_b32 exec_lo, exec_lo, s3
.LBB77_145:
	s_delay_alu instid0(SALU_CYCLE_1)
	s_or_b32 exec_lo, exec_lo, s2
.LBB77_146:
	s_delay_alu instid0(SALU_CYCLE_1)
	s_or_b32 exec_lo, exec_lo, s5
	v_mov_b32_e32 v40, 0
	ds_load_b64 v[40:41], v40 offset:24
	s_waitcnt lgkmcnt(0)
	v_mul_f64 v[40:41], v[94:95], v[40:41]
.LBB77_147:
	s_or_b32 exec_lo, exec_lo, s4
	v_cmp_lt_u32_e64 s1, 2, v0
	ds_store_b64 v96, v[38:39]
	s_waitcnt lgkmcnt(0)
	s_barrier
	buffer_gl0_inv
	s_and_saveexec_b32 s4, s1
	s_cbranch_execz .LBB77_163
; %bb.148:
	s_and_not1_b32 vcc_lo, exec_lo, s14
	s_cbranch_vccnz .LBB77_150
; %bb.149:
	v_cmp_eq_u32_e32 vcc_lo, 1, v0
	v_dual_cndmask_b32 v94, v35, v37 :: v_dual_cndmask_b32 v95, v34, v36
	v_cmp_eq_u32_e32 vcc_lo, 2, v0
	s_delay_alu instid0(VALU_DEP_2) | instskip(SKIP_1) | instid1(VALU_DEP_2)
	v_dual_cndmask_b32 v94, v94, v39 :: v_dual_cndmask_b32 v95, v95, v38
	v_cmp_eq_u32_e32 vcc_lo, 3, v0
	v_dual_cndmask_b32 v94, v94, v41 :: v_dual_cndmask_b32 v95, v95, v40
	v_cmp_eq_u32_e32 vcc_lo, 4, v0
	s_delay_alu instid0(VALU_DEP_2) | instskip(SKIP_1) | instid1(VALU_DEP_2)
	v_dual_cndmask_b32 v94, v94, v43 :: v_dual_cndmask_b32 v95, v95, v42
	;; [unrolled: 5-line block ×4, first 2 shown]
	v_cmp_eq_u32_e32 vcc_lo, 9, v0
	v_dual_cndmask_b32 v94, v94, v53 :: v_dual_cndmask_b32 v95, v95, v52
	v_cmp_eq_u32_e32 vcc_lo, 10, v0
	s_delay_alu instid0(VALU_DEP_2) | instskip(SKIP_4) | instid1(VALU_DEP_2)
	v_dual_cndmask_b32 v97, v94, v55 :: v_dual_cndmask_b32 v98, v95, v54
	v_cmp_eq_u32_e32 vcc_lo, 11, v0
	ds_load_b64 v[94:95], v96
	v_dual_cndmask_b32 v97, v97, v57 :: v_dual_cndmask_b32 v98, v98, v56
	v_cmp_eq_u32_e32 vcc_lo, 12, v0
	v_cndmask_b32_e32 v97, v97, v59, vcc_lo
	s_delay_alu instid0(VALU_DEP_3) | instskip(SKIP_1) | instid1(VALU_DEP_2)
	v_cndmask_b32_e32 v99, v98, v58, vcc_lo
	v_cmp_eq_u32_e32 vcc_lo, 13, v0
	v_dual_cndmask_b32 v98, v97, v61 :: v_dual_cndmask_b32 v97, v99, v60
	s_waitcnt lgkmcnt(0)
	s_delay_alu instid0(VALU_DEP_1)
	v_mul_f64 v[94:95], v[97:98], v[94:95]
	s_cbranch_execz .LBB77_151
	s_branch .LBB77_152
.LBB77_150:
                                        ; implicit-def: $vgpr94_vgpr95
.LBB77_151:
	ds_load_b64 v[94:95], v96
.LBB77_152:
	s_and_saveexec_b32 s5, s0
	s_cbranch_execz .LBB77_162
; %bb.153:
	v_dual_mov_b32 v99, 3 :: v_dual_add_nc_u32 v98, -4, v0
	v_add_nc_u32_e32 v97, -3, v0
	s_mov_b32 s0, exec_lo
	s_delay_alu instid0(VALU_DEP_2)
	v_cmpx_lt_u32_e32 6, v98
	s_cbranch_execz .LBB77_157
; %bb.154:
	s_delay_alu instid0(VALU_DEP_2) | instskip(SKIP_3) | instid1(VALU_DEP_1)
	v_and_b32_e32 v98, -8, v97
	s_mov_b32 s6, 0
	s_mov_b64 s[2:3], 10
	s_movk_i32 s7, 0x88
	v_sub_nc_u32_e32 v98, 0, v98
.LBB77_155:                             ; =>This Inner Loop Header: Depth=1
	v_mov_b32_e32 v109, s7
	s_lshl_b32 s8, s2, 1
	s_delay_alu instid0(SALU_CYCLE_1)
	s_add_i32 m0, s8, -13
	v_movrels_b32_e32 v108, v34
	ds_load_2addr_b64 v[99:102], v109 offset1:1
	ds_load_2addr_b64 v[103:106], v109 offset0:2 offset1:3
	s_add_i32 m0, s8, -14
	v_movrels_b32_e32 v107, v34
	s_add_i32 m0, s8, -11
	s_waitcnt lgkmcnt(1)
	s_delay_alu instid0(VALU_DEP_1) | instskip(SKIP_4) | instid1(VALU_DEP_1)
	v_fma_f64 v[94:95], v[107:108], v[99:100], v[94:95]
	v_movrels_b32_e32 v100, v34
	s_add_i32 m0, s8, -12
	v_movrels_b32_e32 v99, v34
	s_add_i32 m0, s8, -9
	v_fma_f64 v[94:95], v[99:100], v[101:102], v[94:95]
	v_movrels_b32_e32 v100, v34
	s_add_i32 m0, s8, -10
	v_movrels_b32_e32 v99, v34
	s_add_i32 m0, s8, -7
	s_waitcnt lgkmcnt(0)
	s_delay_alu instid0(VALU_DEP_1)
	v_fma_f64 v[94:95], v[99:100], v[103:104], v[94:95]
	v_movrels_b32_e32 v100, v34
	s_add_i32 m0, s8, -8
	v_movrels_b32_e32 v99, v34
	s_add_i32 m0, s8, -5
	;; [unrolled: 2-line block ×4, first 2 shown]
	v_fma_f64 v[94:95], v[99:100], v[105:106], v[94:95]
	ds_load_2addr_b64 v[99:102], v109 offset0:4 offset1:5
	ds_load_2addr_b64 v[103:106], v109 offset0:6 offset1:7
	s_waitcnt lgkmcnt(1)
	v_fma_f64 v[94:95], v[107:108], v[99:100], v[94:95]
	v_movrels_b32_e32 v100, v34
	s_add_i32 m0, s8, -4
	v_movrels_b32_e32 v99, v34
	s_add_i32 m0, s8, -1
	s_delay_alu instid0(VALU_DEP_1)
	v_fma_f64 v[94:95], v[99:100], v[101:102], v[94:95]
	v_movrels_b32_e32 v100, v34
	s_add_i32 m0, s8, -2
	s_add_u32 s2, s2, 8
	v_movrels_b32_e32 v99, v34
	s_mov_b32 m0, s8
	s_addc_u32 s3, s3, 0
	s_add_i32 s8, s2, -7
	s_add_i32 s7, s7, 64
	s_waitcnt lgkmcnt(0)
	s_delay_alu instid0(VALU_DEP_3) | instskip(SKIP_2) | instid1(VALU_DEP_1)
	v_fma_f64 v[94:95], v[99:100], v[103:104], v[94:95]
	v_movrels_b32_e32 v100, v35
	v_movrels_b32_e32 v99, v34
	v_fma_f64 v[94:95], v[99:100], v[105:106], v[94:95]
	v_add_nc_u32_e32 v99, s2, v98
	s_delay_alu instid0(VALU_DEP_1) | instskip(SKIP_2) | instid1(SALU_CYCLE_1)
	v_cmp_eq_u32_e32 vcc_lo, 10, v99
	v_mov_b32_e32 v99, s8
	s_or_b32 s6, vcc_lo, s6
	s_and_not1_b32 exec_lo, exec_lo, s6
	s_cbranch_execnz .LBB77_155
; %bb.156:
	s_or_b32 exec_lo, exec_lo, s6
.LBB77_157:
	s_delay_alu instid0(SALU_CYCLE_1) | instskip(SKIP_3) | instid1(VALU_DEP_1)
	s_or_b32 exec_lo, exec_lo, s0
	v_and_b32_e32 v62, 7, v97
	s_mov_b32 s3, 0
	s_mov_b32 s2, exec_lo
	v_cmpx_ne_u32_e32 0, v62
	s_cbranch_execz .LBB77_161
; %bb.158:
	v_lshl_add_u32 v63, v99, 3, 0x70
	v_mov_b32_e32 v64, 0
.LBB77_159:                             ; =>This Inner Loop Header: Depth=1
	v_cmp_eq_u32_e32 vcc_lo, 1, v99
	v_cmp_eq_u32_e64 s0, 2, v99
	v_dual_cndmask_b32 v65, v35, v37 :: v_dual_add_nc_u32 v62, -1, v62
	v_cndmask_b32_e32 v97, v34, v36, vcc_lo
	v_cmp_eq_u32_e32 vcc_lo, 3, v99
	s_delay_alu instid0(VALU_DEP_3) | instskip(NEXT) | instid1(VALU_DEP_3)
	v_cndmask_b32_e64 v65, v65, v39, s0
	v_cndmask_b32_e64 v97, v97, v38, s0
	v_cmp_eq_u32_e64 s0, 4, v99
	s_delay_alu instid0(VALU_DEP_3) | instskip(NEXT) | instid1(VALU_DEP_3)
	v_cndmask_b32_e32 v65, v65, v41, vcc_lo
	v_cndmask_b32_e32 v97, v97, v40, vcc_lo
	v_cmp_eq_u32_e32 vcc_lo, 5, v99
	s_delay_alu instid0(VALU_DEP_3) | instskip(NEXT) | instid1(VALU_DEP_3)
	v_cndmask_b32_e64 v65, v65, v43, s0
	v_cndmask_b32_e64 v97, v97, v42, s0
	v_cmp_eq_u32_e64 s0, 6, v99
	s_delay_alu instid0(VALU_DEP_3) | instskip(NEXT) | instid1(VALU_DEP_3)
	v_cndmask_b32_e32 v65, v65, v45, vcc_lo
	;; [unrolled: 8-line block ×4, first 2 shown]
	v_cndmask_b32_e32 v100, v97, v52, vcc_lo
	ds_load_b64 v[97:98], v63
	v_cmp_eq_u32_e32 vcc_lo, 11, v99
	v_add_nc_u32_e32 v63, 8, v63
	v_cndmask_b32_e64 v65, v65, v55, s0
	v_cndmask_b32_e64 v100, v100, v54, s0
	v_cmp_eq_u32_e64 s0, 12, v99
	s_delay_alu instid0(VALU_DEP_2) | instskip(SKIP_1) | instid1(VALU_DEP_2)
	v_dual_cndmask_b32 v65, v65, v57 :: v_dual_cndmask_b32 v100, v100, v56
	v_cmp_eq_u32_e32 vcc_lo, 13, v99
	v_cndmask_b32_e64 v65, v65, v59, s0
	s_delay_alu instid0(VALU_DEP_3) | instskip(SKIP_1) | instid1(VALU_DEP_1)
	v_cndmask_b32_e64 v100, v100, v58, s0
	v_add_co_u32 v99, s0, v99, 1
	v_add_co_ci_u32_e64 v64, s0, 0, v64, s0
	s_delay_alu instid0(VALU_DEP_3) | instskip(SKIP_2) | instid1(VALU_DEP_2)
	v_dual_cndmask_b32 v100, v100, v60 :: v_dual_cndmask_b32 v101, v65, v61
	v_cmp_eq_u32_e32 vcc_lo, 0, v62
	s_waitcnt lgkmcnt(0)
	v_fma_f64 v[94:95], v[100:101], v[97:98], v[94:95]
	s_or_b32 s3, vcc_lo, s3
	s_delay_alu instid0(SALU_CYCLE_1)
	s_and_not1_b32 exec_lo, exec_lo, s3
	s_cbranch_execnz .LBB77_159
; %bb.160:
	s_or_b32 exec_lo, exec_lo, s3
.LBB77_161:
	s_delay_alu instid0(SALU_CYCLE_1)
	s_or_b32 exec_lo, exec_lo, s2
.LBB77_162:
	s_delay_alu instid0(SALU_CYCLE_1)
	s_or_b32 exec_lo, exec_lo, s5
	v_mov_b32_e32 v38, 0
	ds_load_b64 v[38:39], v38 offset:16
	s_waitcnt lgkmcnt(0)
	v_mul_f64 v[38:39], v[94:95], v[38:39]
.LBB77_163:
	s_or_b32 exec_lo, exec_lo, s4
	v_cmp_lt_u32_e64 s0, 1, v0
	ds_store_b64 v96, v[36:37]
	s_waitcnt lgkmcnt(0)
	s_barrier
	buffer_gl0_inv
	s_and_saveexec_b32 s4, s0
	s_cbranch_execz .LBB77_179
; %bb.164:
	s_and_not1_b32 vcc_lo, exec_lo, s14
	s_cbranch_vccnz .LBB77_166
; %bb.165:
	v_cmp_eq_u32_e32 vcc_lo, 1, v0
	v_dual_cndmask_b32 v94, v35, v37 :: v_dual_cndmask_b32 v95, v34, v36
	v_cmp_eq_u32_e32 vcc_lo, 2, v0
	s_delay_alu instid0(VALU_DEP_2) | instskip(SKIP_1) | instid1(VALU_DEP_2)
	v_dual_cndmask_b32 v94, v94, v39 :: v_dual_cndmask_b32 v95, v95, v38
	v_cmp_eq_u32_e32 vcc_lo, 3, v0
	v_dual_cndmask_b32 v94, v94, v41 :: v_dual_cndmask_b32 v95, v95, v40
	v_cmp_eq_u32_e32 vcc_lo, 4, v0
	s_delay_alu instid0(VALU_DEP_2) | instskip(SKIP_1) | instid1(VALU_DEP_2)
	v_dual_cndmask_b32 v94, v94, v43 :: v_dual_cndmask_b32 v95, v95, v42
	;; [unrolled: 5-line block ×4, first 2 shown]
	v_cmp_eq_u32_e32 vcc_lo, 9, v0
	v_dual_cndmask_b32 v94, v94, v53 :: v_dual_cndmask_b32 v95, v95, v52
	v_cmp_eq_u32_e32 vcc_lo, 10, v0
	s_delay_alu instid0(VALU_DEP_2) | instskip(SKIP_4) | instid1(VALU_DEP_2)
	v_dual_cndmask_b32 v97, v94, v55 :: v_dual_cndmask_b32 v98, v95, v54
	v_cmp_eq_u32_e32 vcc_lo, 11, v0
	ds_load_b64 v[94:95], v96
	v_dual_cndmask_b32 v97, v97, v57 :: v_dual_cndmask_b32 v98, v98, v56
	v_cmp_eq_u32_e32 vcc_lo, 12, v0
	v_cndmask_b32_e32 v97, v97, v59, vcc_lo
	s_delay_alu instid0(VALU_DEP_3) | instskip(SKIP_1) | instid1(VALU_DEP_2)
	v_cndmask_b32_e32 v99, v98, v58, vcc_lo
	v_cmp_eq_u32_e32 vcc_lo, 13, v0
	v_dual_cndmask_b32 v98, v97, v61 :: v_dual_cndmask_b32 v97, v99, v60
	s_waitcnt lgkmcnt(0)
	s_delay_alu instid0(VALU_DEP_1)
	v_mul_f64 v[94:95], v[97:98], v[94:95]
	s_cbranch_execz .LBB77_167
	s_branch .LBB77_168
.LBB77_166:
                                        ; implicit-def: $vgpr94_vgpr95
.LBB77_167:
	ds_load_b64 v[94:95], v96
.LBB77_168:
	s_and_saveexec_b32 s5, s1
	s_cbranch_execz .LBB77_178
; %bb.169:
	v_add_nc_u32_e32 v98, -3, v0
	v_add_nc_u32_e32 v97, -2, v0
	s_delay_alu instid0(VALU_DEP_2)
	v_cmp_lt_u32_e32 vcc_lo, 6, v98
	v_mov_b32_e32 v98, 2
	s_and_saveexec_b32 s1, vcc_lo
	s_cbranch_execz .LBB77_173
; %bb.170:
	v_and_b32_e32 v98, -8, v97
	s_mov_b32 s6, 0
	s_mov_b64 s[2:3], 9
	s_movk_i32 s7, 0x80
	s_delay_alu instid0(VALU_DEP_1)
	v_sub_nc_u32_e32 v99, 0, v98
.LBB77_171:                             ; =>This Inner Loop Header: Depth=1
	v_mov_b32_e32 v98, s7
	s_lshl_b32 s8, s2, 1
	s_delay_alu instid0(SALU_CYCLE_1)
	s_add_i32 m0, s8, -13
	v_movrels_b32_e32 v109, v34
	ds_load_b128 v[100:103], v98
	ds_load_b128 v[104:107], v98 offset:16
	s_add_i32 m0, s8, -14
	v_movrels_b32_e32 v108, v34
	s_add_i32 m0, s8, -11
	s_waitcnt lgkmcnt(1)
	s_delay_alu instid0(VALU_DEP_1) | instskip(SKIP_4) | instid1(VALU_DEP_1)
	v_fma_f64 v[94:95], v[108:109], v[100:101], v[94:95]
	v_movrels_b32_e32 v101, v34
	s_add_i32 m0, s8, -12
	v_movrels_b32_e32 v100, v34
	s_add_i32 m0, s8, -9
	v_fma_f64 v[94:95], v[100:101], v[102:103], v[94:95]
	v_movrels_b32_e32 v101, v34
	s_add_i32 m0, s8, -10
	v_movrels_b32_e32 v100, v34
	s_add_i32 m0, s8, -7
	s_waitcnt lgkmcnt(0)
	s_delay_alu instid0(VALU_DEP_1)
	v_fma_f64 v[94:95], v[100:101], v[104:105], v[94:95]
	v_movrels_b32_e32 v101, v34
	s_add_i32 m0, s8, -8
	v_movrels_b32_e32 v100, v34
	s_add_i32 m0, s8, -5
	;; [unrolled: 2-line block ×4, first 2 shown]
	v_fma_f64 v[94:95], v[100:101], v[106:107], v[94:95]
	ds_load_b128 v[100:103], v98 offset:32
	ds_load_b128 v[104:107], v98 offset:48
	s_waitcnt lgkmcnt(1)
	v_fma_f64 v[94:95], v[108:109], v[100:101], v[94:95]
	v_movrels_b32_e32 v101, v34
	s_add_i32 m0, s8, -4
	v_movrels_b32_e32 v100, v34
	s_add_i32 m0, s8, -1
	s_delay_alu instid0(VALU_DEP_1)
	v_fma_f64 v[94:95], v[100:101], v[102:103], v[94:95]
	v_movrels_b32_e32 v101, v34
	s_add_i32 m0, s8, -2
	s_add_u32 s2, s2, 8
	v_movrels_b32_e32 v100, v34
	s_mov_b32 m0, s8
	v_add_nc_u32_e32 v98, s2, v99
	s_addc_u32 s3, s3, 0
	s_add_i32 s8, s2, -7
	s_add_i32 s7, s7, 64
	s_delay_alu instid0(VALU_DEP_1)
	v_cmp_eq_u32_e32 vcc_lo, 9, v98
	v_mov_b32_e32 v98, s8
	s_or_b32 s6, vcc_lo, s6
	s_waitcnt lgkmcnt(0)
	v_fma_f64 v[94:95], v[100:101], v[104:105], v[94:95]
	v_movrels_b32_e32 v101, v35
	v_movrels_b32_e32 v100, v34
	s_delay_alu instid0(VALU_DEP_1)
	v_fma_f64 v[94:95], v[100:101], v[106:107], v[94:95]
	s_and_not1_b32 exec_lo, exec_lo, s6
	s_cbranch_execnz .LBB77_171
; %bb.172:
	s_or_b32 exec_lo, exec_lo, s6
.LBB77_173:
	s_delay_alu instid0(SALU_CYCLE_1) | instskip(SKIP_3) | instid1(VALU_DEP_1)
	s_or_b32 exec_lo, exec_lo, s1
	v_and_b32_e32 v62, 7, v97
	s_mov_b32 s3, 0
	s_mov_b32 s2, exec_lo
	v_cmpx_ne_u32_e32 0, v62
	s_cbranch_execz .LBB77_177
; %bb.174:
	v_lshl_add_u32 v63, v98, 3, 0x70
	v_mov_b32_e32 v64, 0
.LBB77_175:                             ; =>This Inner Loop Header: Depth=1
	v_cmp_eq_u32_e32 vcc_lo, 1, v98
	v_cmp_eq_u32_e64 s1, 2, v98
	ds_load_b64 v[99:100], v63
	v_add_nc_u32_e32 v63, 8, v63
	v_dual_cndmask_b32 v65, v35, v37 :: v_dual_add_nc_u32 v62, -1, v62
	v_cndmask_b32_e32 v97, v34, v36, vcc_lo
	v_cmp_eq_u32_e32 vcc_lo, 3, v98
	s_delay_alu instid0(VALU_DEP_3) | instskip(NEXT) | instid1(VALU_DEP_3)
	v_cndmask_b32_e64 v65, v65, v39, s1
	v_cndmask_b32_e64 v97, v97, v38, s1
	v_cmp_eq_u32_e64 s1, 4, v98
	s_delay_alu instid0(VALU_DEP_3) | instskip(NEXT) | instid1(VALU_DEP_3)
	v_cndmask_b32_e32 v65, v65, v41, vcc_lo
	v_cndmask_b32_e32 v97, v97, v40, vcc_lo
	v_cmp_eq_u32_e32 vcc_lo, 5, v98
	s_delay_alu instid0(VALU_DEP_3) | instskip(NEXT) | instid1(VALU_DEP_3)
	v_cndmask_b32_e64 v65, v65, v43, s1
	v_cndmask_b32_e64 v97, v97, v42, s1
	v_cmp_eq_u32_e64 s1, 6, v98
	s_delay_alu instid0(VALU_DEP_3) | instskip(NEXT) | instid1(VALU_DEP_3)
	v_cndmask_b32_e32 v65, v65, v45, vcc_lo
	;; [unrolled: 8-line block ×5, first 2 shown]
	v_cndmask_b32_e32 v97, v97, v56, vcc_lo
	v_cmp_eq_u32_e32 vcc_lo, 13, v98
	s_delay_alu instid0(VALU_DEP_3) | instskip(NEXT) | instid1(VALU_DEP_3)
	v_cndmask_b32_e64 v65, v65, v59, s1
	v_cndmask_b32_e64 v97, v97, v58, s1
	v_add_co_u32 v98, s1, v98, 1
	s_delay_alu instid0(VALU_DEP_1) | instskip(NEXT) | instid1(VALU_DEP_4)
	v_add_co_ci_u32_e64 v64, s1, 0, v64, s1
	v_cndmask_b32_e32 v102, v65, v61, vcc_lo
	s_delay_alu instid0(VALU_DEP_4) | instskip(SKIP_2) | instid1(VALU_DEP_2)
	v_cndmask_b32_e32 v101, v97, v60, vcc_lo
	v_cmp_eq_u32_e32 vcc_lo, 0, v62
	s_waitcnt lgkmcnt(0)
	v_fma_f64 v[94:95], v[101:102], v[99:100], v[94:95]
	s_or_b32 s3, vcc_lo, s3
	s_delay_alu instid0(SALU_CYCLE_1)
	s_and_not1_b32 exec_lo, exec_lo, s3
	s_cbranch_execnz .LBB77_175
; %bb.176:
	s_or_b32 exec_lo, exec_lo, s3
.LBB77_177:
	s_delay_alu instid0(SALU_CYCLE_1)
	s_or_b32 exec_lo, exec_lo, s2
.LBB77_178:
	s_delay_alu instid0(SALU_CYCLE_1)
	s_or_b32 exec_lo, exec_lo, s5
	v_mov_b32_e32 v36, 0
	ds_load_b64 v[36:37], v36 offset:8
	s_waitcnt lgkmcnt(0)
	v_mul_f64 v[36:37], v[94:95], v[36:37]
.LBB77_179:
	s_or_b32 exec_lo, exec_lo, s4
	s_mov_b32 s2, 0
	s_mov_b32 s3, exec_lo
	ds_store_b64 v96, v[34:35]
	s_waitcnt lgkmcnt(0)
	s_barrier
	buffer_gl0_inv
	v_cmpx_ne_u32_e32 0, v0
	s_cbranch_execz .LBB77_195
; %bb.180:
	s_and_not1_b32 vcc_lo, exec_lo, s14
	s_cbranch_vccnz .LBB77_182
; %bb.181:
	v_cmp_eq_u32_e32 vcc_lo, 1, v0
	v_dual_cndmask_b32 v94, v35, v37 :: v_dual_cndmask_b32 v95, v34, v36
	v_cmp_eq_u32_e32 vcc_lo, 2, v0
	s_delay_alu instid0(VALU_DEP_2) | instskip(SKIP_1) | instid1(VALU_DEP_2)
	v_dual_cndmask_b32 v94, v94, v39 :: v_dual_cndmask_b32 v95, v95, v38
	v_cmp_eq_u32_e32 vcc_lo, 3, v0
	v_dual_cndmask_b32 v94, v94, v41 :: v_dual_cndmask_b32 v95, v95, v40
	v_cmp_eq_u32_e32 vcc_lo, 4, v0
	s_delay_alu instid0(VALU_DEP_2) | instskip(SKIP_1) | instid1(VALU_DEP_2)
	v_dual_cndmask_b32 v94, v94, v43 :: v_dual_cndmask_b32 v95, v95, v42
	;; [unrolled: 5-line block ×4, first 2 shown]
	v_cmp_eq_u32_e32 vcc_lo, 9, v0
	v_dual_cndmask_b32 v94, v94, v53 :: v_dual_cndmask_b32 v95, v95, v52
	v_cmp_eq_u32_e32 vcc_lo, 10, v0
	s_delay_alu instid0(VALU_DEP_2) | instskip(SKIP_4) | instid1(VALU_DEP_2)
	v_dual_cndmask_b32 v97, v94, v55 :: v_dual_cndmask_b32 v98, v95, v54
	v_cmp_eq_u32_e32 vcc_lo, 11, v0
	ds_load_b64 v[94:95], v96
	v_dual_cndmask_b32 v97, v97, v57 :: v_dual_cndmask_b32 v98, v98, v56
	v_cmp_eq_u32_e32 vcc_lo, 12, v0
	v_cndmask_b32_e32 v97, v97, v59, vcc_lo
	s_delay_alu instid0(VALU_DEP_3) | instskip(SKIP_1) | instid1(VALU_DEP_2)
	v_cndmask_b32_e32 v99, v98, v58, vcc_lo
	v_cmp_eq_u32_e32 vcc_lo, 13, v0
	v_dual_cndmask_b32 v98, v97, v61 :: v_dual_cndmask_b32 v97, v99, v60
	s_waitcnt lgkmcnt(0)
	s_delay_alu instid0(VALU_DEP_1)
	v_mul_f64 v[94:95], v[97:98], v[94:95]
	s_cbranch_execz .LBB77_183
	s_branch .LBB77_184
.LBB77_182:
                                        ; implicit-def: $vgpr94_vgpr95
.LBB77_183:
	ds_load_b64 v[94:95], v96
.LBB77_184:
	s_and_saveexec_b32 s4, s0
	s_cbranch_execz .LBB77_194
; %bb.185:
	v_dual_mov_b32 v99, 1 :: v_dual_add_nc_u32 v98, -2, v0
	v_add_nc_u32_e32 v97, -1, v0
	s_mov_b32 s5, exec_lo
	s_delay_alu instid0(VALU_DEP_2)
	v_cmpx_lt_u32_e32 6, v98
	s_cbranch_execz .LBB77_189
; %bb.186:
	s_delay_alu instid0(VALU_DEP_2) | instskip(SKIP_3) | instid1(VALU_DEP_1)
	v_and_b32_e32 v98, -8, v97
	s_mov_b32 s6, 0
	s_mov_b64 s[0:1], 8
	s_movk_i32 s7, 0x78
	v_sub_nc_u32_e32 v98, 0, v98
.LBB77_187:                             ; =>This Inner Loop Header: Depth=1
	v_mov_b32_e32 v109, s7
	s_lshl_b32 s8, s0, 1
	s_delay_alu instid0(SALU_CYCLE_1)
	s_add_i32 m0, s8, -13
	v_movrels_b32_e32 v108, v34
	ds_load_2addr_b64 v[99:102], v109 offset1:1
	ds_load_2addr_b64 v[103:106], v109 offset0:2 offset1:3
	s_add_i32 m0, s8, -14
	v_movrels_b32_e32 v107, v34
	s_add_i32 m0, s8, -11
	s_waitcnt lgkmcnt(1)
	s_delay_alu instid0(VALU_DEP_1) | instskip(SKIP_4) | instid1(VALU_DEP_1)
	v_fma_f64 v[94:95], v[107:108], v[99:100], v[94:95]
	v_movrels_b32_e32 v100, v34
	s_add_i32 m0, s8, -12
	v_movrels_b32_e32 v99, v34
	s_add_i32 m0, s8, -9
	v_fma_f64 v[94:95], v[99:100], v[101:102], v[94:95]
	v_movrels_b32_e32 v100, v34
	s_add_i32 m0, s8, -10
	v_movrels_b32_e32 v99, v34
	s_add_i32 m0, s8, -7
	s_waitcnt lgkmcnt(0)
	s_delay_alu instid0(VALU_DEP_1)
	v_fma_f64 v[94:95], v[99:100], v[103:104], v[94:95]
	v_movrels_b32_e32 v100, v34
	s_add_i32 m0, s8, -8
	v_movrels_b32_e32 v99, v34
	s_add_i32 m0, s8, -5
	;; [unrolled: 2-line block ×4, first 2 shown]
	v_fma_f64 v[94:95], v[99:100], v[105:106], v[94:95]
	ds_load_2addr_b64 v[99:102], v109 offset0:4 offset1:5
	ds_load_2addr_b64 v[103:106], v109 offset0:6 offset1:7
	s_waitcnt lgkmcnt(1)
	v_fma_f64 v[94:95], v[107:108], v[99:100], v[94:95]
	v_movrels_b32_e32 v100, v34
	s_add_i32 m0, s8, -4
	v_movrels_b32_e32 v99, v34
	s_add_i32 m0, s8, -1
	s_delay_alu instid0(VALU_DEP_1)
	v_fma_f64 v[94:95], v[99:100], v[101:102], v[94:95]
	v_movrels_b32_e32 v100, v34
	s_add_i32 m0, s8, -2
	s_add_u32 s0, s0, 8
	v_movrels_b32_e32 v99, v34
	s_mov_b32 m0, s8
	s_addc_u32 s1, s1, 0
	s_add_i32 s8, s0, -7
	s_add_i32 s7, s7, 64
	s_waitcnt lgkmcnt(0)
	s_delay_alu instid0(VALU_DEP_3) | instskip(SKIP_2) | instid1(VALU_DEP_1)
	v_fma_f64 v[94:95], v[99:100], v[103:104], v[94:95]
	v_movrels_b32_e32 v100, v35
	v_movrels_b32_e32 v99, v34
	v_fma_f64 v[94:95], v[99:100], v[105:106], v[94:95]
	v_add_nc_u32_e32 v99, s0, v98
	s_delay_alu instid0(VALU_DEP_1) | instskip(SKIP_2) | instid1(SALU_CYCLE_1)
	v_cmp_eq_u32_e32 vcc_lo, 8, v99
	v_mov_b32_e32 v99, s8
	s_or_b32 s6, vcc_lo, s6
	s_and_not1_b32 exec_lo, exec_lo, s6
	s_cbranch_execnz .LBB77_187
; %bb.188:
	s_or_b32 exec_lo, exec_lo, s6
.LBB77_189:
	s_delay_alu instid0(SALU_CYCLE_1) | instskip(SKIP_3) | instid1(VALU_DEP_1)
	s_or_b32 exec_lo, exec_lo, s5
	v_and_b32_e32 v62, 7, v97
	s_mov_b32 s5, 0
	s_mov_b32 s1, exec_lo
	v_cmpx_ne_u32_e32 0, v62
	s_cbranch_execz .LBB77_193
; %bb.190:
	v_lshl_add_u32 v63, v99, 3, 0x70
	v_mov_b32_e32 v64, 0
.LBB77_191:                             ; =>This Inner Loop Header: Depth=1
	v_cmp_eq_u32_e32 vcc_lo, 1, v99
	v_cmp_eq_u32_e64 s0, 2, v99
	v_dual_cndmask_b32 v65, v35, v37 :: v_dual_add_nc_u32 v62, -1, v62
	v_cndmask_b32_e32 v97, v34, v36, vcc_lo
	v_cmp_eq_u32_e32 vcc_lo, 3, v99
	s_delay_alu instid0(VALU_DEP_3) | instskip(NEXT) | instid1(VALU_DEP_3)
	v_cndmask_b32_e64 v65, v65, v39, s0
	v_cndmask_b32_e64 v97, v97, v38, s0
	v_cmp_eq_u32_e64 s0, 4, v99
	s_delay_alu instid0(VALU_DEP_3) | instskip(NEXT) | instid1(VALU_DEP_3)
	v_cndmask_b32_e32 v65, v65, v41, vcc_lo
	v_cndmask_b32_e32 v97, v97, v40, vcc_lo
	v_cmp_eq_u32_e32 vcc_lo, 5, v99
	s_delay_alu instid0(VALU_DEP_3) | instskip(NEXT) | instid1(VALU_DEP_3)
	v_cndmask_b32_e64 v65, v65, v43, s0
	v_cndmask_b32_e64 v97, v97, v42, s0
	v_cmp_eq_u32_e64 s0, 6, v99
	s_delay_alu instid0(VALU_DEP_3) | instskip(NEXT) | instid1(VALU_DEP_3)
	v_cndmask_b32_e32 v65, v65, v45, vcc_lo
	;; [unrolled: 8-line block ×4, first 2 shown]
	v_cndmask_b32_e32 v100, v97, v52, vcc_lo
	ds_load_b64 v[97:98], v63
	v_cmp_eq_u32_e32 vcc_lo, 11, v99
	v_add_nc_u32_e32 v63, 8, v63
	v_cndmask_b32_e64 v65, v65, v55, s0
	v_cndmask_b32_e64 v100, v100, v54, s0
	v_cmp_eq_u32_e64 s0, 12, v99
	s_delay_alu instid0(VALU_DEP_2) | instskip(SKIP_1) | instid1(VALU_DEP_2)
	v_dual_cndmask_b32 v65, v65, v57 :: v_dual_cndmask_b32 v100, v100, v56
	v_cmp_eq_u32_e32 vcc_lo, 13, v99
	v_cndmask_b32_e64 v65, v65, v59, s0
	s_delay_alu instid0(VALU_DEP_3) | instskip(SKIP_1) | instid1(VALU_DEP_1)
	v_cndmask_b32_e64 v100, v100, v58, s0
	v_add_co_u32 v99, s0, v99, 1
	v_add_co_ci_u32_e64 v64, s0, 0, v64, s0
	s_delay_alu instid0(VALU_DEP_3) | instskip(SKIP_2) | instid1(VALU_DEP_2)
	v_dual_cndmask_b32 v100, v100, v60 :: v_dual_cndmask_b32 v101, v65, v61
	v_cmp_eq_u32_e32 vcc_lo, 0, v62
	s_waitcnt lgkmcnt(0)
	v_fma_f64 v[94:95], v[100:101], v[97:98], v[94:95]
	s_or_b32 s5, vcc_lo, s5
	s_delay_alu instid0(SALU_CYCLE_1)
	s_and_not1_b32 exec_lo, exec_lo, s5
	s_cbranch_execnz .LBB77_191
; %bb.192:
	s_or_b32 exec_lo, exec_lo, s5
.LBB77_193:
	s_delay_alu instid0(SALU_CYCLE_1)
	s_or_b32 exec_lo, exec_lo, s1
.LBB77_194:
	s_delay_alu instid0(SALU_CYCLE_1)
	s_or_b32 exec_lo, exec_lo, s4
	v_mov_b32_e32 v34, 0
	ds_load_b64 v[34:35], v34
	s_waitcnt lgkmcnt(0)
	v_mul_f64 v[34:35], v[94:95], v[34:35]
.LBB77_195:
	s_or_b32 exec_lo, exec_lo, s3
	s_delay_alu instid0(SALU_CYCLE_1)
	s_and_b32 vcc_lo, exec_lo, s2
	s_cbranch_vccz .LBB77_333
.LBB77_196:
	v_cmp_eq_u32_e64 s0, 0, v0
	s_waitcnt vmcnt(13)
	ds_store_b64 v96, v[4:5]
	s_waitcnt vmcnt(0) lgkmcnt(0)
	s_barrier
	buffer_gl0_inv
	s_and_saveexec_b32 s1, s0
	s_cbranch_execz .LBB77_202
; %bb.197:
	s_and_b32 vcc_lo, exec_lo, s14
	s_cbranch_vccz .LBB77_199
; %bb.198:
	v_cmp_eq_u32_e32 vcc_lo, 1, v0
	v_dual_cndmask_b32 v5, v3, v5 :: v_dual_cndmask_b32 v4, v2, v4
	v_cmp_eq_u32_e32 vcc_lo, 2, v0
	s_delay_alu instid0(VALU_DEP_2) | instskip(SKIP_1) | instid1(VALU_DEP_2)
	v_dual_cndmask_b32 v5, v5, v7 :: v_dual_cndmask_b32 v4, v4, v6
	v_cmp_eq_u32_e32 vcc_lo, 3, v0
	v_dual_cndmask_b32 v5, v5, v9 :: v_dual_cndmask_b32 v4, v4, v8
	v_cmp_eq_u32_e32 vcc_lo, 4, v0
	s_delay_alu instid0(VALU_DEP_2) | instskip(SKIP_1) | instid1(VALU_DEP_2)
	v_dual_cndmask_b32 v5, v5, v11 :: v_dual_cndmask_b32 v4, v4, v10
	;; [unrolled: 5-line block ×4, first 2 shown]
	v_cmp_eq_u32_e32 vcc_lo, 9, v0
	v_dual_cndmask_b32 v5, v5, v21 :: v_dual_cndmask_b32 v4, v4, v20
	v_cmp_eq_u32_e32 vcc_lo, 10, v0
	s_delay_alu instid0(VALU_DEP_2) | instskip(SKIP_4) | instid1(VALU_DEP_2)
	v_dual_cndmask_b32 v30, v5, v23 :: v_dual_cndmask_b32 v31, v4, v22
	v_cmp_eq_u32_e32 vcc_lo, 11, v0
	ds_load_b64 v[4:5], v96
	v_dual_cndmask_b32 v30, v30, v25 :: v_dual_cndmask_b32 v31, v31, v24
	v_cmp_eq_u32_e32 vcc_lo, 12, v0
	v_cndmask_b32_e32 v30, v30, v27, vcc_lo
	s_delay_alu instid0(VALU_DEP_3) | instskip(SKIP_1) | instid1(VALU_DEP_2)
	v_cndmask_b32_e32 v32, v31, v26, vcc_lo
	v_cmp_eq_u32_e32 vcc_lo, 13, v0
	v_dual_cndmask_b32 v31, v30, v29 :: v_dual_cndmask_b32 v30, v32, v28
	s_waitcnt lgkmcnt(0)
	s_delay_alu instid0(VALU_DEP_1)
	v_mul_f64 v[4:5], v[30:31], v[4:5]
	s_cbranch_execz .LBB77_200
	s_branch .LBB77_201
.LBB77_199:
                                        ; implicit-def: $vgpr4_vgpr5
.LBB77_200:
	ds_load_b64 v[4:5], v96
.LBB77_201:
	v_mov_b32_e32 v30, 0
	ds_load_b64 v[30:31], v30 offset:8
	s_waitcnt lgkmcnt(0)
	v_mul_f64 v[4:5], v[4:5], v[30:31]
.LBB77_202:
	s_or_b32 exec_lo, exec_lo, s1
	v_add_nc_u32_e32 v35, 1, v0
	v_cndmask_b32_e64 v34, 0, 1, s14
	s_mov_b32 s1, exec_lo
	ds_store_b64 v96, v[6:7]
	s_waitcnt lgkmcnt(0)
	s_barrier
	buffer_gl0_inv
	v_cmpx_gt_u32_e32 2, v0
	s_cbranch_execz .LBB77_210
; %bb.203:
	s_and_not1_b32 vcc_lo, exec_lo, s14
	s_cbranch_vccnz .LBB77_205
; %bb.204:
	v_cmp_eq_u32_e32 vcc_lo, 1, v0
	v_dual_cndmask_b32 v30, v3, v5 :: v_dual_cndmask_b32 v31, v2, v4
	v_cmp_eq_u32_e32 vcc_lo, 2, v0
	s_delay_alu instid0(VALU_DEP_2) | instskip(SKIP_1) | instid1(VALU_DEP_2)
	v_dual_cndmask_b32 v30, v30, v7 :: v_dual_cndmask_b32 v31, v31, v6
	v_cmp_eq_u32_e32 vcc_lo, 3, v0
	v_dual_cndmask_b32 v30, v30, v9 :: v_dual_cndmask_b32 v31, v31, v8
	v_cmp_eq_u32_e32 vcc_lo, 4, v0
	s_delay_alu instid0(VALU_DEP_2) | instskip(SKIP_1) | instid1(VALU_DEP_2)
	v_dual_cndmask_b32 v30, v30, v11 :: v_dual_cndmask_b32 v31, v31, v10
	;; [unrolled: 5-line block ×4, first 2 shown]
	v_cmp_eq_u32_e32 vcc_lo, 9, v0
	v_dual_cndmask_b32 v30, v30, v21 :: v_dual_cndmask_b32 v31, v31, v20
	v_cmp_eq_u32_e32 vcc_lo, 10, v0
	s_delay_alu instid0(VALU_DEP_2) | instskip(SKIP_4) | instid1(VALU_DEP_2)
	v_dual_cndmask_b32 v32, v30, v23 :: v_dual_cndmask_b32 v33, v31, v22
	v_cmp_eq_u32_e32 vcc_lo, 11, v0
	ds_load_b64 v[30:31], v96
	v_dual_cndmask_b32 v32, v32, v25 :: v_dual_cndmask_b32 v33, v33, v24
	v_cmp_eq_u32_e32 vcc_lo, 12, v0
	v_cndmask_b32_e32 v32, v32, v27, vcc_lo
	s_delay_alu instid0(VALU_DEP_3) | instskip(SKIP_1) | instid1(VALU_DEP_3)
	v_cndmask_b32_e32 v36, v33, v26, vcc_lo
	v_cmp_eq_u32_e32 vcc_lo, 13, v0
	v_cndmask_b32_e32 v33, v32, v29, vcc_lo
	s_delay_alu instid0(VALU_DEP_3) | instskip(SKIP_1) | instid1(VALU_DEP_1)
	v_cndmask_b32_e32 v32, v36, v28, vcc_lo
	s_waitcnt lgkmcnt(0)
	v_mul_f64 v[30:31], v[32:33], v[30:31]
	s_cbranch_execz .LBB77_206
	s_branch .LBB77_207
.LBB77_205:
                                        ; implicit-def: $vgpr30_vgpr31
.LBB77_206:
	ds_load_b64 v[30:31], v96
.LBB77_207:
	s_and_saveexec_b32 s2, s0
	s_cbranch_execz .LBB77_209
; %bb.208:
	v_cmp_eq_u32_e32 vcc_lo, 1, v35
	v_dual_cndmask_b32 v32, v3, v5 :: v_dual_cndmask_b32 v33, v2, v4
	v_cmp_eq_u32_e32 vcc_lo, 2, v35
	s_delay_alu instid0(VALU_DEP_2) | instskip(SKIP_1) | instid1(VALU_DEP_2)
	v_dual_cndmask_b32 v7, v32, v7 :: v_dual_cndmask_b32 v6, v33, v6
	v_cmp_eq_u32_e32 vcc_lo, 3, v35
	v_dual_cndmask_b32 v7, v7, v9 :: v_dual_cndmask_b32 v6, v6, v8
	v_cmp_eq_u32_e32 vcc_lo, 4, v35
	s_delay_alu instid0(VALU_DEP_2) | instskip(SKIP_1) | instid1(VALU_DEP_2)
	v_dual_cndmask_b32 v7, v7, v11 :: v_dual_cndmask_b32 v6, v6, v10
	;; [unrolled: 5-line block ×4, first 2 shown]
	v_cmp_eq_u32_e32 vcc_lo, 9, v35
	v_dual_cndmask_b32 v7, v7, v21 :: v_dual_cndmask_b32 v6, v6, v20
	v_cmp_eq_u32_e32 vcc_lo, 10, v35
	s_delay_alu instid0(VALU_DEP_2) | instskip(SKIP_4) | instid1(VALU_DEP_2)
	v_dual_cndmask_b32 v32, v7, v23 :: v_dual_cndmask_b32 v33, v6, v22
	v_cmp_eq_u32_e32 vcc_lo, 11, v35
	ds_load_b64 v[6:7], v96 offset:8
	v_dual_cndmask_b32 v32, v32, v25 :: v_dual_cndmask_b32 v33, v33, v24
	v_cmp_eq_u32_e32 vcc_lo, 12, v35
	v_cndmask_b32_e32 v32, v32, v27, vcc_lo
	s_delay_alu instid0(VALU_DEP_3) | instskip(SKIP_1) | instid1(VALU_DEP_3)
	v_cndmask_b32_e32 v36, v33, v26, vcc_lo
	v_cmp_eq_u32_e32 vcc_lo, 13, v35
	v_cndmask_b32_e32 v33, v32, v29, vcc_lo
	s_delay_alu instid0(VALU_DEP_3) | instskip(SKIP_1) | instid1(VALU_DEP_1)
	v_cndmask_b32_e32 v32, v36, v28, vcc_lo
	s_waitcnt lgkmcnt(0)
	v_fma_f64 v[30:31], v[32:33], v[6:7], v[30:31]
.LBB77_209:
	s_or_b32 exec_lo, exec_lo, s2
	v_mov_b32_e32 v6, 0
	ds_load_b64 v[6:7], v6 offset:16
	s_waitcnt lgkmcnt(0)
	v_mul_f64 v[6:7], v[30:31], v[6:7]
.LBB77_210:
	s_or_b32 exec_lo, exec_lo, s1
	v_cmp_gt_u32_e64 s1, 3, v0
	ds_store_b64 v96, v[8:9]
	s_waitcnt lgkmcnt(0)
	s_barrier
	buffer_gl0_inv
	s_and_saveexec_b32 s2, s1
	s_cbranch_execz .LBB77_220
; %bb.211:
	v_cmp_ne_u32_e32 vcc_lo, 1, v34
	s_cbranch_vccnz .LBB77_213
; %bb.212:
	v_cmp_eq_u32_e32 vcc_lo, 1, v0
	v_dual_cndmask_b32 v30, v3, v5 :: v_dual_cndmask_b32 v31, v2, v4
	v_cmp_eq_u32_e32 vcc_lo, 2, v0
	s_delay_alu instid0(VALU_DEP_2) | instskip(SKIP_1) | instid1(VALU_DEP_2)
	v_dual_cndmask_b32 v30, v30, v7 :: v_dual_cndmask_b32 v31, v31, v6
	v_cmp_eq_u32_e32 vcc_lo, 3, v0
	v_dual_cndmask_b32 v30, v30, v9 :: v_dual_cndmask_b32 v31, v31, v8
	v_cmp_eq_u32_e32 vcc_lo, 4, v0
	s_delay_alu instid0(VALU_DEP_2) | instskip(SKIP_1) | instid1(VALU_DEP_2)
	v_dual_cndmask_b32 v30, v30, v11 :: v_dual_cndmask_b32 v31, v31, v10
	;; [unrolled: 5-line block ×4, first 2 shown]
	v_cmp_eq_u32_e32 vcc_lo, 9, v0
	v_dual_cndmask_b32 v30, v30, v21 :: v_dual_cndmask_b32 v31, v31, v20
	v_cmp_eq_u32_e32 vcc_lo, 10, v0
	s_delay_alu instid0(VALU_DEP_2) | instskip(SKIP_4) | instid1(VALU_DEP_2)
	v_dual_cndmask_b32 v32, v30, v23 :: v_dual_cndmask_b32 v33, v31, v22
	v_cmp_eq_u32_e32 vcc_lo, 11, v0
	ds_load_b64 v[30:31], v96
	v_dual_cndmask_b32 v32, v32, v25 :: v_dual_cndmask_b32 v33, v33, v24
	v_cmp_eq_u32_e32 vcc_lo, 12, v0
	v_cndmask_b32_e32 v32, v32, v27, vcc_lo
	s_delay_alu instid0(VALU_DEP_3) | instskip(SKIP_1) | instid1(VALU_DEP_3)
	v_cndmask_b32_e32 v36, v33, v26, vcc_lo
	v_cmp_eq_u32_e32 vcc_lo, 13, v0
	v_cndmask_b32_e32 v33, v32, v29, vcc_lo
	s_delay_alu instid0(VALU_DEP_3) | instskip(SKIP_1) | instid1(VALU_DEP_1)
	v_cndmask_b32_e32 v32, v36, v28, vcc_lo
	s_waitcnt lgkmcnt(0)
	v_mul_f64 v[30:31], v[32:33], v[30:31]
	s_cbranch_execz .LBB77_214
	s_branch .LBB77_215
.LBB77_213:
                                        ; implicit-def: $vgpr30_vgpr31
.LBB77_214:
	ds_load_b64 v[30:31], v96
.LBB77_215:
	s_mov_b32 s3, exec_lo
	v_cmpx_ne_u32_e32 2, v0
	s_cbranch_execz .LBB77_219
; %bb.216:
	v_cmp_eq_u32_e32 vcc_lo, 1, v35
	v_dual_cndmask_b32 v32, v3, v5 :: v_dual_cndmask_b32 v33, v2, v4
	v_cmp_eq_u32_e32 vcc_lo, 2, v35
	s_delay_alu instid0(VALU_DEP_2) | instskip(SKIP_1) | instid1(VALU_DEP_2)
	v_dual_cndmask_b32 v32, v32, v7 :: v_dual_cndmask_b32 v33, v33, v6
	v_cmp_eq_u32_e32 vcc_lo, 3, v35
	v_dual_cndmask_b32 v9, v32, v9 :: v_dual_cndmask_b32 v8, v33, v8
	v_cmp_eq_u32_e32 vcc_lo, 4, v35
	s_delay_alu instid0(VALU_DEP_2) | instskip(SKIP_1) | instid1(VALU_DEP_2)
	v_dual_cndmask_b32 v9, v9, v11 :: v_dual_cndmask_b32 v8, v8, v10
	;; [unrolled: 5-line block ×4, first 2 shown]
	v_cmp_eq_u32_e32 vcc_lo, 9, v35
	v_dual_cndmask_b32 v9, v9, v21 :: v_dual_cndmask_b32 v8, v8, v20
	v_cmp_eq_u32_e32 vcc_lo, 10, v35
	s_delay_alu instid0(VALU_DEP_2) | instskip(SKIP_4) | instid1(VALU_DEP_2)
	v_dual_cndmask_b32 v32, v9, v23 :: v_dual_cndmask_b32 v33, v8, v22
	v_cmp_eq_u32_e32 vcc_lo, 11, v35
	ds_load_b64 v[8:9], v96 offset:8
	v_dual_cndmask_b32 v32, v32, v25 :: v_dual_cndmask_b32 v33, v33, v24
	v_cmp_eq_u32_e32 vcc_lo, 12, v35
	v_cndmask_b32_e32 v32, v32, v27, vcc_lo
	s_delay_alu instid0(VALU_DEP_3) | instskip(SKIP_1) | instid1(VALU_DEP_3)
	v_cndmask_b32_e32 v36, v33, v26, vcc_lo
	v_cmp_eq_u32_e32 vcc_lo, 13, v35
	v_cndmask_b32_e32 v33, v32, v29, vcc_lo
	s_delay_alu instid0(VALU_DEP_3) | instskip(SKIP_1) | instid1(VALU_DEP_1)
	v_cndmask_b32_e32 v32, v36, v28, vcc_lo
	s_waitcnt lgkmcnt(0)
	v_fma_f64 v[30:31], v[32:33], v[8:9], v[30:31]
	s_and_saveexec_b32 s4, s0
	s_cbranch_execz .LBB77_218
; %bb.217:
	v_mov_b32_e32 v8, 0
	ds_load_b64 v[8:9], v8 offset:128
	s_waitcnt lgkmcnt(0)
	v_fma_f64 v[30:31], v[6:7], v[8:9], v[30:31]
.LBB77_218:
	s_or_b32 exec_lo, exec_lo, s4
.LBB77_219:
	s_delay_alu instid0(SALU_CYCLE_1)
	s_or_b32 exec_lo, exec_lo, s3
	v_mov_b32_e32 v8, 0
	ds_load_b64 v[8:9], v8 offset:24
	s_waitcnt lgkmcnt(0)
	v_mul_f64 v[8:9], v[30:31], v[8:9]
.LBB77_220:
	s_or_b32 exec_lo, exec_lo, s2
	s_delay_alu instid0(SALU_CYCLE_1)
	s_mov_b32 s3, exec_lo
	ds_store_b64 v96, v[10:11]
	s_waitcnt lgkmcnt(0)
	s_barrier
	buffer_gl0_inv
	v_cmpx_gt_u32_e32 4, v0
	s_cbranch_execz .LBB77_230
; %bb.221:
	v_cmp_ne_u32_e32 vcc_lo, 1, v34
	s_cbranch_vccnz .LBB77_223
; %bb.222:
	v_cmp_eq_u32_e32 vcc_lo, 1, v0
	v_dual_cndmask_b32 v30, v3, v5 :: v_dual_cndmask_b32 v31, v2, v4
	v_cmp_eq_u32_e32 vcc_lo, 2, v0
	s_delay_alu instid0(VALU_DEP_2) | instskip(SKIP_1) | instid1(VALU_DEP_2)
	v_dual_cndmask_b32 v30, v30, v7 :: v_dual_cndmask_b32 v31, v31, v6
	v_cmp_eq_u32_e32 vcc_lo, 3, v0
	v_dual_cndmask_b32 v30, v30, v9 :: v_dual_cndmask_b32 v31, v31, v8
	v_cmp_eq_u32_e32 vcc_lo, 4, v0
	s_delay_alu instid0(VALU_DEP_2) | instskip(SKIP_1) | instid1(VALU_DEP_2)
	v_dual_cndmask_b32 v30, v30, v11 :: v_dual_cndmask_b32 v31, v31, v10
	;; [unrolled: 5-line block ×4, first 2 shown]
	v_cmp_eq_u32_e32 vcc_lo, 9, v0
	v_dual_cndmask_b32 v30, v30, v21 :: v_dual_cndmask_b32 v31, v31, v20
	v_cmp_eq_u32_e32 vcc_lo, 10, v0
	s_delay_alu instid0(VALU_DEP_2) | instskip(SKIP_4) | instid1(VALU_DEP_2)
	v_dual_cndmask_b32 v32, v30, v23 :: v_dual_cndmask_b32 v33, v31, v22
	v_cmp_eq_u32_e32 vcc_lo, 11, v0
	ds_load_b64 v[30:31], v96
	v_dual_cndmask_b32 v32, v32, v25 :: v_dual_cndmask_b32 v33, v33, v24
	v_cmp_eq_u32_e32 vcc_lo, 12, v0
	v_cndmask_b32_e32 v32, v32, v27, vcc_lo
	s_delay_alu instid0(VALU_DEP_3) | instskip(SKIP_1) | instid1(VALU_DEP_3)
	v_cndmask_b32_e32 v36, v33, v26, vcc_lo
	v_cmp_eq_u32_e32 vcc_lo, 13, v0
	v_cndmask_b32_e32 v33, v32, v29, vcc_lo
	s_delay_alu instid0(VALU_DEP_3) | instskip(SKIP_1) | instid1(VALU_DEP_1)
	v_cndmask_b32_e32 v32, v36, v28, vcc_lo
	s_waitcnt lgkmcnt(0)
	v_mul_f64 v[30:31], v[32:33], v[30:31]
	s_cbranch_execz .LBB77_224
	s_branch .LBB77_225
.LBB77_223:
                                        ; implicit-def: $vgpr30_vgpr31
.LBB77_224:
	ds_load_b64 v[30:31], v96
.LBB77_225:
	s_mov_b32 s4, exec_lo
	v_cmpx_ne_u32_e32 3, v0
	s_cbranch_execz .LBB77_229
; %bb.226:
	v_lshl_add_u32 v36, v0, 3, 0x78
	v_dual_mov_b32 v33, v1 :: v_dual_mov_b32 v32, v0
	s_mov_b32 s5, 0
.LBB77_227:                             ; =>This Inner Loop Header: Depth=1
	s_delay_alu instid0(VALU_DEP_1) | instskip(NEXT) | instid1(VALU_DEP_2)
	v_add_co_u32 v32, vcc_lo, v32, 1
	v_add_co_ci_u32_e32 v33, vcc_lo, 0, v33, vcc_lo
	s_delay_alu instid0(VALU_DEP_2) | instskip(SKIP_3) | instid1(VALU_DEP_2)
	v_cmp_eq_u32_e32 vcc_lo, 1, v32
	v_cmp_eq_u32_e64 s2, 2, v32
	v_dual_cndmask_b32 v37, v3, v5 :: v_dual_cndmask_b32 v38, v2, v4
	v_cmp_eq_u32_e32 vcc_lo, 3, v32
	v_cndmask_b32_e64 v37, v37, v7, s2
	s_delay_alu instid0(VALU_DEP_3) | instskip(SKIP_1) | instid1(VALU_DEP_2)
	v_cndmask_b32_e64 v38, v38, v6, s2
	v_cmp_eq_u32_e64 s2, 4, v32
	v_dual_cndmask_b32 v37, v37, v9 :: v_dual_cndmask_b32 v38, v38, v8
	v_cmp_eq_u32_e32 vcc_lo, 5, v32
	s_delay_alu instid0(VALU_DEP_2) | instskip(NEXT) | instid1(VALU_DEP_3)
	v_cndmask_b32_e64 v37, v37, v11, s2
	v_cndmask_b32_e64 v38, v38, v10, s2
	v_cmp_eq_u32_e64 s2, 6, v32
	s_delay_alu instid0(VALU_DEP_2) | instskip(SKIP_1) | instid1(VALU_DEP_2)
	v_dual_cndmask_b32 v37, v37, v13 :: v_dual_cndmask_b32 v38, v38, v12
	v_cmp_eq_u32_e32 vcc_lo, 7, v32
	v_cndmask_b32_e64 v37, v37, v15, s2
	s_delay_alu instid0(VALU_DEP_3) | instskip(SKIP_1) | instid1(VALU_DEP_2)
	v_cndmask_b32_e64 v38, v38, v14, s2
	v_cmp_eq_u32_e64 s2, 8, v32
	v_dual_cndmask_b32 v37, v37, v17 :: v_dual_cndmask_b32 v38, v38, v16
	v_cmp_eq_u32_e32 vcc_lo, 9, v32
	s_delay_alu instid0(VALU_DEP_2) | instskip(NEXT) | instid1(VALU_DEP_3)
	v_cndmask_b32_e64 v37, v37, v19, s2
	v_cndmask_b32_e64 v38, v38, v18, s2
	v_cmp_eq_u32_e64 s2, 10, v32
	s_delay_alu instid0(VALU_DEP_2)
	v_dual_cndmask_b32 v39, v37, v21 :: v_dual_cndmask_b32 v40, v38, v20
	ds_load_b64 v[37:38], v36
	v_cmp_eq_u32_e32 vcc_lo, 11, v32
	v_add_nc_u32_e32 v36, 8, v36
	v_cndmask_b32_e64 v39, v39, v23, s2
	v_cndmask_b32_e64 v40, v40, v22, s2
	v_cmp_eq_u32_e64 s2, 12, v32
	s_delay_alu instid0(VALU_DEP_2) | instskip(SKIP_1) | instid1(VALU_DEP_2)
	v_dual_cndmask_b32 v39, v39, v25 :: v_dual_cndmask_b32 v40, v40, v24
	v_cmp_eq_u32_e32 vcc_lo, 13, v32
	v_cndmask_b32_e64 v39, v39, v27, s2
	s_delay_alu instid0(VALU_DEP_3) | instskip(NEXT) | instid1(VALU_DEP_1)
	v_cndmask_b32_e64 v41, v40, v26, s2
	v_dual_cndmask_b32 v40, v39, v29 :: v_dual_cndmask_b32 v39, v41, v28
	v_cmp_lt_u32_e32 vcc_lo, 2, v32
	s_waitcnt lgkmcnt(0)
	s_delay_alu instid0(VALU_DEP_2) | instskip(SKIP_1) | instid1(SALU_CYCLE_1)
	v_fma_f64 v[30:31], v[39:40], v[37:38], v[30:31]
	s_or_b32 s5, vcc_lo, s5
	s_and_not1_b32 exec_lo, exec_lo, s5
	s_cbranch_execnz .LBB77_227
; %bb.228:
	s_or_b32 exec_lo, exec_lo, s5
.LBB77_229:
	s_delay_alu instid0(SALU_CYCLE_1)
	s_or_b32 exec_lo, exec_lo, s4
	v_mov_b32_e32 v10, 0
	ds_load_b64 v[10:11], v10 offset:32
	s_waitcnt lgkmcnt(0)
	v_mul_f64 v[10:11], v[30:31], v[10:11]
.LBB77_230:
	s_or_b32 exec_lo, exec_lo, s3
	v_cmp_gt_u32_e64 s2, 5, v0
	ds_store_b64 v96, v[12:13]
	s_waitcnt lgkmcnt(0)
	s_barrier
	buffer_gl0_inv
	s_and_saveexec_b32 s4, s2
	s_cbranch_execz .LBB77_240
; %bb.231:
	v_cmp_ne_u32_e32 vcc_lo, 1, v34
	s_cbranch_vccnz .LBB77_233
; %bb.232:
	v_cmp_eq_u32_e32 vcc_lo, 1, v0
	v_dual_cndmask_b32 v30, v3, v5 :: v_dual_cndmask_b32 v31, v2, v4
	v_cmp_eq_u32_e32 vcc_lo, 2, v0
	s_delay_alu instid0(VALU_DEP_2) | instskip(SKIP_1) | instid1(VALU_DEP_2)
	v_dual_cndmask_b32 v30, v30, v7 :: v_dual_cndmask_b32 v31, v31, v6
	v_cmp_eq_u32_e32 vcc_lo, 3, v0
	v_dual_cndmask_b32 v30, v30, v9 :: v_dual_cndmask_b32 v31, v31, v8
	v_cmp_eq_u32_e32 vcc_lo, 4, v0
	s_delay_alu instid0(VALU_DEP_2) | instskip(SKIP_1) | instid1(VALU_DEP_2)
	v_dual_cndmask_b32 v30, v30, v11 :: v_dual_cndmask_b32 v31, v31, v10
	;; [unrolled: 5-line block ×4, first 2 shown]
	v_cmp_eq_u32_e32 vcc_lo, 9, v0
	v_dual_cndmask_b32 v30, v30, v21 :: v_dual_cndmask_b32 v31, v31, v20
	v_cmp_eq_u32_e32 vcc_lo, 10, v0
	s_delay_alu instid0(VALU_DEP_2) | instskip(SKIP_4) | instid1(VALU_DEP_2)
	v_dual_cndmask_b32 v32, v30, v23 :: v_dual_cndmask_b32 v33, v31, v22
	v_cmp_eq_u32_e32 vcc_lo, 11, v0
	ds_load_b64 v[30:31], v96
	v_dual_cndmask_b32 v32, v32, v25 :: v_dual_cndmask_b32 v33, v33, v24
	v_cmp_eq_u32_e32 vcc_lo, 12, v0
	v_cndmask_b32_e32 v32, v32, v27, vcc_lo
	s_delay_alu instid0(VALU_DEP_3) | instskip(SKIP_1) | instid1(VALU_DEP_3)
	v_cndmask_b32_e32 v36, v33, v26, vcc_lo
	v_cmp_eq_u32_e32 vcc_lo, 13, v0
	v_cndmask_b32_e32 v33, v32, v29, vcc_lo
	s_delay_alu instid0(VALU_DEP_3) | instskip(SKIP_1) | instid1(VALU_DEP_1)
	v_cndmask_b32_e32 v32, v36, v28, vcc_lo
	s_waitcnt lgkmcnt(0)
	v_mul_f64 v[30:31], v[32:33], v[30:31]
	s_cbranch_execz .LBB77_234
	s_branch .LBB77_235
.LBB77_233:
                                        ; implicit-def: $vgpr30_vgpr31
.LBB77_234:
	ds_load_b64 v[30:31], v96
.LBB77_235:
	s_mov_b32 s5, exec_lo
	v_cmpx_ne_u32_e32 4, v0
	s_cbranch_execz .LBB77_239
; %bb.236:
	v_lshl_add_u32 v36, v0, 3, 0x78
	v_dual_mov_b32 v33, v1 :: v_dual_mov_b32 v32, v0
	s_mov_b32 s6, 0
.LBB77_237:                             ; =>This Inner Loop Header: Depth=1
	s_delay_alu instid0(VALU_DEP_1) | instskip(NEXT) | instid1(VALU_DEP_2)
	v_add_co_u32 v32, vcc_lo, v32, 1
	v_add_co_ci_u32_e32 v33, vcc_lo, 0, v33, vcc_lo
	s_delay_alu instid0(VALU_DEP_2) | instskip(SKIP_3) | instid1(VALU_DEP_2)
	v_cmp_eq_u32_e32 vcc_lo, 1, v32
	v_cmp_eq_u32_e64 s3, 2, v32
	v_dual_cndmask_b32 v37, v3, v5 :: v_dual_cndmask_b32 v38, v2, v4
	v_cmp_eq_u32_e32 vcc_lo, 3, v32
	v_cndmask_b32_e64 v37, v37, v7, s3
	s_delay_alu instid0(VALU_DEP_3) | instskip(SKIP_1) | instid1(VALU_DEP_2)
	v_cndmask_b32_e64 v38, v38, v6, s3
	v_cmp_eq_u32_e64 s3, 4, v32
	v_dual_cndmask_b32 v37, v37, v9 :: v_dual_cndmask_b32 v38, v38, v8
	v_cmp_eq_u32_e32 vcc_lo, 5, v32
	s_delay_alu instid0(VALU_DEP_2) | instskip(NEXT) | instid1(VALU_DEP_3)
	v_cndmask_b32_e64 v37, v37, v11, s3
	v_cndmask_b32_e64 v38, v38, v10, s3
	v_cmp_eq_u32_e64 s3, 6, v32
	s_delay_alu instid0(VALU_DEP_2) | instskip(SKIP_1) | instid1(VALU_DEP_2)
	v_dual_cndmask_b32 v37, v37, v13 :: v_dual_cndmask_b32 v38, v38, v12
	v_cmp_eq_u32_e32 vcc_lo, 7, v32
	v_cndmask_b32_e64 v37, v37, v15, s3
	s_delay_alu instid0(VALU_DEP_3) | instskip(SKIP_1) | instid1(VALU_DEP_2)
	v_cndmask_b32_e64 v38, v38, v14, s3
	v_cmp_eq_u32_e64 s3, 8, v32
	v_dual_cndmask_b32 v37, v37, v17 :: v_dual_cndmask_b32 v38, v38, v16
	v_cmp_eq_u32_e32 vcc_lo, 9, v32
	s_delay_alu instid0(VALU_DEP_2) | instskip(NEXT) | instid1(VALU_DEP_3)
	v_cndmask_b32_e64 v37, v37, v19, s3
	v_cndmask_b32_e64 v38, v38, v18, s3
	v_cmp_eq_u32_e64 s3, 10, v32
	s_delay_alu instid0(VALU_DEP_2)
	v_dual_cndmask_b32 v39, v37, v21 :: v_dual_cndmask_b32 v40, v38, v20
	ds_load_b64 v[37:38], v36
	v_cmp_eq_u32_e32 vcc_lo, 11, v32
	v_add_nc_u32_e32 v36, 8, v36
	v_cndmask_b32_e64 v39, v39, v23, s3
	v_cndmask_b32_e64 v40, v40, v22, s3
	v_cmp_eq_u32_e64 s3, 12, v32
	s_delay_alu instid0(VALU_DEP_2) | instskip(SKIP_1) | instid1(VALU_DEP_2)
	v_dual_cndmask_b32 v39, v39, v25 :: v_dual_cndmask_b32 v40, v40, v24
	v_cmp_eq_u32_e32 vcc_lo, 13, v32
	v_cndmask_b32_e64 v39, v39, v27, s3
	s_delay_alu instid0(VALU_DEP_3) | instskip(NEXT) | instid1(VALU_DEP_1)
	v_cndmask_b32_e64 v41, v40, v26, s3
	v_dual_cndmask_b32 v40, v39, v29 :: v_dual_cndmask_b32 v39, v41, v28
	v_cmp_lt_u32_e32 vcc_lo, 3, v32
	s_waitcnt lgkmcnt(0)
	s_delay_alu instid0(VALU_DEP_2) | instskip(SKIP_1) | instid1(SALU_CYCLE_1)
	v_fma_f64 v[30:31], v[39:40], v[37:38], v[30:31]
	s_or_b32 s6, vcc_lo, s6
	s_and_not1_b32 exec_lo, exec_lo, s6
	s_cbranch_execnz .LBB77_237
; %bb.238:
	s_or_b32 exec_lo, exec_lo, s6
.LBB77_239:
	s_delay_alu instid0(SALU_CYCLE_1)
	s_or_b32 exec_lo, exec_lo, s5
	v_mov_b32_e32 v12, 0
	ds_load_b64 v[12:13], v12 offset:40
	s_waitcnt lgkmcnt(0)
	v_mul_f64 v[12:13], v[30:31], v[12:13]
.LBB77_240:
	s_or_b32 exec_lo, exec_lo, s4
	s_delay_alu instid0(SALU_CYCLE_1)
	s_mov_b32 s4, exec_lo
	ds_store_b64 v96, v[14:15]
	s_waitcnt lgkmcnt(0)
	s_barrier
	buffer_gl0_inv
	v_cmpx_gt_u32_e32 6, v0
	s_cbranch_execz .LBB77_250
; %bb.241:
	v_cmp_ne_u32_e32 vcc_lo, 1, v34
	s_cbranch_vccnz .LBB77_243
; %bb.242:
	v_cmp_eq_u32_e32 vcc_lo, 1, v0
	v_dual_cndmask_b32 v30, v3, v5 :: v_dual_cndmask_b32 v31, v2, v4
	v_cmp_eq_u32_e32 vcc_lo, 2, v0
	s_delay_alu instid0(VALU_DEP_2) | instskip(SKIP_1) | instid1(VALU_DEP_2)
	v_dual_cndmask_b32 v30, v30, v7 :: v_dual_cndmask_b32 v31, v31, v6
	v_cmp_eq_u32_e32 vcc_lo, 3, v0
	v_dual_cndmask_b32 v30, v30, v9 :: v_dual_cndmask_b32 v31, v31, v8
	v_cmp_eq_u32_e32 vcc_lo, 4, v0
	s_delay_alu instid0(VALU_DEP_2) | instskip(SKIP_1) | instid1(VALU_DEP_2)
	v_dual_cndmask_b32 v30, v30, v11 :: v_dual_cndmask_b32 v31, v31, v10
	;; [unrolled: 5-line block ×4, first 2 shown]
	v_cmp_eq_u32_e32 vcc_lo, 9, v0
	v_dual_cndmask_b32 v30, v30, v21 :: v_dual_cndmask_b32 v31, v31, v20
	v_cmp_eq_u32_e32 vcc_lo, 10, v0
	s_delay_alu instid0(VALU_DEP_2) | instskip(SKIP_4) | instid1(VALU_DEP_2)
	v_dual_cndmask_b32 v32, v30, v23 :: v_dual_cndmask_b32 v33, v31, v22
	v_cmp_eq_u32_e32 vcc_lo, 11, v0
	ds_load_b64 v[30:31], v96
	v_dual_cndmask_b32 v32, v32, v25 :: v_dual_cndmask_b32 v33, v33, v24
	v_cmp_eq_u32_e32 vcc_lo, 12, v0
	v_cndmask_b32_e32 v32, v32, v27, vcc_lo
	s_delay_alu instid0(VALU_DEP_3) | instskip(SKIP_1) | instid1(VALU_DEP_3)
	v_cndmask_b32_e32 v36, v33, v26, vcc_lo
	v_cmp_eq_u32_e32 vcc_lo, 13, v0
	v_cndmask_b32_e32 v33, v32, v29, vcc_lo
	s_delay_alu instid0(VALU_DEP_3) | instskip(SKIP_1) | instid1(VALU_DEP_1)
	v_cndmask_b32_e32 v32, v36, v28, vcc_lo
	s_waitcnt lgkmcnt(0)
	v_mul_f64 v[30:31], v[32:33], v[30:31]
	s_cbranch_execz .LBB77_244
	s_branch .LBB77_245
.LBB77_243:
                                        ; implicit-def: $vgpr30_vgpr31
.LBB77_244:
	ds_load_b64 v[30:31], v96
.LBB77_245:
	s_mov_b32 s5, exec_lo
	v_cmpx_ne_u32_e32 5, v0
	s_cbranch_execz .LBB77_249
; %bb.246:
	v_lshl_add_u32 v36, v0, 3, 0x78
	v_dual_mov_b32 v33, v1 :: v_dual_mov_b32 v32, v0
	s_mov_b32 s6, 0
.LBB77_247:                             ; =>This Inner Loop Header: Depth=1
	s_delay_alu instid0(VALU_DEP_1) | instskip(NEXT) | instid1(VALU_DEP_2)
	v_add_co_u32 v32, vcc_lo, v32, 1
	v_add_co_ci_u32_e32 v33, vcc_lo, 0, v33, vcc_lo
	s_delay_alu instid0(VALU_DEP_2) | instskip(SKIP_3) | instid1(VALU_DEP_2)
	v_cmp_eq_u32_e32 vcc_lo, 1, v32
	v_cmp_eq_u32_e64 s3, 2, v32
	v_dual_cndmask_b32 v37, v3, v5 :: v_dual_cndmask_b32 v38, v2, v4
	v_cmp_eq_u32_e32 vcc_lo, 3, v32
	v_cndmask_b32_e64 v37, v37, v7, s3
	s_delay_alu instid0(VALU_DEP_3) | instskip(SKIP_1) | instid1(VALU_DEP_2)
	v_cndmask_b32_e64 v38, v38, v6, s3
	v_cmp_eq_u32_e64 s3, 4, v32
	v_dual_cndmask_b32 v37, v37, v9 :: v_dual_cndmask_b32 v38, v38, v8
	v_cmp_eq_u32_e32 vcc_lo, 5, v32
	s_delay_alu instid0(VALU_DEP_2) | instskip(NEXT) | instid1(VALU_DEP_3)
	v_cndmask_b32_e64 v37, v37, v11, s3
	v_cndmask_b32_e64 v38, v38, v10, s3
	v_cmp_eq_u32_e64 s3, 6, v32
	s_delay_alu instid0(VALU_DEP_2) | instskip(SKIP_1) | instid1(VALU_DEP_2)
	v_dual_cndmask_b32 v37, v37, v13 :: v_dual_cndmask_b32 v38, v38, v12
	v_cmp_eq_u32_e32 vcc_lo, 7, v32
	v_cndmask_b32_e64 v37, v37, v15, s3
	s_delay_alu instid0(VALU_DEP_3) | instskip(SKIP_1) | instid1(VALU_DEP_2)
	v_cndmask_b32_e64 v38, v38, v14, s3
	v_cmp_eq_u32_e64 s3, 8, v32
	v_dual_cndmask_b32 v37, v37, v17 :: v_dual_cndmask_b32 v38, v38, v16
	v_cmp_eq_u32_e32 vcc_lo, 9, v32
	s_delay_alu instid0(VALU_DEP_2) | instskip(NEXT) | instid1(VALU_DEP_3)
	v_cndmask_b32_e64 v37, v37, v19, s3
	v_cndmask_b32_e64 v38, v38, v18, s3
	v_cmp_eq_u32_e64 s3, 10, v32
	s_delay_alu instid0(VALU_DEP_2)
	v_dual_cndmask_b32 v39, v37, v21 :: v_dual_cndmask_b32 v40, v38, v20
	ds_load_b64 v[37:38], v36
	v_cmp_eq_u32_e32 vcc_lo, 11, v32
	v_add_nc_u32_e32 v36, 8, v36
	v_cndmask_b32_e64 v39, v39, v23, s3
	v_cndmask_b32_e64 v40, v40, v22, s3
	v_cmp_eq_u32_e64 s3, 12, v32
	s_delay_alu instid0(VALU_DEP_2) | instskip(SKIP_1) | instid1(VALU_DEP_2)
	v_dual_cndmask_b32 v39, v39, v25 :: v_dual_cndmask_b32 v40, v40, v24
	v_cmp_eq_u32_e32 vcc_lo, 13, v32
	v_cndmask_b32_e64 v39, v39, v27, s3
	s_delay_alu instid0(VALU_DEP_3) | instskip(NEXT) | instid1(VALU_DEP_1)
	v_cndmask_b32_e64 v41, v40, v26, s3
	v_dual_cndmask_b32 v40, v39, v29 :: v_dual_cndmask_b32 v39, v41, v28
	v_cmp_lt_u32_e32 vcc_lo, 4, v32
	s_waitcnt lgkmcnt(0)
	s_delay_alu instid0(VALU_DEP_2) | instskip(SKIP_1) | instid1(SALU_CYCLE_1)
	v_fma_f64 v[30:31], v[39:40], v[37:38], v[30:31]
	s_or_b32 s6, vcc_lo, s6
	s_and_not1_b32 exec_lo, exec_lo, s6
	s_cbranch_execnz .LBB77_247
; %bb.248:
	s_or_b32 exec_lo, exec_lo, s6
.LBB77_249:
	s_delay_alu instid0(SALU_CYCLE_1)
	s_or_b32 exec_lo, exec_lo, s5
	v_mov_b32_e32 v14, 0
	ds_load_b64 v[14:15], v14 offset:48
	s_waitcnt lgkmcnt(0)
	v_mul_f64 v[14:15], v[30:31], v[14:15]
.LBB77_250:
	s_or_b32 exec_lo, exec_lo, s4
	v_cmp_gt_u32_e64 s3, 7, v0
	ds_store_b64 v96, v[16:17]
	s_waitcnt lgkmcnt(0)
	s_barrier
	buffer_gl0_inv
	s_and_saveexec_b32 s5, s3
	s_cbranch_execz .LBB77_260
; %bb.251:
	v_cmp_ne_u32_e32 vcc_lo, 1, v34
	s_cbranch_vccnz .LBB77_253
; %bb.252:
	v_cmp_eq_u32_e32 vcc_lo, 1, v0
	v_dual_cndmask_b32 v30, v3, v5 :: v_dual_cndmask_b32 v31, v2, v4
	v_cmp_eq_u32_e32 vcc_lo, 2, v0
	s_delay_alu instid0(VALU_DEP_2) | instskip(SKIP_1) | instid1(VALU_DEP_2)
	v_dual_cndmask_b32 v30, v30, v7 :: v_dual_cndmask_b32 v31, v31, v6
	v_cmp_eq_u32_e32 vcc_lo, 3, v0
	v_dual_cndmask_b32 v30, v30, v9 :: v_dual_cndmask_b32 v31, v31, v8
	v_cmp_eq_u32_e32 vcc_lo, 4, v0
	s_delay_alu instid0(VALU_DEP_2) | instskip(SKIP_1) | instid1(VALU_DEP_2)
	v_dual_cndmask_b32 v30, v30, v11 :: v_dual_cndmask_b32 v31, v31, v10
	;; [unrolled: 5-line block ×4, first 2 shown]
	v_cmp_eq_u32_e32 vcc_lo, 9, v0
	v_dual_cndmask_b32 v30, v30, v21 :: v_dual_cndmask_b32 v31, v31, v20
	v_cmp_eq_u32_e32 vcc_lo, 10, v0
	s_delay_alu instid0(VALU_DEP_2) | instskip(SKIP_4) | instid1(VALU_DEP_2)
	v_dual_cndmask_b32 v32, v30, v23 :: v_dual_cndmask_b32 v33, v31, v22
	v_cmp_eq_u32_e32 vcc_lo, 11, v0
	ds_load_b64 v[30:31], v96
	v_dual_cndmask_b32 v32, v32, v25 :: v_dual_cndmask_b32 v33, v33, v24
	v_cmp_eq_u32_e32 vcc_lo, 12, v0
	v_cndmask_b32_e32 v32, v32, v27, vcc_lo
	s_delay_alu instid0(VALU_DEP_3) | instskip(SKIP_1) | instid1(VALU_DEP_3)
	v_cndmask_b32_e32 v36, v33, v26, vcc_lo
	v_cmp_eq_u32_e32 vcc_lo, 13, v0
	v_cndmask_b32_e32 v33, v32, v29, vcc_lo
	s_delay_alu instid0(VALU_DEP_3) | instskip(SKIP_1) | instid1(VALU_DEP_1)
	v_cndmask_b32_e32 v32, v36, v28, vcc_lo
	s_waitcnt lgkmcnt(0)
	v_mul_f64 v[30:31], v[32:33], v[30:31]
	s_cbranch_execz .LBB77_254
	s_branch .LBB77_255
.LBB77_253:
                                        ; implicit-def: $vgpr30_vgpr31
.LBB77_254:
	ds_load_b64 v[30:31], v96
.LBB77_255:
	s_mov_b32 s6, exec_lo
	v_cmpx_ne_u32_e32 6, v0
	s_cbranch_execz .LBB77_259
; %bb.256:
	v_lshl_add_u32 v36, v0, 3, 0x78
	v_dual_mov_b32 v33, v1 :: v_dual_mov_b32 v32, v0
	s_mov_b32 s7, 0
.LBB77_257:                             ; =>This Inner Loop Header: Depth=1
	s_delay_alu instid0(VALU_DEP_1) | instskip(NEXT) | instid1(VALU_DEP_2)
	v_add_co_u32 v32, vcc_lo, v32, 1
	v_add_co_ci_u32_e32 v33, vcc_lo, 0, v33, vcc_lo
	s_delay_alu instid0(VALU_DEP_2) | instskip(SKIP_3) | instid1(VALU_DEP_2)
	v_cmp_eq_u32_e32 vcc_lo, 1, v32
	v_cmp_eq_u32_e64 s4, 2, v32
	v_dual_cndmask_b32 v37, v3, v5 :: v_dual_cndmask_b32 v38, v2, v4
	v_cmp_eq_u32_e32 vcc_lo, 3, v32
	v_cndmask_b32_e64 v37, v37, v7, s4
	s_delay_alu instid0(VALU_DEP_3) | instskip(SKIP_1) | instid1(VALU_DEP_2)
	v_cndmask_b32_e64 v38, v38, v6, s4
	v_cmp_eq_u32_e64 s4, 4, v32
	v_dual_cndmask_b32 v37, v37, v9 :: v_dual_cndmask_b32 v38, v38, v8
	v_cmp_eq_u32_e32 vcc_lo, 5, v32
	s_delay_alu instid0(VALU_DEP_2) | instskip(NEXT) | instid1(VALU_DEP_3)
	v_cndmask_b32_e64 v37, v37, v11, s4
	v_cndmask_b32_e64 v38, v38, v10, s4
	v_cmp_eq_u32_e64 s4, 6, v32
	s_delay_alu instid0(VALU_DEP_2) | instskip(SKIP_1) | instid1(VALU_DEP_2)
	v_dual_cndmask_b32 v37, v37, v13 :: v_dual_cndmask_b32 v38, v38, v12
	v_cmp_eq_u32_e32 vcc_lo, 7, v32
	v_cndmask_b32_e64 v37, v37, v15, s4
	s_delay_alu instid0(VALU_DEP_3) | instskip(SKIP_1) | instid1(VALU_DEP_2)
	v_cndmask_b32_e64 v38, v38, v14, s4
	v_cmp_eq_u32_e64 s4, 8, v32
	v_dual_cndmask_b32 v37, v37, v17 :: v_dual_cndmask_b32 v38, v38, v16
	v_cmp_eq_u32_e32 vcc_lo, 9, v32
	s_delay_alu instid0(VALU_DEP_2) | instskip(NEXT) | instid1(VALU_DEP_3)
	v_cndmask_b32_e64 v37, v37, v19, s4
	v_cndmask_b32_e64 v38, v38, v18, s4
	v_cmp_eq_u32_e64 s4, 10, v32
	s_delay_alu instid0(VALU_DEP_2)
	v_dual_cndmask_b32 v39, v37, v21 :: v_dual_cndmask_b32 v40, v38, v20
	ds_load_b64 v[37:38], v36
	v_cmp_eq_u32_e32 vcc_lo, 11, v32
	v_add_nc_u32_e32 v36, 8, v36
	v_cndmask_b32_e64 v39, v39, v23, s4
	v_cndmask_b32_e64 v40, v40, v22, s4
	v_cmp_eq_u32_e64 s4, 12, v32
	s_delay_alu instid0(VALU_DEP_2) | instskip(SKIP_1) | instid1(VALU_DEP_2)
	v_dual_cndmask_b32 v39, v39, v25 :: v_dual_cndmask_b32 v40, v40, v24
	v_cmp_eq_u32_e32 vcc_lo, 13, v32
	v_cndmask_b32_e64 v39, v39, v27, s4
	s_delay_alu instid0(VALU_DEP_3) | instskip(NEXT) | instid1(VALU_DEP_1)
	v_cndmask_b32_e64 v41, v40, v26, s4
	v_dual_cndmask_b32 v40, v39, v29 :: v_dual_cndmask_b32 v39, v41, v28
	v_cmp_lt_u32_e32 vcc_lo, 5, v32
	s_waitcnt lgkmcnt(0)
	s_delay_alu instid0(VALU_DEP_2) | instskip(SKIP_1) | instid1(SALU_CYCLE_1)
	v_fma_f64 v[30:31], v[39:40], v[37:38], v[30:31]
	s_or_b32 s7, vcc_lo, s7
	s_and_not1_b32 exec_lo, exec_lo, s7
	s_cbranch_execnz .LBB77_257
; %bb.258:
	s_or_b32 exec_lo, exec_lo, s7
.LBB77_259:
	s_delay_alu instid0(SALU_CYCLE_1)
	s_or_b32 exec_lo, exec_lo, s6
	v_mov_b32_e32 v16, 0
	ds_load_b64 v[16:17], v16 offset:56
	s_waitcnt lgkmcnt(0)
	v_mul_f64 v[16:17], v[30:31], v[16:17]
.LBB77_260:
	s_or_b32 exec_lo, exec_lo, s5
	s_delay_alu instid0(SALU_CYCLE_1)
	s_mov_b32 s5, exec_lo
	ds_store_b64 v96, v[18:19]
	s_waitcnt lgkmcnt(0)
	s_barrier
	buffer_gl0_inv
	v_cmpx_gt_u32_e32 8, v0
	s_cbranch_execz .LBB77_270
; %bb.261:
	v_cmp_ne_u32_e32 vcc_lo, 1, v34
	s_cbranch_vccnz .LBB77_263
; %bb.262:
	v_cmp_eq_u32_e32 vcc_lo, 1, v0
	v_dual_cndmask_b32 v30, v3, v5 :: v_dual_cndmask_b32 v31, v2, v4
	v_cmp_eq_u32_e32 vcc_lo, 2, v0
	s_delay_alu instid0(VALU_DEP_2) | instskip(SKIP_1) | instid1(VALU_DEP_2)
	v_dual_cndmask_b32 v30, v30, v7 :: v_dual_cndmask_b32 v31, v31, v6
	v_cmp_eq_u32_e32 vcc_lo, 3, v0
	v_dual_cndmask_b32 v30, v30, v9 :: v_dual_cndmask_b32 v31, v31, v8
	v_cmp_eq_u32_e32 vcc_lo, 4, v0
	s_delay_alu instid0(VALU_DEP_2) | instskip(SKIP_1) | instid1(VALU_DEP_2)
	v_dual_cndmask_b32 v30, v30, v11 :: v_dual_cndmask_b32 v31, v31, v10
	;; [unrolled: 5-line block ×4, first 2 shown]
	v_cmp_eq_u32_e32 vcc_lo, 9, v0
	v_dual_cndmask_b32 v30, v30, v21 :: v_dual_cndmask_b32 v31, v31, v20
	v_cmp_eq_u32_e32 vcc_lo, 10, v0
	s_delay_alu instid0(VALU_DEP_2) | instskip(SKIP_4) | instid1(VALU_DEP_2)
	v_dual_cndmask_b32 v32, v30, v23 :: v_dual_cndmask_b32 v33, v31, v22
	v_cmp_eq_u32_e32 vcc_lo, 11, v0
	ds_load_b64 v[30:31], v96
	v_dual_cndmask_b32 v32, v32, v25 :: v_dual_cndmask_b32 v33, v33, v24
	v_cmp_eq_u32_e32 vcc_lo, 12, v0
	v_cndmask_b32_e32 v32, v32, v27, vcc_lo
	s_delay_alu instid0(VALU_DEP_3) | instskip(SKIP_1) | instid1(VALU_DEP_3)
	v_cndmask_b32_e32 v36, v33, v26, vcc_lo
	v_cmp_eq_u32_e32 vcc_lo, 13, v0
	v_cndmask_b32_e32 v33, v32, v29, vcc_lo
	s_delay_alu instid0(VALU_DEP_3) | instskip(SKIP_1) | instid1(VALU_DEP_1)
	v_cndmask_b32_e32 v32, v36, v28, vcc_lo
	s_waitcnt lgkmcnt(0)
	v_mul_f64 v[30:31], v[32:33], v[30:31]
	s_cbranch_execz .LBB77_264
	s_branch .LBB77_265
.LBB77_263:
                                        ; implicit-def: $vgpr30_vgpr31
.LBB77_264:
	ds_load_b64 v[30:31], v96
.LBB77_265:
	s_mov_b32 s6, exec_lo
	v_cmpx_ne_u32_e32 7, v0
	s_cbranch_execz .LBB77_269
; %bb.266:
	v_lshl_add_u32 v36, v0, 3, 0x78
	v_dual_mov_b32 v33, v1 :: v_dual_mov_b32 v32, v0
	s_mov_b32 s7, 0
.LBB77_267:                             ; =>This Inner Loop Header: Depth=1
	s_delay_alu instid0(VALU_DEP_1) | instskip(NEXT) | instid1(VALU_DEP_2)
	v_add_co_u32 v32, vcc_lo, v32, 1
	v_add_co_ci_u32_e32 v33, vcc_lo, 0, v33, vcc_lo
	s_delay_alu instid0(VALU_DEP_2) | instskip(SKIP_3) | instid1(VALU_DEP_2)
	v_cmp_eq_u32_e32 vcc_lo, 1, v32
	v_cmp_eq_u32_e64 s4, 2, v32
	v_dual_cndmask_b32 v37, v3, v5 :: v_dual_cndmask_b32 v38, v2, v4
	v_cmp_eq_u32_e32 vcc_lo, 3, v32
	v_cndmask_b32_e64 v37, v37, v7, s4
	s_delay_alu instid0(VALU_DEP_3) | instskip(SKIP_1) | instid1(VALU_DEP_2)
	v_cndmask_b32_e64 v38, v38, v6, s4
	v_cmp_eq_u32_e64 s4, 4, v32
	v_dual_cndmask_b32 v37, v37, v9 :: v_dual_cndmask_b32 v38, v38, v8
	v_cmp_eq_u32_e32 vcc_lo, 5, v32
	s_delay_alu instid0(VALU_DEP_2) | instskip(NEXT) | instid1(VALU_DEP_3)
	v_cndmask_b32_e64 v37, v37, v11, s4
	v_cndmask_b32_e64 v38, v38, v10, s4
	v_cmp_eq_u32_e64 s4, 6, v32
	s_delay_alu instid0(VALU_DEP_2) | instskip(SKIP_1) | instid1(VALU_DEP_2)
	v_dual_cndmask_b32 v37, v37, v13 :: v_dual_cndmask_b32 v38, v38, v12
	v_cmp_eq_u32_e32 vcc_lo, 7, v32
	v_cndmask_b32_e64 v37, v37, v15, s4
	s_delay_alu instid0(VALU_DEP_3) | instskip(SKIP_1) | instid1(VALU_DEP_2)
	v_cndmask_b32_e64 v38, v38, v14, s4
	v_cmp_eq_u32_e64 s4, 8, v32
	v_dual_cndmask_b32 v37, v37, v17 :: v_dual_cndmask_b32 v38, v38, v16
	v_cmp_eq_u32_e32 vcc_lo, 9, v32
	s_delay_alu instid0(VALU_DEP_2) | instskip(NEXT) | instid1(VALU_DEP_3)
	v_cndmask_b32_e64 v37, v37, v19, s4
	v_cndmask_b32_e64 v38, v38, v18, s4
	v_cmp_eq_u32_e64 s4, 10, v32
	s_delay_alu instid0(VALU_DEP_2)
	v_dual_cndmask_b32 v39, v37, v21 :: v_dual_cndmask_b32 v40, v38, v20
	ds_load_b64 v[37:38], v36
	v_cmp_eq_u32_e32 vcc_lo, 11, v32
	v_add_nc_u32_e32 v36, 8, v36
	v_cndmask_b32_e64 v39, v39, v23, s4
	v_cndmask_b32_e64 v40, v40, v22, s4
	v_cmp_eq_u32_e64 s4, 12, v32
	s_delay_alu instid0(VALU_DEP_2) | instskip(SKIP_1) | instid1(VALU_DEP_2)
	v_dual_cndmask_b32 v39, v39, v25 :: v_dual_cndmask_b32 v40, v40, v24
	v_cmp_eq_u32_e32 vcc_lo, 13, v32
	v_cndmask_b32_e64 v39, v39, v27, s4
	s_delay_alu instid0(VALU_DEP_3) | instskip(NEXT) | instid1(VALU_DEP_1)
	v_cndmask_b32_e64 v41, v40, v26, s4
	v_dual_cndmask_b32 v40, v39, v29 :: v_dual_cndmask_b32 v39, v41, v28
	v_cmp_lt_u32_e32 vcc_lo, 6, v32
	s_waitcnt lgkmcnt(0)
	s_delay_alu instid0(VALU_DEP_2) | instskip(SKIP_1) | instid1(SALU_CYCLE_1)
	v_fma_f64 v[30:31], v[39:40], v[37:38], v[30:31]
	s_or_b32 s7, vcc_lo, s7
	s_and_not1_b32 exec_lo, exec_lo, s7
	s_cbranch_execnz .LBB77_267
; %bb.268:
	s_or_b32 exec_lo, exec_lo, s7
.LBB77_269:
	s_delay_alu instid0(SALU_CYCLE_1)
	s_or_b32 exec_lo, exec_lo, s6
	v_mov_b32_e32 v18, 0
	ds_load_b64 v[18:19], v18 offset:64
	s_waitcnt lgkmcnt(0)
	v_mul_f64 v[18:19], v[30:31], v[18:19]
.LBB77_270:
	s_or_b32 exec_lo, exec_lo, s5
	s_delay_alu instid0(SALU_CYCLE_1)
	s_mov_b32 s4, exec_lo
	ds_store_b64 v96, v[20:21]
	s_waitcnt lgkmcnt(0)
	s_barrier
	buffer_gl0_inv
	v_cmpx_gt_u32_e32 9, v0
	s_cbranch_execz .LBB77_292
; %bb.271:
	v_cmp_ne_u32_e32 vcc_lo, 1, v34
	s_cbranch_vccnz .LBB77_273
; %bb.272:
	v_cmp_eq_u32_e32 vcc_lo, 1, v0
	v_dual_cndmask_b32 v30, v3, v5 :: v_dual_cndmask_b32 v31, v2, v4
	v_cmp_eq_u32_e32 vcc_lo, 2, v0
	s_delay_alu instid0(VALU_DEP_2) | instskip(SKIP_1) | instid1(VALU_DEP_2)
	v_dual_cndmask_b32 v30, v30, v7 :: v_dual_cndmask_b32 v31, v31, v6
	v_cmp_eq_u32_e32 vcc_lo, 3, v0
	v_dual_cndmask_b32 v30, v30, v9 :: v_dual_cndmask_b32 v31, v31, v8
	v_cmp_eq_u32_e32 vcc_lo, 4, v0
	s_delay_alu instid0(VALU_DEP_2) | instskip(SKIP_1) | instid1(VALU_DEP_2)
	v_dual_cndmask_b32 v30, v30, v11 :: v_dual_cndmask_b32 v31, v31, v10
	;; [unrolled: 5-line block ×4, first 2 shown]
	v_cmp_eq_u32_e32 vcc_lo, 9, v0
	v_dual_cndmask_b32 v30, v30, v21 :: v_dual_cndmask_b32 v31, v31, v20
	v_cmp_eq_u32_e32 vcc_lo, 10, v0
	s_delay_alu instid0(VALU_DEP_2) | instskip(SKIP_4) | instid1(VALU_DEP_2)
	v_dual_cndmask_b32 v32, v30, v23 :: v_dual_cndmask_b32 v33, v31, v22
	v_cmp_eq_u32_e32 vcc_lo, 11, v0
	ds_load_b64 v[30:31], v96
	v_dual_cndmask_b32 v32, v32, v25 :: v_dual_cndmask_b32 v33, v33, v24
	v_cmp_eq_u32_e32 vcc_lo, 12, v0
	v_cndmask_b32_e32 v32, v32, v27, vcc_lo
	s_delay_alu instid0(VALU_DEP_3) | instskip(SKIP_1) | instid1(VALU_DEP_3)
	v_cndmask_b32_e32 v36, v33, v26, vcc_lo
	v_cmp_eq_u32_e32 vcc_lo, 13, v0
	v_cndmask_b32_e32 v33, v32, v29, vcc_lo
	s_delay_alu instid0(VALU_DEP_3) | instskip(SKIP_1) | instid1(VALU_DEP_1)
	v_cndmask_b32_e32 v32, v36, v28, vcc_lo
	s_waitcnt lgkmcnt(0)
	v_mul_f64 v[30:31], v[32:33], v[30:31]
	s_cbranch_execz .LBB77_274
	s_branch .LBB77_275
.LBB77_273:
                                        ; implicit-def: $vgpr30_vgpr31
.LBB77_274:
	ds_load_b64 v[30:31], v96
.LBB77_275:
	s_mov_b32 s5, exec_lo
	v_cmpx_ne_u32_e32 8, v0
	s_cbranch_execz .LBB77_291
; %bb.276:
	v_cmp_eq_u32_e32 vcc_lo, 1, v35
	v_dual_cndmask_b32 v32, v3, v5 :: v_dual_cndmask_b32 v33, v2, v4
	v_cmp_eq_u32_e32 vcc_lo, 2, v35
	s_delay_alu instid0(VALU_DEP_2) | instskip(SKIP_1) | instid1(VALU_DEP_2)
	v_dual_cndmask_b32 v32, v32, v7 :: v_dual_cndmask_b32 v33, v33, v6
	v_cmp_eq_u32_e32 vcc_lo, 3, v35
	v_dual_cndmask_b32 v32, v32, v9 :: v_dual_cndmask_b32 v33, v33, v8
	v_cmp_eq_u32_e32 vcc_lo, 4, v35
	s_delay_alu instid0(VALU_DEP_2) | instskip(SKIP_1) | instid1(VALU_DEP_2)
	v_dual_cndmask_b32 v32, v32, v11 :: v_dual_cndmask_b32 v33, v33, v10
	;; [unrolled: 5-line block ×4, first 2 shown]
	v_cmp_eq_u32_e32 vcc_lo, 9, v35
	v_dual_cndmask_b32 v32, v32, v21 :: v_dual_cndmask_b32 v33, v33, v20
	v_cmp_eq_u32_e32 vcc_lo, 10, v35
	s_delay_alu instid0(VALU_DEP_2) | instskip(SKIP_4) | instid1(VALU_DEP_2)
	v_dual_cndmask_b32 v36, v32, v23 :: v_dual_cndmask_b32 v37, v33, v22
	v_cmp_eq_u32_e32 vcc_lo, 11, v35
	ds_load_b64 v[32:33], v96 offset:8
	v_dual_cndmask_b32 v36, v36, v25 :: v_dual_cndmask_b32 v37, v37, v24
	v_cmp_eq_u32_e32 vcc_lo, 12, v35
	v_dual_cndmask_b32 v36, v36, v27 :: v_dual_cndmask_b32 v37, v37, v26
	v_cmp_eq_u32_e32 vcc_lo, 13, v35
	s_delay_alu instid0(VALU_DEP_2) | instskip(SKIP_1) | instid1(VALU_DEP_1)
	v_dual_cndmask_b32 v36, v36, v29 :: v_dual_cndmask_b32 v35, v37, v28
	s_waitcnt lgkmcnt(0)
	v_fma_f64 v[30:31], v[35:36], v[32:33], v[30:31]
	s_and_saveexec_b32 s6, s3
	s_cbranch_execz .LBB77_290
; %bb.277:
	v_add_nc_u32_e32 v35, 2, v0
	s_mov_b32 s3, exec_lo
	s_delay_alu instid0(VALU_DEP_1) | instskip(SKIP_2) | instid1(VALU_DEP_2)
	v_cmp_eq_u32_e32 vcc_lo, 1, v35
	v_dual_cndmask_b32 v32, v3, v5 :: v_dual_cndmask_b32 v33, v2, v4
	v_cmp_eq_u32_e32 vcc_lo, 2, v35
	v_dual_cndmask_b32 v32, v32, v7 :: v_dual_cndmask_b32 v33, v33, v6
	v_cmp_eq_u32_e32 vcc_lo, 3, v35
	s_delay_alu instid0(VALU_DEP_2) | instskip(SKIP_1) | instid1(VALU_DEP_2)
	v_dual_cndmask_b32 v32, v32, v9 :: v_dual_cndmask_b32 v33, v33, v8
	v_cmp_eq_u32_e32 vcc_lo, 4, v35
	v_dual_cndmask_b32 v32, v32, v11 :: v_dual_cndmask_b32 v33, v33, v10
	v_cmp_eq_u32_e32 vcc_lo, 5, v35
	s_delay_alu instid0(VALU_DEP_2) | instskip(SKIP_1) | instid1(VALU_DEP_2)
	;; [unrolled: 5-line block ×4, first 2 shown]
	v_dual_cndmask_b32 v32, v32, v21 :: v_dual_cndmask_b32 v33, v33, v20
	v_cmp_eq_u32_e32 vcc_lo, 10, v35
	v_dual_cndmask_b32 v36, v32, v23 :: v_dual_cndmask_b32 v37, v33, v22
	v_cmp_eq_u32_e32 vcc_lo, 11, v35
	ds_load_b64 v[32:33], v96 offset:16
	v_dual_cndmask_b32 v36, v36, v25 :: v_dual_cndmask_b32 v37, v37, v24
	v_cmp_eq_u32_e32 vcc_lo, 12, v35
	s_delay_alu instid0(VALU_DEP_2) | instskip(SKIP_1) | instid1(VALU_DEP_2)
	v_dual_cndmask_b32 v36, v36, v27 :: v_dual_cndmask_b32 v37, v37, v26
	v_cmp_eq_u32_e32 vcc_lo, 13, v35
	v_dual_cndmask_b32 v36, v36, v29 :: v_dual_cndmask_b32 v35, v37, v28
	s_waitcnt lgkmcnt(0)
	s_delay_alu instid0(VALU_DEP_1)
	v_fma_f64 v[30:31], v[35:36], v[32:33], v[30:31]
	v_cmpx_ne_u32_e32 6, v0
	s_cbranch_execz .LBB77_289
; %bb.278:
	v_add_nc_u32_e32 v35, 3, v0
	s_delay_alu instid0(VALU_DEP_1) | instskip(SKIP_2) | instid1(VALU_DEP_2)
	v_cmp_eq_u32_e32 vcc_lo, 1, v35
	v_dual_cndmask_b32 v32, v3, v5 :: v_dual_cndmask_b32 v33, v2, v4
	v_cmp_eq_u32_e32 vcc_lo, 2, v35
	v_dual_cndmask_b32 v32, v32, v7 :: v_dual_cndmask_b32 v33, v33, v6
	v_cmp_eq_u32_e32 vcc_lo, 3, v35
	s_delay_alu instid0(VALU_DEP_2) | instskip(SKIP_1) | instid1(VALU_DEP_2)
	v_dual_cndmask_b32 v32, v32, v9 :: v_dual_cndmask_b32 v33, v33, v8
	v_cmp_eq_u32_e32 vcc_lo, 4, v35
	v_dual_cndmask_b32 v32, v32, v11 :: v_dual_cndmask_b32 v33, v33, v10
	v_cmp_eq_u32_e32 vcc_lo, 5, v35
	s_delay_alu instid0(VALU_DEP_2) | instskip(SKIP_1) | instid1(VALU_DEP_2)
	v_dual_cndmask_b32 v32, v32, v13 :: v_dual_cndmask_b32 v33, v33, v12
	v_cmp_eq_u32_e32 vcc_lo, 6, v35
	v_dual_cndmask_b32 v32, v32, v15 :: v_dual_cndmask_b32 v33, v33, v14
	v_cmp_eq_u32_e32 vcc_lo, 7, v35
	s_delay_alu instid0(VALU_DEP_2) | instskip(SKIP_1) | instid1(VALU_DEP_2)
	v_dual_cndmask_b32 v32, v32, v17 :: v_dual_cndmask_b32 v33, v33, v16
	v_cmp_eq_u32_e32 vcc_lo, 8, v35
	v_dual_cndmask_b32 v32, v32, v19 :: v_dual_cndmask_b32 v33, v33, v18
	v_cmp_eq_u32_e32 vcc_lo, 9, v35
	s_delay_alu instid0(VALU_DEP_2) | instskip(SKIP_1) | instid1(VALU_DEP_2)
	v_dual_cndmask_b32 v32, v32, v21 :: v_dual_cndmask_b32 v33, v33, v20
	v_cmp_eq_u32_e32 vcc_lo, 10, v35
	v_dual_cndmask_b32 v36, v32, v23 :: v_dual_cndmask_b32 v37, v33, v22
	v_cmp_eq_u32_e32 vcc_lo, 11, v35
	ds_load_b64 v[32:33], v96 offset:24
	v_dual_cndmask_b32 v36, v36, v25 :: v_dual_cndmask_b32 v37, v37, v24
	v_cmp_eq_u32_e32 vcc_lo, 12, v35
	s_delay_alu instid0(VALU_DEP_2) | instskip(SKIP_1) | instid1(VALU_DEP_2)
	v_dual_cndmask_b32 v36, v36, v27 :: v_dual_cndmask_b32 v37, v37, v26
	v_cmp_eq_u32_e32 vcc_lo, 13, v35
	v_dual_cndmask_b32 v36, v36, v29 :: v_dual_cndmask_b32 v35, v37, v28
	s_waitcnt lgkmcnt(0)
	s_delay_alu instid0(VALU_DEP_1)
	v_fma_f64 v[30:31], v[35:36], v[32:33], v[30:31]
	s_and_saveexec_b32 s7, s2
	s_cbranch_execz .LBB77_288
; %bb.279:
	v_add_nc_u32_e32 v35, 4, v0
	s_mov_b32 s2, exec_lo
	s_delay_alu instid0(VALU_DEP_1) | instskip(SKIP_2) | instid1(VALU_DEP_2)
	v_cmp_eq_u32_e32 vcc_lo, 1, v35
	v_dual_cndmask_b32 v32, v3, v5 :: v_dual_cndmask_b32 v33, v2, v4
	v_cmp_eq_u32_e32 vcc_lo, 2, v35
	v_dual_cndmask_b32 v32, v32, v7 :: v_dual_cndmask_b32 v33, v33, v6
	v_cmp_eq_u32_e32 vcc_lo, 3, v35
	s_delay_alu instid0(VALU_DEP_2) | instskip(SKIP_1) | instid1(VALU_DEP_2)
	v_dual_cndmask_b32 v32, v32, v9 :: v_dual_cndmask_b32 v33, v33, v8
	v_cmp_eq_u32_e32 vcc_lo, 4, v35
	v_dual_cndmask_b32 v32, v32, v11 :: v_dual_cndmask_b32 v33, v33, v10
	v_cmp_eq_u32_e32 vcc_lo, 5, v35
	s_delay_alu instid0(VALU_DEP_2) | instskip(SKIP_1) | instid1(VALU_DEP_2)
	;; [unrolled: 5-line block ×4, first 2 shown]
	v_dual_cndmask_b32 v32, v32, v21 :: v_dual_cndmask_b32 v33, v33, v20
	v_cmp_eq_u32_e32 vcc_lo, 10, v35
	v_dual_cndmask_b32 v36, v32, v23 :: v_dual_cndmask_b32 v37, v33, v22
	v_cmp_eq_u32_e32 vcc_lo, 11, v35
	ds_load_b64 v[32:33], v96 offset:32
	v_dual_cndmask_b32 v36, v36, v25 :: v_dual_cndmask_b32 v37, v37, v24
	v_cmp_eq_u32_e32 vcc_lo, 12, v35
	s_delay_alu instid0(VALU_DEP_2) | instskip(SKIP_1) | instid1(VALU_DEP_2)
	v_dual_cndmask_b32 v36, v36, v27 :: v_dual_cndmask_b32 v37, v37, v26
	v_cmp_eq_u32_e32 vcc_lo, 13, v35
	v_dual_cndmask_b32 v36, v36, v29 :: v_dual_cndmask_b32 v35, v37, v28
	s_waitcnt lgkmcnt(0)
	s_delay_alu instid0(VALU_DEP_1)
	v_fma_f64 v[30:31], v[35:36], v[32:33], v[30:31]
	v_cmpx_ne_u32_e32 4, v0
	s_cbranch_execz .LBB77_287
; %bb.280:
	v_add_nc_u32_e32 v35, 5, v0
	s_delay_alu instid0(VALU_DEP_1) | instskip(SKIP_2) | instid1(VALU_DEP_2)
	v_cmp_eq_u32_e32 vcc_lo, 1, v35
	v_dual_cndmask_b32 v32, v3, v5 :: v_dual_cndmask_b32 v33, v2, v4
	v_cmp_eq_u32_e32 vcc_lo, 2, v35
	v_dual_cndmask_b32 v32, v32, v7 :: v_dual_cndmask_b32 v33, v33, v6
	v_cmp_eq_u32_e32 vcc_lo, 3, v35
	s_delay_alu instid0(VALU_DEP_2) | instskip(SKIP_1) | instid1(VALU_DEP_2)
	v_dual_cndmask_b32 v32, v32, v9 :: v_dual_cndmask_b32 v33, v33, v8
	v_cmp_eq_u32_e32 vcc_lo, 4, v35
	v_dual_cndmask_b32 v32, v32, v11 :: v_dual_cndmask_b32 v33, v33, v10
	v_cmp_eq_u32_e32 vcc_lo, 5, v35
	s_delay_alu instid0(VALU_DEP_2) | instskip(SKIP_1) | instid1(VALU_DEP_2)
	;; [unrolled: 5-line block ×4, first 2 shown]
	v_dual_cndmask_b32 v32, v32, v21 :: v_dual_cndmask_b32 v33, v33, v20
	v_cmp_eq_u32_e32 vcc_lo, 10, v35
	v_dual_cndmask_b32 v36, v32, v23 :: v_dual_cndmask_b32 v37, v33, v22
	v_cmp_eq_u32_e32 vcc_lo, 11, v35
	ds_load_b64 v[32:33], v96 offset:40
	v_dual_cndmask_b32 v36, v36, v25 :: v_dual_cndmask_b32 v37, v37, v24
	v_cmp_eq_u32_e32 vcc_lo, 12, v35
	s_delay_alu instid0(VALU_DEP_2) | instskip(SKIP_1) | instid1(VALU_DEP_2)
	v_dual_cndmask_b32 v36, v36, v27 :: v_dual_cndmask_b32 v37, v37, v26
	v_cmp_eq_u32_e32 vcc_lo, 13, v35
	v_dual_cndmask_b32 v36, v36, v29 :: v_dual_cndmask_b32 v35, v37, v28
	s_waitcnt lgkmcnt(0)
	s_delay_alu instid0(VALU_DEP_1)
	v_fma_f64 v[30:31], v[35:36], v[32:33], v[30:31]
	s_and_saveexec_b32 s8, s1
	s_cbranch_execz .LBB77_286
; %bb.281:
	v_add_nc_u32_e32 v35, 6, v0
	s_mov_b32 s1, exec_lo
	s_delay_alu instid0(VALU_DEP_1) | instskip(SKIP_2) | instid1(VALU_DEP_2)
	v_cmp_eq_u32_e32 vcc_lo, 1, v35
	v_dual_cndmask_b32 v32, v3, v5 :: v_dual_cndmask_b32 v33, v2, v4
	v_cmp_eq_u32_e32 vcc_lo, 2, v35
	v_dual_cndmask_b32 v32, v32, v7 :: v_dual_cndmask_b32 v33, v33, v6
	v_cmp_eq_u32_e32 vcc_lo, 3, v35
	s_delay_alu instid0(VALU_DEP_2) | instskip(SKIP_1) | instid1(VALU_DEP_2)
	v_dual_cndmask_b32 v32, v32, v9 :: v_dual_cndmask_b32 v33, v33, v8
	v_cmp_eq_u32_e32 vcc_lo, 4, v35
	v_dual_cndmask_b32 v32, v32, v11 :: v_dual_cndmask_b32 v33, v33, v10
	v_cmp_eq_u32_e32 vcc_lo, 5, v35
	s_delay_alu instid0(VALU_DEP_2) | instskip(SKIP_1) | instid1(VALU_DEP_2)
	;; [unrolled: 5-line block ×4, first 2 shown]
	v_dual_cndmask_b32 v32, v32, v21 :: v_dual_cndmask_b32 v33, v33, v20
	v_cmp_eq_u32_e32 vcc_lo, 10, v35
	v_dual_cndmask_b32 v36, v32, v23 :: v_dual_cndmask_b32 v37, v33, v22
	v_cmp_eq_u32_e32 vcc_lo, 11, v35
	ds_load_b64 v[32:33], v96 offset:48
	v_dual_cndmask_b32 v36, v36, v25 :: v_dual_cndmask_b32 v37, v37, v24
	v_cmp_eq_u32_e32 vcc_lo, 12, v35
	s_delay_alu instid0(VALU_DEP_2) | instskip(SKIP_1) | instid1(VALU_DEP_2)
	v_dual_cndmask_b32 v36, v36, v27 :: v_dual_cndmask_b32 v37, v37, v26
	v_cmp_eq_u32_e32 vcc_lo, 13, v35
	v_dual_cndmask_b32 v36, v36, v29 :: v_dual_cndmask_b32 v35, v37, v28
	s_waitcnt lgkmcnt(0)
	s_delay_alu instid0(VALU_DEP_1)
	v_fma_f64 v[30:31], v[35:36], v[32:33], v[30:31]
	v_cmpx_ne_u32_e32 2, v0
	s_cbranch_execz .LBB77_285
; %bb.282:
	v_add_nc_u32_e32 v32, 7, v0
	s_delay_alu instid0(VALU_DEP_1) | instskip(SKIP_3) | instid1(VALU_DEP_3)
	v_cmp_eq_u32_e32 vcc_lo, 1, v32
	v_cndmask_b32_e32 v33, v3, v5, vcc_lo
	v_cndmask_b32_e32 v35, v2, v4, vcc_lo
	v_cmp_eq_u32_e32 vcc_lo, 2, v32
	v_cndmask_b32_e32 v33, v33, v7, vcc_lo
	s_delay_alu instid0(VALU_DEP_3) | instskip(SKIP_1) | instid1(VALU_DEP_3)
	v_cndmask_b32_e32 v35, v35, v6, vcc_lo
	v_cmp_eq_u32_e32 vcc_lo, 3, v32
	v_cndmask_b32_e32 v33, v33, v9, vcc_lo
	s_delay_alu instid0(VALU_DEP_3) | instskip(SKIP_1) | instid1(VALU_DEP_3)
	;; [unrolled: 4-line block ×6, first 2 shown]
	v_cndmask_b32_e32 v35, v35, v16, vcc_lo
	v_cmp_eq_u32_e32 vcc_lo, 8, v32
	v_cndmask_b32_e32 v33, v33, v19, vcc_lo
	s_delay_alu instid0(VALU_DEP_3) | instskip(SKIP_1) | instid1(VALU_DEP_2)
	v_cndmask_b32_e32 v35, v35, v18, vcc_lo
	v_cmp_eq_u32_e32 vcc_lo, 9, v32
	v_dual_cndmask_b32 v21, v33, v21 :: v_dual_cndmask_b32 v20, v35, v20
	v_cmp_eq_u32_e32 vcc_lo, 10, v32
	s_delay_alu instid0(VALU_DEP_2) | instskip(NEXT) | instid1(VALU_DEP_3)
	v_cndmask_b32_e32 v33, v21, v23, vcc_lo
	v_cndmask_b32_e32 v35, v20, v22, vcc_lo
	v_cmp_eq_u32_e32 vcc_lo, 11, v32
	ds_load_b64 v[20:21], v96 offset:56
	v_cndmask_b32_e32 v33, v33, v25, vcc_lo
	v_cndmask_b32_e32 v35, v35, v24, vcc_lo
	v_cmp_eq_u32_e32 vcc_lo, 12, v32
	s_delay_alu instid0(VALU_DEP_3) | instskip(NEXT) | instid1(VALU_DEP_3)
	v_cndmask_b32_e32 v33, v33, v27, vcc_lo
	v_cndmask_b32_e32 v35, v35, v26, vcc_lo
	v_cmp_eq_u32_e32 vcc_lo, 13, v32
	s_delay_alu instid0(VALU_DEP_2) | instskip(SKIP_1) | instid1(VALU_DEP_1)
	v_dual_cndmask_b32 v32, v35, v28 :: v_dual_cndmask_b32 v33, v33, v29
	s_waitcnt lgkmcnt(0)
	v_fma_f64 v[30:31], v[32:33], v[20:21], v[30:31]
	s_and_saveexec_b32 s9, s0
	s_cbranch_execz .LBB77_284
; %bb.283:
	ds_load_b64 v[20:21], v96 offset:64
	s_waitcnt lgkmcnt(0)
	v_fma_f64 v[30:31], v[18:19], v[20:21], v[30:31]
.LBB77_284:
	s_or_b32 exec_lo, exec_lo, s9
.LBB77_285:
	s_delay_alu instid0(SALU_CYCLE_1)
	s_or_b32 exec_lo, exec_lo, s1
.LBB77_286:
	s_delay_alu instid0(SALU_CYCLE_1)
	s_or_b32 exec_lo, exec_lo, s8
.LBB77_287:
	s_delay_alu instid0(SALU_CYCLE_1)
	s_or_b32 exec_lo, exec_lo, s2
.LBB77_288:
	s_delay_alu instid0(SALU_CYCLE_1)
	s_or_b32 exec_lo, exec_lo, s7
.LBB77_289:
	s_delay_alu instid0(SALU_CYCLE_1)
	s_or_b32 exec_lo, exec_lo, s3
.LBB77_290:
	s_delay_alu instid0(SALU_CYCLE_1)
	s_or_b32 exec_lo, exec_lo, s6
.LBB77_291:
	s_delay_alu instid0(SALU_CYCLE_1)
	s_or_b32 exec_lo, exec_lo, s5
	v_mov_b32_e32 v20, 0
	ds_load_b64 v[20:21], v20 offset:72
	s_waitcnt lgkmcnt(0)
	v_mul_f64 v[20:21], v[30:31], v[20:21]
.LBB77_292:
	s_or_b32 exec_lo, exec_lo, s4
	s_delay_alu instid0(SALU_CYCLE_1)
	s_mov_b32 s1, exec_lo
	ds_store_b64 v96, v[22:23]
	s_waitcnt lgkmcnt(0)
	s_barrier
	buffer_gl0_inv
	v_cmpx_gt_u32_e32 10, v0
	s_cbranch_execz .LBB77_302
; %bb.293:
	v_cmp_ne_u32_e32 vcc_lo, 1, v34
	s_cbranch_vccnz .LBB77_295
; %bb.294:
	v_cmp_eq_u32_e32 vcc_lo, 1, v0
	v_dual_cndmask_b32 v30, v3, v5 :: v_dual_cndmask_b32 v31, v2, v4
	v_cmp_eq_u32_e32 vcc_lo, 2, v0
	s_delay_alu instid0(VALU_DEP_2) | instskip(SKIP_1) | instid1(VALU_DEP_2)
	v_dual_cndmask_b32 v30, v30, v7 :: v_dual_cndmask_b32 v31, v31, v6
	v_cmp_eq_u32_e32 vcc_lo, 3, v0
	v_dual_cndmask_b32 v30, v30, v9 :: v_dual_cndmask_b32 v31, v31, v8
	v_cmp_eq_u32_e32 vcc_lo, 4, v0
	s_delay_alu instid0(VALU_DEP_2) | instskip(SKIP_1) | instid1(VALU_DEP_2)
	v_dual_cndmask_b32 v30, v30, v11 :: v_dual_cndmask_b32 v31, v31, v10
	;; [unrolled: 5-line block ×4, first 2 shown]
	v_cmp_eq_u32_e32 vcc_lo, 9, v0
	v_dual_cndmask_b32 v30, v30, v21 :: v_dual_cndmask_b32 v31, v31, v20
	v_cmp_eq_u32_e32 vcc_lo, 10, v0
	s_delay_alu instid0(VALU_DEP_2) | instskip(SKIP_4) | instid1(VALU_DEP_2)
	v_dual_cndmask_b32 v32, v30, v23 :: v_dual_cndmask_b32 v33, v31, v22
	v_cmp_eq_u32_e32 vcc_lo, 11, v0
	ds_load_b64 v[30:31], v96
	v_dual_cndmask_b32 v32, v32, v25 :: v_dual_cndmask_b32 v33, v33, v24
	v_cmp_eq_u32_e32 vcc_lo, 12, v0
	v_dual_cndmask_b32 v32, v32, v27 :: v_dual_cndmask_b32 v35, v33, v26
	v_cmp_eq_u32_e32 vcc_lo, 13, v0
	s_delay_alu instid0(VALU_DEP_2) | instskip(SKIP_1) | instid1(VALU_DEP_1)
	v_dual_cndmask_b32 v33, v32, v29 :: v_dual_cndmask_b32 v32, v35, v28
	s_waitcnt lgkmcnt(0)
	v_mul_f64 v[30:31], v[32:33], v[30:31]
	s_cbranch_execz .LBB77_296
	s_branch .LBB77_297
.LBB77_295:
                                        ; implicit-def: $vgpr30_vgpr31
.LBB77_296:
	ds_load_b64 v[30:31], v96
.LBB77_297:
	s_mov_b32 s2, exec_lo
	v_cmpx_ne_u32_e32 9, v0
	s_cbranch_execz .LBB77_301
; %bb.298:
	v_lshl_add_u32 v35, v0, 3, 0x78
	v_dual_mov_b32 v33, v1 :: v_dual_mov_b32 v32, v0
	s_mov_b32 s3, 0
.LBB77_299:                             ; =>This Inner Loop Header: Depth=1
	s_delay_alu instid0(VALU_DEP_1) | instskip(NEXT) | instid1(VALU_DEP_2)
	v_add_co_u32 v32, vcc_lo, v32, 1
	v_add_co_ci_u32_e32 v33, vcc_lo, 0, v33, vcc_lo
	s_delay_alu instid0(VALU_DEP_2) | instskip(SKIP_3) | instid1(VALU_DEP_2)
	v_cmp_eq_u32_e32 vcc_lo, 1, v32
	v_cmp_eq_u32_e64 s0, 2, v32
	v_dual_cndmask_b32 v36, v3, v5 :: v_dual_cndmask_b32 v37, v2, v4
	v_cmp_eq_u32_e32 vcc_lo, 3, v32
	v_cndmask_b32_e64 v36, v36, v7, s0
	s_delay_alu instid0(VALU_DEP_3) | instskip(SKIP_1) | instid1(VALU_DEP_2)
	v_cndmask_b32_e64 v37, v37, v6, s0
	v_cmp_eq_u32_e64 s0, 4, v32
	v_dual_cndmask_b32 v36, v36, v9 :: v_dual_cndmask_b32 v37, v37, v8
	v_cmp_eq_u32_e32 vcc_lo, 5, v32
	s_delay_alu instid0(VALU_DEP_2) | instskip(NEXT) | instid1(VALU_DEP_3)
	v_cndmask_b32_e64 v36, v36, v11, s0
	v_cndmask_b32_e64 v37, v37, v10, s0
	v_cmp_eq_u32_e64 s0, 6, v32
	s_delay_alu instid0(VALU_DEP_2) | instskip(SKIP_1) | instid1(VALU_DEP_2)
	v_dual_cndmask_b32 v36, v36, v13 :: v_dual_cndmask_b32 v37, v37, v12
	v_cmp_eq_u32_e32 vcc_lo, 7, v32
	v_cndmask_b32_e64 v36, v36, v15, s0
	s_delay_alu instid0(VALU_DEP_3) | instskip(SKIP_1) | instid1(VALU_DEP_2)
	v_cndmask_b32_e64 v37, v37, v14, s0
	v_cmp_eq_u32_e64 s0, 8, v32
	v_dual_cndmask_b32 v36, v36, v17 :: v_dual_cndmask_b32 v37, v37, v16
	v_cmp_eq_u32_e32 vcc_lo, 9, v32
	s_delay_alu instid0(VALU_DEP_2) | instskip(NEXT) | instid1(VALU_DEP_3)
	v_cndmask_b32_e64 v36, v36, v19, s0
	v_cndmask_b32_e64 v37, v37, v18, s0
	v_cmp_eq_u32_e64 s0, 10, v32
	s_delay_alu instid0(VALU_DEP_2)
	v_dual_cndmask_b32 v38, v36, v21 :: v_dual_cndmask_b32 v39, v37, v20
	ds_load_b64 v[36:37], v35
	v_cmp_eq_u32_e32 vcc_lo, 11, v32
	v_add_nc_u32_e32 v35, 8, v35
	v_cndmask_b32_e64 v38, v38, v23, s0
	v_cndmask_b32_e64 v39, v39, v22, s0
	v_cmp_eq_u32_e64 s0, 12, v32
	s_delay_alu instid0(VALU_DEP_2) | instskip(SKIP_1) | instid1(VALU_DEP_2)
	v_dual_cndmask_b32 v38, v38, v25 :: v_dual_cndmask_b32 v39, v39, v24
	v_cmp_eq_u32_e32 vcc_lo, 13, v32
	v_cndmask_b32_e64 v38, v38, v27, s0
	s_delay_alu instid0(VALU_DEP_3) | instskip(NEXT) | instid1(VALU_DEP_1)
	v_cndmask_b32_e64 v40, v39, v26, s0
	v_dual_cndmask_b32 v39, v38, v29 :: v_dual_cndmask_b32 v38, v40, v28
	v_cmp_lt_u32_e32 vcc_lo, 8, v32
	s_waitcnt lgkmcnt(0)
	s_delay_alu instid0(VALU_DEP_2) | instskip(SKIP_1) | instid1(SALU_CYCLE_1)
	v_fma_f64 v[30:31], v[38:39], v[36:37], v[30:31]
	s_or_b32 s3, vcc_lo, s3
	s_and_not1_b32 exec_lo, exec_lo, s3
	s_cbranch_execnz .LBB77_299
; %bb.300:
	s_or_b32 exec_lo, exec_lo, s3
.LBB77_301:
	s_delay_alu instid0(SALU_CYCLE_1)
	s_or_b32 exec_lo, exec_lo, s2
	v_mov_b32_e32 v22, 0
	ds_load_b64 v[22:23], v22 offset:80
	s_waitcnt lgkmcnt(0)
	v_mul_f64 v[22:23], v[30:31], v[22:23]
.LBB77_302:
	s_or_b32 exec_lo, exec_lo, s1
	s_delay_alu instid0(SALU_CYCLE_1)
	s_mov_b32 s1, exec_lo
	ds_store_b64 v96, v[24:25]
	s_waitcnt lgkmcnt(0)
	s_barrier
	buffer_gl0_inv
	v_cmpx_gt_u32_e32 11, v0
	s_cbranch_execz .LBB77_312
; %bb.303:
	v_cmp_ne_u32_e32 vcc_lo, 1, v34
	s_cbranch_vccnz .LBB77_305
; %bb.304:
	v_cmp_eq_u32_e32 vcc_lo, 1, v0
	v_dual_cndmask_b32 v30, v3, v5 :: v_dual_cndmask_b32 v31, v2, v4
	v_cmp_eq_u32_e32 vcc_lo, 2, v0
	s_delay_alu instid0(VALU_DEP_2) | instskip(SKIP_1) | instid1(VALU_DEP_2)
	v_dual_cndmask_b32 v30, v30, v7 :: v_dual_cndmask_b32 v31, v31, v6
	v_cmp_eq_u32_e32 vcc_lo, 3, v0
	v_dual_cndmask_b32 v30, v30, v9 :: v_dual_cndmask_b32 v31, v31, v8
	v_cmp_eq_u32_e32 vcc_lo, 4, v0
	s_delay_alu instid0(VALU_DEP_2) | instskip(SKIP_1) | instid1(VALU_DEP_2)
	v_dual_cndmask_b32 v30, v30, v11 :: v_dual_cndmask_b32 v31, v31, v10
	;; [unrolled: 5-line block ×4, first 2 shown]
	v_cmp_eq_u32_e32 vcc_lo, 9, v0
	v_dual_cndmask_b32 v30, v30, v21 :: v_dual_cndmask_b32 v31, v31, v20
	v_cmp_eq_u32_e32 vcc_lo, 10, v0
	s_delay_alu instid0(VALU_DEP_2) | instskip(SKIP_4) | instid1(VALU_DEP_2)
	v_dual_cndmask_b32 v32, v30, v23 :: v_dual_cndmask_b32 v33, v31, v22
	v_cmp_eq_u32_e32 vcc_lo, 11, v0
	ds_load_b64 v[30:31], v96
	v_dual_cndmask_b32 v32, v32, v25 :: v_dual_cndmask_b32 v33, v33, v24
	v_cmp_eq_u32_e32 vcc_lo, 12, v0
	v_dual_cndmask_b32 v32, v32, v27 :: v_dual_cndmask_b32 v35, v33, v26
	v_cmp_eq_u32_e32 vcc_lo, 13, v0
	s_delay_alu instid0(VALU_DEP_2) | instskip(SKIP_1) | instid1(VALU_DEP_1)
	v_dual_cndmask_b32 v33, v32, v29 :: v_dual_cndmask_b32 v32, v35, v28
	s_waitcnt lgkmcnt(0)
	v_mul_f64 v[30:31], v[32:33], v[30:31]
	s_cbranch_execz .LBB77_306
	s_branch .LBB77_307
.LBB77_305:
                                        ; implicit-def: $vgpr30_vgpr31
.LBB77_306:
	ds_load_b64 v[30:31], v96
.LBB77_307:
	s_mov_b32 s2, exec_lo
	v_cmpx_ne_u32_e32 10, v0
	s_cbranch_execz .LBB77_311
; %bb.308:
	v_lshl_add_u32 v35, v0, 3, 0x78
	v_dual_mov_b32 v33, v1 :: v_dual_mov_b32 v32, v0
	s_mov_b32 s3, 0
.LBB77_309:                             ; =>This Inner Loop Header: Depth=1
	s_delay_alu instid0(VALU_DEP_1) | instskip(NEXT) | instid1(VALU_DEP_2)
	v_add_co_u32 v32, vcc_lo, v32, 1
	v_add_co_ci_u32_e32 v33, vcc_lo, 0, v33, vcc_lo
	s_delay_alu instid0(VALU_DEP_2) | instskip(SKIP_3) | instid1(VALU_DEP_2)
	v_cmp_eq_u32_e32 vcc_lo, 1, v32
	v_cmp_eq_u32_e64 s0, 2, v32
	v_dual_cndmask_b32 v36, v3, v5 :: v_dual_cndmask_b32 v37, v2, v4
	v_cmp_eq_u32_e32 vcc_lo, 3, v32
	v_cndmask_b32_e64 v36, v36, v7, s0
	s_delay_alu instid0(VALU_DEP_3) | instskip(SKIP_1) | instid1(VALU_DEP_2)
	v_cndmask_b32_e64 v37, v37, v6, s0
	v_cmp_eq_u32_e64 s0, 4, v32
	v_dual_cndmask_b32 v36, v36, v9 :: v_dual_cndmask_b32 v37, v37, v8
	v_cmp_eq_u32_e32 vcc_lo, 5, v32
	s_delay_alu instid0(VALU_DEP_2) | instskip(NEXT) | instid1(VALU_DEP_3)
	v_cndmask_b32_e64 v36, v36, v11, s0
	v_cndmask_b32_e64 v37, v37, v10, s0
	v_cmp_eq_u32_e64 s0, 6, v32
	s_delay_alu instid0(VALU_DEP_2) | instskip(SKIP_1) | instid1(VALU_DEP_2)
	v_dual_cndmask_b32 v36, v36, v13 :: v_dual_cndmask_b32 v37, v37, v12
	v_cmp_eq_u32_e32 vcc_lo, 7, v32
	v_cndmask_b32_e64 v36, v36, v15, s0
	s_delay_alu instid0(VALU_DEP_3) | instskip(SKIP_1) | instid1(VALU_DEP_2)
	v_cndmask_b32_e64 v37, v37, v14, s0
	v_cmp_eq_u32_e64 s0, 8, v32
	v_dual_cndmask_b32 v36, v36, v17 :: v_dual_cndmask_b32 v37, v37, v16
	v_cmp_eq_u32_e32 vcc_lo, 9, v32
	s_delay_alu instid0(VALU_DEP_2) | instskip(NEXT) | instid1(VALU_DEP_3)
	v_cndmask_b32_e64 v36, v36, v19, s0
	v_cndmask_b32_e64 v37, v37, v18, s0
	v_cmp_eq_u32_e64 s0, 10, v32
	s_delay_alu instid0(VALU_DEP_2)
	v_dual_cndmask_b32 v38, v36, v21 :: v_dual_cndmask_b32 v39, v37, v20
	ds_load_b64 v[36:37], v35
	v_cmp_eq_u32_e32 vcc_lo, 11, v32
	v_add_nc_u32_e32 v35, 8, v35
	v_cndmask_b32_e64 v38, v38, v23, s0
	v_cndmask_b32_e64 v39, v39, v22, s0
	v_cmp_eq_u32_e64 s0, 12, v32
	s_delay_alu instid0(VALU_DEP_2) | instskip(SKIP_1) | instid1(VALU_DEP_2)
	v_dual_cndmask_b32 v38, v38, v25 :: v_dual_cndmask_b32 v39, v39, v24
	v_cmp_eq_u32_e32 vcc_lo, 13, v32
	v_cndmask_b32_e64 v38, v38, v27, s0
	s_delay_alu instid0(VALU_DEP_3) | instskip(NEXT) | instid1(VALU_DEP_1)
	v_cndmask_b32_e64 v40, v39, v26, s0
	v_dual_cndmask_b32 v39, v38, v29 :: v_dual_cndmask_b32 v38, v40, v28
	v_cmp_lt_u32_e32 vcc_lo, 9, v32
	s_waitcnt lgkmcnt(0)
	s_delay_alu instid0(VALU_DEP_2) | instskip(SKIP_1) | instid1(SALU_CYCLE_1)
	v_fma_f64 v[30:31], v[38:39], v[36:37], v[30:31]
	s_or_b32 s3, vcc_lo, s3
	s_and_not1_b32 exec_lo, exec_lo, s3
	s_cbranch_execnz .LBB77_309
; %bb.310:
	s_or_b32 exec_lo, exec_lo, s3
.LBB77_311:
	s_delay_alu instid0(SALU_CYCLE_1)
	s_or_b32 exec_lo, exec_lo, s2
	v_mov_b32_e32 v24, 0
	ds_load_b64 v[24:25], v24 offset:88
	s_waitcnt lgkmcnt(0)
	v_mul_f64 v[24:25], v[30:31], v[24:25]
.LBB77_312:
	s_or_b32 exec_lo, exec_lo, s1
	v_cmp_gt_u32_e64 s0, 12, v0
	ds_store_b64 v96, v[26:27]
	s_waitcnt lgkmcnt(0)
	s_barrier
	buffer_gl0_inv
	s_and_saveexec_b32 s2, s0
	s_cbranch_execz .LBB77_322
; %bb.313:
	v_cmp_ne_u32_e32 vcc_lo, 1, v34
	s_cbranch_vccnz .LBB77_315
; %bb.314:
	v_cmp_eq_u32_e32 vcc_lo, 1, v0
	v_dual_cndmask_b32 v30, v3, v5 :: v_dual_cndmask_b32 v31, v2, v4
	v_cmp_eq_u32_e32 vcc_lo, 2, v0
	s_delay_alu instid0(VALU_DEP_2) | instskip(SKIP_1) | instid1(VALU_DEP_2)
	v_dual_cndmask_b32 v30, v30, v7 :: v_dual_cndmask_b32 v31, v31, v6
	v_cmp_eq_u32_e32 vcc_lo, 3, v0
	v_dual_cndmask_b32 v30, v30, v9 :: v_dual_cndmask_b32 v31, v31, v8
	v_cmp_eq_u32_e32 vcc_lo, 4, v0
	s_delay_alu instid0(VALU_DEP_2) | instskip(SKIP_1) | instid1(VALU_DEP_2)
	v_dual_cndmask_b32 v30, v30, v11 :: v_dual_cndmask_b32 v31, v31, v10
	;; [unrolled: 5-line block ×4, first 2 shown]
	v_cmp_eq_u32_e32 vcc_lo, 9, v0
	v_dual_cndmask_b32 v30, v30, v21 :: v_dual_cndmask_b32 v31, v31, v20
	v_cmp_eq_u32_e32 vcc_lo, 10, v0
	s_delay_alu instid0(VALU_DEP_2) | instskip(SKIP_4) | instid1(VALU_DEP_2)
	v_dual_cndmask_b32 v32, v30, v23 :: v_dual_cndmask_b32 v33, v31, v22
	v_cmp_eq_u32_e32 vcc_lo, 11, v0
	ds_load_b64 v[30:31], v96
	v_dual_cndmask_b32 v32, v32, v25 :: v_dual_cndmask_b32 v33, v33, v24
	v_cmp_eq_u32_e32 vcc_lo, 12, v0
	v_dual_cndmask_b32 v32, v32, v27 :: v_dual_cndmask_b32 v35, v33, v26
	v_cmp_eq_u32_e32 vcc_lo, 13, v0
	s_delay_alu instid0(VALU_DEP_2) | instskip(SKIP_1) | instid1(VALU_DEP_1)
	v_dual_cndmask_b32 v33, v32, v29 :: v_dual_cndmask_b32 v32, v35, v28
	s_waitcnt lgkmcnt(0)
	v_mul_f64 v[30:31], v[32:33], v[30:31]
	s_cbranch_execz .LBB77_316
	s_branch .LBB77_317
.LBB77_315:
                                        ; implicit-def: $vgpr30_vgpr31
.LBB77_316:
	ds_load_b64 v[30:31], v96
.LBB77_317:
	s_mov_b32 s3, exec_lo
	v_cmpx_ne_u32_e32 11, v0
	s_cbranch_execz .LBB77_321
; %bb.318:
	v_lshl_add_u32 v35, v0, 3, 0x78
	v_dual_mov_b32 v33, v1 :: v_dual_mov_b32 v32, v0
	s_mov_b32 s4, 0
.LBB77_319:                             ; =>This Inner Loop Header: Depth=1
	s_delay_alu instid0(VALU_DEP_1) | instskip(NEXT) | instid1(VALU_DEP_2)
	v_add_co_u32 v32, vcc_lo, v32, 1
	v_add_co_ci_u32_e32 v33, vcc_lo, 0, v33, vcc_lo
	s_delay_alu instid0(VALU_DEP_2) | instskip(SKIP_3) | instid1(VALU_DEP_2)
	v_cmp_eq_u32_e32 vcc_lo, 1, v32
	v_cmp_eq_u32_e64 s1, 2, v32
	v_dual_cndmask_b32 v36, v3, v5 :: v_dual_cndmask_b32 v37, v2, v4
	v_cmp_eq_u32_e32 vcc_lo, 3, v32
	v_cndmask_b32_e64 v36, v36, v7, s1
	s_delay_alu instid0(VALU_DEP_3) | instskip(SKIP_1) | instid1(VALU_DEP_2)
	v_cndmask_b32_e64 v37, v37, v6, s1
	v_cmp_eq_u32_e64 s1, 4, v32
	v_dual_cndmask_b32 v36, v36, v9 :: v_dual_cndmask_b32 v37, v37, v8
	v_cmp_eq_u32_e32 vcc_lo, 5, v32
	s_delay_alu instid0(VALU_DEP_2) | instskip(NEXT) | instid1(VALU_DEP_3)
	v_cndmask_b32_e64 v36, v36, v11, s1
	v_cndmask_b32_e64 v37, v37, v10, s1
	v_cmp_eq_u32_e64 s1, 6, v32
	s_delay_alu instid0(VALU_DEP_2) | instskip(SKIP_1) | instid1(VALU_DEP_2)
	v_dual_cndmask_b32 v36, v36, v13 :: v_dual_cndmask_b32 v37, v37, v12
	v_cmp_eq_u32_e32 vcc_lo, 7, v32
	v_cndmask_b32_e64 v36, v36, v15, s1
	s_delay_alu instid0(VALU_DEP_3) | instskip(SKIP_1) | instid1(VALU_DEP_2)
	v_cndmask_b32_e64 v37, v37, v14, s1
	v_cmp_eq_u32_e64 s1, 8, v32
	v_dual_cndmask_b32 v36, v36, v17 :: v_dual_cndmask_b32 v37, v37, v16
	v_cmp_eq_u32_e32 vcc_lo, 9, v32
	s_delay_alu instid0(VALU_DEP_2) | instskip(NEXT) | instid1(VALU_DEP_3)
	v_cndmask_b32_e64 v36, v36, v19, s1
	v_cndmask_b32_e64 v37, v37, v18, s1
	v_cmp_eq_u32_e64 s1, 10, v32
	s_delay_alu instid0(VALU_DEP_2)
	v_dual_cndmask_b32 v38, v36, v21 :: v_dual_cndmask_b32 v39, v37, v20
	ds_load_b64 v[36:37], v35
	v_cmp_eq_u32_e32 vcc_lo, 11, v32
	v_add_nc_u32_e32 v35, 8, v35
	v_cndmask_b32_e64 v38, v38, v23, s1
	v_cndmask_b32_e64 v39, v39, v22, s1
	v_cmp_eq_u32_e64 s1, 12, v32
	s_delay_alu instid0(VALU_DEP_2) | instskip(SKIP_1) | instid1(VALU_DEP_2)
	v_dual_cndmask_b32 v38, v38, v25 :: v_dual_cndmask_b32 v39, v39, v24
	v_cmp_eq_u32_e32 vcc_lo, 13, v32
	v_cndmask_b32_e64 v38, v38, v27, s1
	s_delay_alu instid0(VALU_DEP_3) | instskip(NEXT) | instid1(VALU_DEP_1)
	v_cndmask_b32_e64 v40, v39, v26, s1
	v_dual_cndmask_b32 v39, v38, v29 :: v_dual_cndmask_b32 v38, v40, v28
	v_cmp_lt_u32_e32 vcc_lo, 10, v32
	s_waitcnt lgkmcnt(0)
	s_delay_alu instid0(VALU_DEP_2) | instskip(SKIP_1) | instid1(SALU_CYCLE_1)
	v_fma_f64 v[30:31], v[38:39], v[36:37], v[30:31]
	s_or_b32 s4, vcc_lo, s4
	s_and_not1_b32 exec_lo, exec_lo, s4
	s_cbranch_execnz .LBB77_319
; %bb.320:
	s_or_b32 exec_lo, exec_lo, s4
.LBB77_321:
	s_delay_alu instid0(SALU_CYCLE_1)
	s_or_b32 exec_lo, exec_lo, s3
	v_mov_b32_e32 v26, 0
	ds_load_b64 v[26:27], v26 offset:96
	s_waitcnt lgkmcnt(0)
	v_mul_f64 v[26:27], v[30:31], v[26:27]
.LBB77_322:
	s_or_b32 exec_lo, exec_lo, s2
	s_delay_alu instid0(SALU_CYCLE_1)
	s_mov_b32 s1, exec_lo
	ds_store_b64 v96, v[28:29]
	s_waitcnt lgkmcnt(0)
	s_barrier
	buffer_gl0_inv
	v_cmpx_ne_u32_e32 13, v0
	s_cbranch_execz .LBB77_332
; %bb.323:
	v_cmp_ne_u32_e32 vcc_lo, 1, v34
	s_cbranch_vccnz .LBB77_325
; %bb.324:
	v_cmp_eq_u32_e32 vcc_lo, 1, v0
	v_dual_cndmask_b32 v30, v3, v5 :: v_dual_cndmask_b32 v31, v2, v4
	v_cmp_eq_u32_e32 vcc_lo, 2, v0
	s_delay_alu instid0(VALU_DEP_2) | instskip(SKIP_1) | instid1(VALU_DEP_2)
	v_dual_cndmask_b32 v30, v30, v7 :: v_dual_cndmask_b32 v31, v31, v6
	v_cmp_eq_u32_e32 vcc_lo, 3, v0
	v_dual_cndmask_b32 v30, v30, v9 :: v_dual_cndmask_b32 v31, v31, v8
	v_cmp_eq_u32_e32 vcc_lo, 4, v0
	s_delay_alu instid0(VALU_DEP_2) | instskip(SKIP_1) | instid1(VALU_DEP_2)
	v_dual_cndmask_b32 v30, v30, v11 :: v_dual_cndmask_b32 v31, v31, v10
	;; [unrolled: 5-line block ×4, first 2 shown]
	v_cmp_eq_u32_e32 vcc_lo, 9, v0
	v_dual_cndmask_b32 v30, v30, v21 :: v_dual_cndmask_b32 v31, v31, v20
	v_cmp_eq_u32_e32 vcc_lo, 10, v0
	s_delay_alu instid0(VALU_DEP_2) | instskip(SKIP_4) | instid1(VALU_DEP_2)
	v_dual_cndmask_b32 v32, v30, v23 :: v_dual_cndmask_b32 v33, v31, v22
	v_cmp_eq_u32_e32 vcc_lo, 11, v0
	ds_load_b64 v[30:31], v96
	v_dual_cndmask_b32 v32, v32, v25 :: v_dual_cndmask_b32 v33, v33, v24
	v_cmp_eq_u32_e32 vcc_lo, 12, v0
	v_cndmask_b32_e32 v32, v32, v27, vcc_lo
	s_delay_alu instid0(VALU_DEP_3) | instskip(SKIP_1) | instid1(VALU_DEP_2)
	v_cndmask_b32_e32 v34, v33, v26, vcc_lo
	v_cmp_eq_u32_e32 vcc_lo, 13, v0
	v_dual_cndmask_b32 v33, v32, v29 :: v_dual_cndmask_b32 v32, v34, v28
	s_waitcnt lgkmcnt(0)
	s_delay_alu instid0(VALU_DEP_1)
	v_mul_f64 v[30:31], v[32:33], v[30:31]
	s_cbranch_execz .LBB77_326
	s_branch .LBB77_327
.LBB77_325:
                                        ; implicit-def: $vgpr30_vgpr31
.LBB77_326:
	ds_load_b64 v[30:31], v96
.LBB77_327:
	s_and_saveexec_b32 s2, s0
	s_cbranch_execz .LBB77_331
; %bb.328:
	v_lshl_add_u32 v32, v0, 3, 0x78
	s_mov_b32 s3, 0
.LBB77_329:                             ; =>This Inner Loop Header: Depth=1
	v_add_co_u32 v0, vcc_lo, v0, 1
	v_add_co_ci_u32_e32 v1, vcc_lo, 0, v1, vcc_lo
	s_delay_alu instid0(VALU_DEP_2) | instskip(SKIP_3) | instid1(VALU_DEP_2)
	v_cmp_eq_u32_e32 vcc_lo, 1, v0
	v_cmp_eq_u32_e64 s0, 2, v0
	v_dual_cndmask_b32 v33, v3, v5 :: v_dual_cndmask_b32 v34, v2, v4
	v_cmp_eq_u32_e32 vcc_lo, 3, v0
	v_cndmask_b32_e64 v33, v33, v7, s0
	s_delay_alu instid0(VALU_DEP_3) | instskip(SKIP_1) | instid1(VALU_DEP_2)
	v_cndmask_b32_e64 v34, v34, v6, s0
	v_cmp_eq_u32_e64 s0, 4, v0
	v_dual_cndmask_b32 v33, v33, v9 :: v_dual_cndmask_b32 v34, v34, v8
	v_cmp_eq_u32_e32 vcc_lo, 5, v0
	s_delay_alu instid0(VALU_DEP_2) | instskip(NEXT) | instid1(VALU_DEP_3)
	v_cndmask_b32_e64 v33, v33, v11, s0
	v_cndmask_b32_e64 v34, v34, v10, s0
	v_cmp_eq_u32_e64 s0, 6, v0
	s_delay_alu instid0(VALU_DEP_2) | instskip(SKIP_1) | instid1(VALU_DEP_2)
	v_dual_cndmask_b32 v33, v33, v13 :: v_dual_cndmask_b32 v34, v34, v12
	v_cmp_eq_u32_e32 vcc_lo, 7, v0
	v_cndmask_b32_e64 v33, v33, v15, s0
	s_delay_alu instid0(VALU_DEP_3) | instskip(SKIP_1) | instid1(VALU_DEP_2)
	v_cndmask_b32_e64 v34, v34, v14, s0
	v_cmp_eq_u32_e64 s0, 8, v0
	v_dual_cndmask_b32 v33, v33, v17 :: v_dual_cndmask_b32 v34, v34, v16
	v_cmp_eq_u32_e32 vcc_lo, 9, v0
	s_delay_alu instid0(VALU_DEP_2) | instskip(NEXT) | instid1(VALU_DEP_3)
	v_cndmask_b32_e64 v33, v33, v19, s0
	v_cndmask_b32_e64 v34, v34, v18, s0
	v_cmp_eq_u32_e64 s0, 10, v0
	s_delay_alu instid0(VALU_DEP_2)
	v_dual_cndmask_b32 v35, v33, v21 :: v_dual_cndmask_b32 v36, v34, v20
	ds_load_b64 v[33:34], v32
	v_cmp_eq_u32_e32 vcc_lo, 11, v0
	v_add_nc_u32_e32 v32, 8, v32
	v_cndmask_b32_e64 v35, v35, v23, s0
	v_cndmask_b32_e64 v36, v36, v22, s0
	v_cmp_eq_u32_e64 s0, 12, v0
	s_delay_alu instid0(VALU_DEP_2) | instskip(SKIP_1) | instid1(VALU_DEP_2)
	v_dual_cndmask_b32 v35, v35, v25 :: v_dual_cndmask_b32 v36, v36, v24
	v_cmp_eq_u32_e32 vcc_lo, 13, v0
	v_cndmask_b32_e64 v35, v35, v27, s0
	s_delay_alu instid0(VALU_DEP_3) | instskip(NEXT) | instid1(VALU_DEP_1)
	v_cndmask_b32_e64 v37, v36, v26, s0
	v_dual_cndmask_b32 v36, v35, v29 :: v_dual_cndmask_b32 v35, v37, v28
	v_cmp_lt_u32_e32 vcc_lo, 11, v0
	s_waitcnt lgkmcnt(0)
	s_delay_alu instid0(VALU_DEP_2) | instskip(SKIP_1) | instid1(SALU_CYCLE_1)
	v_fma_f64 v[30:31], v[35:36], v[33:34], v[30:31]
	s_or_b32 s3, vcc_lo, s3
	s_and_not1_b32 exec_lo, exec_lo, s3
	s_cbranch_execnz .LBB77_329
; %bb.330:
	s_or_b32 exec_lo, exec_lo, s3
.LBB77_331:
	s_delay_alu instid0(SALU_CYCLE_1)
	s_or_b32 exec_lo, exec_lo, s2
	v_mov_b32_e32 v0, 0
	ds_load_b64 v[0:1], v0 offset:104
	s_waitcnt lgkmcnt(0)
	v_mul_f64 v[28:29], v[30:31], v[0:1]
.LBB77_332:
	s_or_b32 exec_lo, exec_lo, s1
	v_dual_mov_b32 v65, v33 :: v_dual_mov_b32 v64, v32
	v_dual_mov_b32 v63, v31 :: v_dual_mov_b32 v62, v30
	s_delay_alu instid0(VALU_DEP_3)
	v_dual_mov_b32 v61, v29 :: v_dual_mov_b32 v60, v28
	v_dual_mov_b32 v59, v27 :: v_dual_mov_b32 v58, v26
	;; [unrolled: 1-line block ×14, first 2 shown]
.LBB77_333:
	s_clause 0xd
	global_store_b64 v[72:73], v[34:35], off
	global_store_b64 v[74:75], v[36:37], off
	;; [unrolled: 1-line block ×14, first 2 shown]
.LBB77_334:
	s_nop 0
	s_sendmsg sendmsg(MSG_DEALLOC_VGPRS)
	s_endpgm
	.section	.rodata,"a",@progbits
	.p2align	6, 0x0
	.amdhsa_kernel _ZN9rocsolver6v33100L18trti2_kernel_smallILi14EdPKPdEEv13rocblas_fill_17rocblas_diagonal_T1_iil
		.amdhsa_group_segment_fixed_size 224
		.amdhsa_private_segment_fixed_size 0
		.amdhsa_kernarg_size 32
		.amdhsa_user_sgpr_count 15
		.amdhsa_user_sgpr_dispatch_ptr 0
		.amdhsa_user_sgpr_queue_ptr 0
		.amdhsa_user_sgpr_kernarg_segment_ptr 1
		.amdhsa_user_sgpr_dispatch_id 0
		.amdhsa_user_sgpr_private_segment_size 0
		.amdhsa_wavefront_size32 1
		.amdhsa_uses_dynamic_stack 0
		.amdhsa_enable_private_segment 0
		.amdhsa_system_sgpr_workgroup_id_x 1
		.amdhsa_system_sgpr_workgroup_id_y 0
		.amdhsa_system_sgpr_workgroup_id_z 0
		.amdhsa_system_sgpr_workgroup_info 0
		.amdhsa_system_vgpr_workitem_id 0
		.amdhsa_next_free_vgpr 110
		.amdhsa_next_free_sgpr 20
		.amdhsa_reserve_vcc 1
		.amdhsa_float_round_mode_32 0
		.amdhsa_float_round_mode_16_64 0
		.amdhsa_float_denorm_mode_32 3
		.amdhsa_float_denorm_mode_16_64 3
		.amdhsa_dx10_clamp 1
		.amdhsa_ieee_mode 1
		.amdhsa_fp16_overflow 0
		.amdhsa_workgroup_processor_mode 1
		.amdhsa_memory_ordered 1
		.amdhsa_forward_progress 0
		.amdhsa_shared_vgpr_count 0
		.amdhsa_exception_fp_ieee_invalid_op 0
		.amdhsa_exception_fp_denorm_src 0
		.amdhsa_exception_fp_ieee_div_zero 0
		.amdhsa_exception_fp_ieee_overflow 0
		.amdhsa_exception_fp_ieee_underflow 0
		.amdhsa_exception_fp_ieee_inexact 0
		.amdhsa_exception_int_div_zero 0
	.end_amdhsa_kernel
	.section	.text._ZN9rocsolver6v33100L18trti2_kernel_smallILi14EdPKPdEEv13rocblas_fill_17rocblas_diagonal_T1_iil,"axG",@progbits,_ZN9rocsolver6v33100L18trti2_kernel_smallILi14EdPKPdEEv13rocblas_fill_17rocblas_diagonal_T1_iil,comdat
.Lfunc_end77:
	.size	_ZN9rocsolver6v33100L18trti2_kernel_smallILi14EdPKPdEEv13rocblas_fill_17rocblas_diagonal_T1_iil, .Lfunc_end77-_ZN9rocsolver6v33100L18trti2_kernel_smallILi14EdPKPdEEv13rocblas_fill_17rocblas_diagonal_T1_iil
                                        ; -- End function
	.section	.AMDGPU.csdata,"",@progbits
; Kernel info:
; codeLenInByte = 23620
; NumSgprs: 22
; NumVgprs: 110
; ScratchSize: 0
; MemoryBound: 0
; FloatMode: 240
; IeeeMode: 1
; LDSByteSize: 224 bytes/workgroup (compile time only)
; SGPRBlocks: 2
; VGPRBlocks: 13
; NumSGPRsForWavesPerEU: 22
; NumVGPRsForWavesPerEU: 110
; Occupancy: 12
; WaveLimiterHint : 1
; COMPUTE_PGM_RSRC2:SCRATCH_EN: 0
; COMPUTE_PGM_RSRC2:USER_SGPR: 15
; COMPUTE_PGM_RSRC2:TRAP_HANDLER: 0
; COMPUTE_PGM_RSRC2:TGID_X_EN: 1
; COMPUTE_PGM_RSRC2:TGID_Y_EN: 0
; COMPUTE_PGM_RSRC2:TGID_Z_EN: 0
; COMPUTE_PGM_RSRC2:TIDIG_COMP_CNT: 0
	.section	.text._ZN9rocsolver6v33100L18trti2_kernel_smallILi15EdPKPdEEv13rocblas_fill_17rocblas_diagonal_T1_iil,"axG",@progbits,_ZN9rocsolver6v33100L18trti2_kernel_smallILi15EdPKPdEEv13rocblas_fill_17rocblas_diagonal_T1_iil,comdat
	.globl	_ZN9rocsolver6v33100L18trti2_kernel_smallILi15EdPKPdEEv13rocblas_fill_17rocblas_diagonal_T1_iil ; -- Begin function _ZN9rocsolver6v33100L18trti2_kernel_smallILi15EdPKPdEEv13rocblas_fill_17rocblas_diagonal_T1_iil
	.p2align	8
	.type	_ZN9rocsolver6v33100L18trti2_kernel_smallILi15EdPKPdEEv13rocblas_fill_17rocblas_diagonal_T1_iil,@function
_ZN9rocsolver6v33100L18trti2_kernel_smallILi15EdPKPdEEv13rocblas_fill_17rocblas_diagonal_T1_iil: ; @_ZN9rocsolver6v33100L18trti2_kernel_smallILi15EdPKPdEEv13rocblas_fill_17rocblas_diagonal_T1_iil
; %bb.0:
	s_mov_b32 s2, exec_lo
	v_cmpx_gt_u32_e32 15, v0
	s_cbranch_execz .LBB78_360
; %bb.1:
	s_clause 0x1
	s_load_b64 s[2:3], s[0:1], 0x10
	s_load_b128 s[16:19], s[0:1], 0x0
	s_mov_b32 s4, s15
	s_ashr_i32 s5, s15, 31
	v_lshlrev_b32_e32 v36, 3, v0
	s_lshl_b64 s[0:1], s[4:5], 3
	v_mov_b32_e32 v34, 0
	v_mov_b32_e32 v35, 0xbff00000
	s_waitcnt lgkmcnt(0)
	s_ashr_i32 s5, s2, 31
	s_add_u32 s0, s18, s0
	s_addc_u32 s1, s19, s1
	v_add3_u32 v1, s3, s3, v0
	s_load_b64 s[0:1], s[0:1], 0x0
	s_mov_b32 s4, s2
	s_mov_b32 s6, s3
	s_lshl_b64 s[4:5], s[4:5], 3
	v_add_nc_u32_e32 v3, s3, v1
	v_ashrrev_i32_e32 v2, 31, v1
	s_delay_alu instid0(VALU_DEP_2) | instskip(SKIP_1) | instid1(VALU_DEP_3)
	v_add_nc_u32_e32 v5, s3, v3
	v_ashrrev_i32_e32 v4, 31, v3
	v_lshlrev_b64 v[1:2], 3, v[1:2]
	s_delay_alu instid0(VALU_DEP_3) | instskip(NEXT) | instid1(VALU_DEP_3)
	v_add_nc_u32_e32 v7, s3, v5
	v_lshlrev_b64 v[3:4], 3, v[3:4]
	v_ashrrev_i32_e32 v6, 31, v5
	s_delay_alu instid0(VALU_DEP_3)
	v_add_nc_u32_e32 v9, s3, v7
	s_waitcnt lgkmcnt(0)
	s_add_u32 s0, s0, s4
	s_addc_u32 s1, s1, s5
	v_add_co_u32 v70, vcc_lo, s0, v1
	v_ashrrev_i32_e32 v8, 31, v7
	v_add_co_u32 v72, s2, s0, v36
	s_ashr_i32 s7, s3, 31
	v_add_co_ci_u32_e32 v71, vcc_lo, s1, v2, vcc_lo
	v_lshlrev_b64 v[5:6], 3, v[5:6]
	v_add_nc_u32_e32 v14, s3, v9
	v_add_co_ci_u32_e64 v73, null, s1, 0, s2
	v_add_co_u32 v68, vcc_lo, s0, v3
	s_lshl_b64 s[4:5], s[6:7], 3
	v_ashrrev_i32_e32 v10, 31, v9
	v_add_co_ci_u32_e32 v69, vcc_lo, s1, v4, vcc_lo
	v_lshlrev_b64 v[12:13], 3, v[7:8]
	v_add_co_u32 v74, vcc_lo, v72, s4
	v_add_co_ci_u32_e32 v75, vcc_lo, s5, v73, vcc_lo
	v_add_nc_u32_e32 v16, s3, v14
	v_add_co_u32 v66, vcc_lo, s0, v5
	v_ashrrev_i32_e32 v15, 31, v14
	v_lshlrev_b64 v[1:2], 3, v[9:10]
	v_add_co_ci_u32_e32 v67, vcc_lo, s1, v6, vcc_lo
	v_add_co_u32 v78, vcc_lo, s0, v12
	v_ashrrev_i32_e32 v17, 31, v16
	v_add_co_ci_u32_e32 v79, vcc_lo, s1, v13, vcc_lo
	v_lshlrev_b64 v[12:13], 3, v[14:15]
	v_add_nc_u32_e32 v14, s3, v16
	v_add_co_u32 v76, vcc_lo, s0, v1
	v_add_co_ci_u32_e32 v77, vcc_lo, s1, v2, vcc_lo
	v_lshlrev_b64 v[1:2], 3, v[16:17]
	s_delay_alu instid0(VALU_DEP_4)
	v_add_nc_u32_e32 v20, s3, v14
	v_add_co_u32 v80, vcc_lo, s0, v12
	v_ashrrev_i32_e32 v15, 31, v14
	v_add_co_ci_u32_e32 v81, vcc_lo, s1, v13, vcc_lo
	v_add_co_u32 v82, vcc_lo, s0, v1
	v_add_nc_u32_e32 v22, s3, v20
	v_add_co_ci_u32_e32 v83, vcc_lo, s1, v2, vcc_lo
	v_lshlrev_b64 v[1:2], 3, v[14:15]
	v_ashrrev_i32_e32 v21, 31, v20
	s_delay_alu instid0(VALU_DEP_4)
	v_ashrrev_i32_e32 v23, 31, v22
	v_add_nc_u32_e32 v24, s3, v22
	s_clause 0x7
	global_load_b64 v[4:5], v[74:75], off
	global_load_b64 v[6:7], v[70:71], off
	;; [unrolled: 1-line block ×8, first 2 shown]
	v_lshlrev_b64 v[20:21], 3, v[20:21]
	v_add_co_u32 v84, vcc_lo, s0, v1
	v_add_co_ci_u32_e32 v85, vcc_lo, s1, v2, vcc_lo
	v_lshlrev_b64 v[1:2], 3, v[22:23]
	v_ashrrev_i32_e32 v25, 31, v24
	v_add_nc_u32_e32 v22, s3, v24
	v_add_co_u32 v86, vcc_lo, s0, v20
	v_add_co_ci_u32_e32 v87, vcc_lo, s1, v21, vcc_lo
	s_delay_alu instid0(VALU_DEP_4) | instskip(NEXT) | instid1(VALU_DEP_4)
	v_lshlrev_b64 v[20:21], 3, v[24:25]
	v_add_nc_u32_e32 v24, s3, v22
	v_ashrrev_i32_e32 v23, 31, v22
	v_add_co_u32 v94, vcc_lo, s0, v1
	v_add_co_ci_u32_e32 v95, vcc_lo, s1, v2, vcc_lo
	s_delay_alu instid0(VALU_DEP_4) | instskip(NEXT) | instid1(VALU_DEP_4)
	v_ashrrev_i32_e32 v25, 31, v24
	v_lshlrev_b64 v[1:2], 3, v[22:23]
	v_add_co_u32 v90, vcc_lo, s0, v20
	v_add_co_ci_u32_e32 v91, vcc_lo, s1, v21, vcc_lo
	s_delay_alu instid0(VALU_DEP_4) | instskip(NEXT) | instid1(VALU_DEP_4)
	v_lshlrev_b64 v[20:21], 3, v[24:25]
	v_add_co_u32 v92, vcc_lo, s0, v1
	v_add_co_ci_u32_e32 v93, vcc_lo, s1, v2, vcc_lo
	v_mov_b32_e32 v1, 0
	s_delay_alu instid0(VALU_DEP_4)
	v_add_co_u32 v88, vcc_lo, s0, v20
	v_add_co_ci_u32_e32 v89, vcc_lo, s1, v21, vcc_lo
	s_clause 0x6
	global_load_b64 v[20:21], v[84:85], off
	global_load_b64 v[22:23], v[86:87], off
	;; [unrolled: 1-line block ×5, first 2 shown]
	global_load_b64 v[2:3], v36, s[0:1]
	global_load_b64 v[30:31], v[88:89], off
	v_cmp_eq_u32_e64 s0, 0, v0
	s_cmpk_lg_i32 s17, 0x84
	s_cselect_b32 s15, -1, 0
	s_cmpk_eq_i32 s17, 0x84
	s_cbranch_scc1 .LBB78_3
; %bb.2:
	v_cmp_eq_u32_e64 s1, 1, v0
	v_cmp_eq_u32_e64 s2, 2, v0
	;; [unrolled: 1-line block ×5, first 2 shown]
	s_waitcnt vmcnt(1)
	v_cndmask_b32_e64 v32, v3, v5, s1
	v_cndmask_b32_e64 v33, v2, v4, s1
	v_cmp_eq_u32_e64 s6, 6, v0
	v_cmp_eq_u32_e64 s7, 7, v0
	v_cmp_eq_u32_e64 s8, 8, v0
	v_cndmask_b32_e64 v32, v32, v7, s2
	v_cndmask_b32_e64 v33, v33, v6, s2
	v_cmp_eq_u32_e64 s9, 9, v0
	v_cmp_eq_u32_e64 s10, 10, v0
	v_cmp_eq_u32_e64 s11, 11, v0
	;; [unrolled: 5-line block ×3, first 2 shown]
	v_cndmask_b32_e64 v32, v32, v11, s4
	v_cndmask_b32_e64 v33, v33, v10, s4
	s_delay_alu instid0(VALU_DEP_2) | instskip(NEXT) | instid1(VALU_DEP_2)
	v_cndmask_b32_e64 v32, v32, v13, s5
	v_cndmask_b32_e64 v33, v33, v12, s5
	s_delay_alu instid0(VALU_DEP_2) | instskip(NEXT) | instid1(VALU_DEP_2)
	v_cndmask_b32_e64 v32, v32, v15, s6
	v_cndmask_b32_e64 v33, v33, v14, s6
	s_delay_alu instid0(VALU_DEP_2) | instskip(NEXT) | instid1(VALU_DEP_2)
	v_cndmask_b32_e64 v32, v32, v17, s7
	v_cndmask_b32_e64 v33, v33, v16, s7
	s_delay_alu instid0(VALU_DEP_2) | instskip(NEXT) | instid1(VALU_DEP_2)
	v_cndmask_b32_e64 v32, v32, v19, s8
	v_cndmask_b32_e64 v33, v33, v18, s8
	s_delay_alu instid0(VALU_DEP_2) | instskip(NEXT) | instid1(VALU_DEP_2)
	v_cndmask_b32_e64 v32, v32, v21, s9
	v_cndmask_b32_e64 v33, v33, v20, s9
	s_delay_alu instid0(VALU_DEP_2) | instskip(NEXT) | instid1(VALU_DEP_2)
	v_cndmask_b32_e64 v32, v32, v23, s10
	v_cndmask_b32_e64 v33, v33, v22, s10
	s_delay_alu instid0(VALU_DEP_2) | instskip(NEXT) | instid1(VALU_DEP_2)
	v_cndmask_b32_e64 v32, v32, v25, s11
	v_cndmask_b32_e64 v33, v33, v24, s11
	s_delay_alu instid0(VALU_DEP_2) | instskip(NEXT) | instid1(VALU_DEP_2)
	v_cndmask_b32_e64 v32, v32, v27, s12
	v_cndmask_b32_e64 v33, v33, v26, s12
	s_delay_alu instid0(VALU_DEP_2) | instskip(NEXT) | instid1(VALU_DEP_2)
	v_cndmask_b32_e64 v32, v32, v29, s13
	v_cndmask_b32_e64 v34, v33, v28, s13
	s_waitcnt vmcnt(0)
	s_delay_alu instid0(VALU_DEP_2) | instskip(NEXT) | instid1(VALU_DEP_2)
	v_cndmask_b32_e64 v33, v32, v31, s14
	v_cndmask_b32_e64 v32, v34, v30, s14
	s_delay_alu instid0(VALU_DEP_1) | instskip(SKIP_1) | instid1(VALU_DEP_2)
	v_div_scale_f64 v[34:35], null, v[32:33], v[32:33], 1.0
	v_div_scale_f64 v[41:42], vcc_lo, 1.0, v[32:33], 1.0
	v_rcp_f64_e32 v[37:38], v[34:35]
	s_waitcnt_depctr 0xfff
	v_fma_f64 v[39:40], -v[34:35], v[37:38], 1.0
	s_delay_alu instid0(VALU_DEP_1) | instskip(NEXT) | instid1(VALU_DEP_1)
	v_fma_f64 v[37:38], v[37:38], v[39:40], v[37:38]
	v_fma_f64 v[39:40], -v[34:35], v[37:38], 1.0
	s_delay_alu instid0(VALU_DEP_1) | instskip(NEXT) | instid1(VALU_DEP_1)
	v_fma_f64 v[37:38], v[37:38], v[39:40], v[37:38]
	v_mul_f64 v[39:40], v[41:42], v[37:38]
	s_delay_alu instid0(VALU_DEP_1) | instskip(NEXT) | instid1(VALU_DEP_1)
	v_fma_f64 v[34:35], -v[34:35], v[39:40], v[41:42]
	v_div_fmas_f64 v[34:35], v[34:35], v[37:38], v[39:40]
	s_delay_alu instid0(VALU_DEP_1) | instskip(NEXT) | instid1(VALU_DEP_1)
	v_div_fixup_f64 v[34:35], v[34:35], v[32:33], 1.0
	v_cndmask_b32_e64 v31, v31, v35, s14
	s_delay_alu instid0(VALU_DEP_2)
	v_cndmask_b32_e64 v30, v30, v34, s14
	v_cndmask_b32_e64 v29, v29, v35, s13
	;; [unrolled: 1-line block ×29, first 2 shown]
	v_xor_b32_e32 v35, 0x80000000, v35
.LBB78_3:
	v_add_nc_u32_e32 v98, 0x80, v36
	s_cmpk_eq_i32 s16, 0x79
	ds_store_b64 v36, v[34:35]
	s_cbranch_scc1 .LBB78_7
; %bb.4:
	s_waitcnt vmcnt(0)
	v_dual_mov_b32 v65, v33 :: v_dual_mov_b32 v64, v32
	v_dual_mov_b32 v63, v31 :: v_dual_mov_b32 v62, v30
	;; [unrolled: 1-line block ×16, first 2 shown]
	v_cmp_eq_u32_e64 s1, 14, v0
	ds_store_b64 v98, v[28:29]
	s_waitcnt lgkmcnt(0)
	s_barrier
	buffer_gl0_inv
	s_and_saveexec_b32 s0, s1
	s_cbranch_execz .LBB78_11
; %bb.5:
	s_and_b32 vcc_lo, exec_lo, s15
	s_cbranch_vccz .LBB78_8
; %bb.6:
	v_cmp_eq_u32_e32 vcc_lo, 1, v0
	v_dual_cndmask_b32 v34, v3, v5 :: v_dual_cndmask_b32 v35, v2, v4
	v_cmp_eq_u32_e32 vcc_lo, 2, v0
	s_delay_alu instid0(VALU_DEP_2) | instskip(SKIP_1) | instid1(VALU_DEP_2)
	v_dual_cndmask_b32 v34, v34, v7 :: v_dual_cndmask_b32 v35, v35, v6
	v_cmp_eq_u32_e32 vcc_lo, 3, v0
	v_dual_cndmask_b32 v34, v34, v9 :: v_dual_cndmask_b32 v35, v35, v8
	v_cmp_eq_u32_e32 vcc_lo, 4, v0
	s_delay_alu instid0(VALU_DEP_2) | instskip(SKIP_1) | instid1(VALU_DEP_2)
	v_dual_cndmask_b32 v34, v34, v11 :: v_dual_cndmask_b32 v35, v35, v10
	;; [unrolled: 5-line block ×5, first 2 shown]
	v_cmp_eq_u32_e32 vcc_lo, 11, v0
	v_dual_cndmask_b32 v36, v34, v25 :: v_dual_cndmask_b32 v37, v35, v24
	v_cmp_eq_u32_e32 vcc_lo, 12, v0
	ds_load_b64 v[34:35], v98
	v_dual_cndmask_b32 v36, v36, v27 :: v_dual_cndmask_b32 v37, v37, v26
	v_cmp_eq_u32_e32 vcc_lo, 13, v0
	s_delay_alu instid0(VALU_DEP_2) | instskip(NEXT) | instid1(VALU_DEP_3)
	v_cndmask_b32_e32 v36, v36, v29, vcc_lo
	v_cndmask_b32_e32 v38, v37, v28, vcc_lo
	v_cmp_eq_u32_e32 vcc_lo, 14, v0
	s_delay_alu instid0(VALU_DEP_2) | instskip(SKIP_1) | instid1(VALU_DEP_1)
	v_dual_cndmask_b32 v37, v36, v31 :: v_dual_cndmask_b32 v36, v38, v30
	s_waitcnt lgkmcnt(0)
	v_mul_f64 v[34:35], v[36:37], v[34:35]
	s_cbranch_execz .LBB78_9
	s_branch .LBB78_10
.LBB78_7:
                                        ; implicit-def: $vgpr34_vgpr35_vgpr36_vgpr37_vgpr38_vgpr39_vgpr40_vgpr41_vgpr42_vgpr43_vgpr44_vgpr45_vgpr46_vgpr47_vgpr48_vgpr49_vgpr50_vgpr51_vgpr52_vgpr53_vgpr54_vgpr55_vgpr56_vgpr57_vgpr58_vgpr59_vgpr60_vgpr61_vgpr62_vgpr63_vgpr64_vgpr65
	s_cbranch_execnz .LBB78_212
	s_branch .LBB78_359
.LBB78_8:
                                        ; implicit-def: $vgpr34_vgpr35
.LBB78_9:
	ds_load_b64 v[34:35], v98
.LBB78_10:
	v_mov_b32_e32 v36, 0
	v_dual_mov_b32 v38, v6 :: v_dual_mov_b32 v41, v9
	v_dual_mov_b32 v40, v8 :: v_dual_mov_b32 v43, v11
	ds_load_b64 v[36:37], v36 offset:104
	v_dual_mov_b32 v42, v10 :: v_dual_mov_b32 v45, v13
	v_dual_mov_b32 v44, v12 :: v_dual_mov_b32 v47, v15
	;; [unrolled: 1-line block ×9, first 2 shown]
	v_mov_b32_e32 v62, v30
	s_waitcnt lgkmcnt(0)
	v_mul_f64 v[60:61], v[34:35], v[36:37]
	v_dual_mov_b32 v34, v2 :: v_dual_mov_b32 v37, v5
	v_dual_mov_b32 v35, v3 :: v_dual_mov_b32 v36, v4
	v_mov_b32_e32 v39, v7
.LBB78_11:
	s_or_b32 exec_lo, exec_lo, s0
	v_cmp_lt_u32_e64 s0, 12, v0
	ds_store_b64 v98, v[58:59]
	s_waitcnt lgkmcnt(0)
	s_barrier
	buffer_gl0_inv
	s_and_saveexec_b32 s2, s0
	s_cbranch_execz .LBB78_19
; %bb.12:
	s_and_not1_b32 vcc_lo, exec_lo, s15
	s_cbranch_vccnz .LBB78_14
; %bb.13:
	v_cmp_eq_u32_e32 vcc_lo, 1, v0
	v_dual_cndmask_b32 v64, v35, v37 :: v_dual_cndmask_b32 v65, v34, v36
	v_cmp_eq_u32_e32 vcc_lo, 2, v0
	s_delay_alu instid0(VALU_DEP_2) | instskip(SKIP_1) | instid1(VALU_DEP_2)
	v_dual_cndmask_b32 v64, v64, v39 :: v_dual_cndmask_b32 v65, v65, v38
	v_cmp_eq_u32_e32 vcc_lo, 3, v0
	v_dual_cndmask_b32 v64, v64, v41 :: v_dual_cndmask_b32 v65, v65, v40
	v_cmp_eq_u32_e32 vcc_lo, 4, v0
	s_delay_alu instid0(VALU_DEP_2) | instskip(SKIP_1) | instid1(VALU_DEP_2)
	v_dual_cndmask_b32 v64, v64, v43 :: v_dual_cndmask_b32 v65, v65, v42
	v_cmp_eq_u32_e32 vcc_lo, 5, v0
	v_dual_cndmask_b32 v64, v64, v45 :: v_dual_cndmask_b32 v65, v65, v44
	v_cmp_eq_u32_e32 vcc_lo, 6, v0
	s_delay_alu instid0(VALU_DEP_2) | instskip(SKIP_1) | instid1(VALU_DEP_2)
	v_dual_cndmask_b32 v64, v64, v47 :: v_dual_cndmask_b32 v65, v65, v46
	v_cmp_eq_u32_e32 vcc_lo, 7, v0
	v_dual_cndmask_b32 v64, v64, v49 :: v_dual_cndmask_b32 v65, v65, v48
	v_cmp_eq_u32_e32 vcc_lo, 8, v0
	s_delay_alu instid0(VALU_DEP_2) | instskip(SKIP_1) | instid1(VALU_DEP_2)
	v_dual_cndmask_b32 v64, v64, v51 :: v_dual_cndmask_b32 v65, v65, v50
	v_cmp_eq_u32_e32 vcc_lo, 9, v0
	v_dual_cndmask_b32 v64, v64, v53 :: v_dual_cndmask_b32 v65, v65, v52
	v_cmp_eq_u32_e32 vcc_lo, 10, v0
	s_delay_alu instid0(VALU_DEP_2) | instskip(SKIP_1) | instid1(VALU_DEP_2)
	v_dual_cndmask_b32 v64, v64, v55 :: v_dual_cndmask_b32 v65, v65, v54
	v_cmp_eq_u32_e32 vcc_lo, 11, v0
	v_dual_cndmask_b32 v96, v64, v57 :: v_dual_cndmask_b32 v97, v65, v56
	v_cmp_eq_u32_e32 vcc_lo, 12, v0
	ds_load_b64 v[64:65], v98
	v_dual_cndmask_b32 v59, v96, v59 :: v_dual_cndmask_b32 v58, v97, v58
	v_cmp_eq_u32_e32 vcc_lo, 13, v0
	s_delay_alu instid0(VALU_DEP_2) | instskip(SKIP_1) | instid1(VALU_DEP_2)
	v_dual_cndmask_b32 v59, v59, v61 :: v_dual_cndmask_b32 v58, v58, v60
	v_cmp_eq_u32_e32 vcc_lo, 14, v0
	v_dual_cndmask_b32 v59, v59, v63 :: v_dual_cndmask_b32 v58, v58, v62
	s_waitcnt lgkmcnt(0)
	s_delay_alu instid0(VALU_DEP_1)
	v_mul_f64 v[58:59], v[58:59], v[64:65]
	s_cbranch_execz .LBB78_15
	s_branch .LBB78_16
.LBB78_14:
                                        ; implicit-def: $vgpr58_vgpr59
.LBB78_15:
	ds_load_b64 v[58:59], v98
.LBB78_16:
	s_and_saveexec_b32 s3, s1
	s_cbranch_execz .LBB78_18
; %bb.17:
	v_mov_b32_e32 v64, 0
	ds_load_b64 v[64:65], v64 offset:232
	s_waitcnt lgkmcnt(0)
	v_fma_f64 v[58:59], v[60:61], v[64:65], v[58:59]
.LBB78_18:
	s_or_b32 exec_lo, exec_lo, s3
	v_mov_b32_e32 v64, 0
	ds_load_b64 v[64:65], v64 offset:96
	s_waitcnt lgkmcnt(0)
	v_mul_f64 v[58:59], v[58:59], v[64:65]
.LBB78_19:
	s_or_b32 exec_lo, exec_lo, s2
	v_cmp_lt_u32_e64 s1, 11, v0
	ds_store_b64 v98, v[56:57]
	s_waitcnt lgkmcnt(0)
	s_barrier
	buffer_gl0_inv
	s_and_saveexec_b32 s4, s1
	s_cbranch_execz .LBB78_35
; %bb.20:
	s_and_not1_b32 vcc_lo, exec_lo, s15
	s_cbranch_vccnz .LBB78_22
; %bb.21:
	v_cmp_eq_u32_e32 vcc_lo, 1, v0
	v_dual_cndmask_b32 v96, v35, v37 :: v_dual_cndmask_b32 v97, v34, v36
	v_cmp_eq_u32_e32 vcc_lo, 2, v0
	s_delay_alu instid0(VALU_DEP_2) | instskip(SKIP_1) | instid1(VALU_DEP_2)
	v_dual_cndmask_b32 v96, v96, v39 :: v_dual_cndmask_b32 v97, v97, v38
	v_cmp_eq_u32_e32 vcc_lo, 3, v0
	v_dual_cndmask_b32 v96, v96, v41 :: v_dual_cndmask_b32 v97, v97, v40
	v_cmp_eq_u32_e32 vcc_lo, 4, v0
	s_delay_alu instid0(VALU_DEP_2) | instskip(SKIP_1) | instid1(VALU_DEP_2)
	v_dual_cndmask_b32 v96, v96, v43 :: v_dual_cndmask_b32 v97, v97, v42
	;; [unrolled: 5-line block ×5, first 2 shown]
	v_cmp_eq_u32_e32 vcc_lo, 11, v0
	v_dual_cndmask_b32 v99, v96, v57 :: v_dual_cndmask_b32 v100, v97, v56
	v_cmp_eq_u32_e32 vcc_lo, 12, v0
	ds_load_b64 v[96:97], v98
	v_dual_cndmask_b32 v99, v99, v59 :: v_dual_cndmask_b32 v100, v100, v58
	v_cmp_eq_u32_e32 vcc_lo, 13, v0
	s_delay_alu instid0(VALU_DEP_2) | instskip(NEXT) | instid1(VALU_DEP_3)
	v_cndmask_b32_e32 v99, v99, v61, vcc_lo
	v_cndmask_b32_e32 v101, v100, v60, vcc_lo
	v_cmp_eq_u32_e32 vcc_lo, 14, v0
	s_delay_alu instid0(VALU_DEP_2) | instskip(SKIP_1) | instid1(VALU_DEP_1)
	v_dual_cndmask_b32 v100, v99, v63 :: v_dual_cndmask_b32 v99, v101, v62
	s_waitcnt lgkmcnt(0)
	v_mul_f64 v[96:97], v[99:100], v[96:97]
	s_cbranch_execz .LBB78_23
	s_branch .LBB78_24
.LBB78_22:
                                        ; implicit-def: $vgpr96_vgpr97
.LBB78_23:
	ds_load_b64 v[96:97], v98
.LBB78_24:
	s_and_saveexec_b32 s5, s0
	s_cbranch_execz .LBB78_34
; %bb.25:
	v_add_nc_u32_e32 v100, -13, v0
	v_add_nc_u32_e32 v99, -12, v0
	s_delay_alu instid0(VALU_DEP_2)
	v_cmp_lt_u32_e32 vcc_lo, 6, v100
	v_mov_b32_e32 v100, 12
	s_and_saveexec_b32 s0, vcc_lo
	s_cbranch_execz .LBB78_29
; %bb.26:
	v_and_b32_e32 v100, -8, v99
	s_mov_b32 s6, 0
	s_mov_b64 s[2:3], 19
	s_movk_i32 s7, 0xe0
	s_delay_alu instid0(VALU_DEP_1)
	v_sub_nc_u32_e32 v101, 0, v100
.LBB78_27:                              ; =>This Inner Loop Header: Depth=1
	v_mov_b32_e32 v100, s7
	s_lshl_b32 s8, s2, 1
	s_delay_alu instid0(SALU_CYCLE_1)
	s_add_i32 m0, s8, -13
	v_movrels_b32_e32 v111, v34
	ds_load_b128 v[102:105], v100
	ds_load_b128 v[106:109], v100 offset:16
	s_add_i32 m0, s8, -14
	v_movrels_b32_e32 v110, v34
	s_add_i32 m0, s8, -11
	s_waitcnt lgkmcnt(1)
	s_delay_alu instid0(VALU_DEP_1) | instskip(SKIP_4) | instid1(VALU_DEP_1)
	v_fma_f64 v[96:97], v[110:111], v[102:103], v[96:97]
	v_movrels_b32_e32 v103, v34
	s_add_i32 m0, s8, -12
	v_movrels_b32_e32 v102, v34
	s_add_i32 m0, s8, -9
	v_fma_f64 v[96:97], v[102:103], v[104:105], v[96:97]
	v_movrels_b32_e32 v103, v34
	s_add_i32 m0, s8, -10
	v_movrels_b32_e32 v102, v34
	s_add_i32 m0, s8, -7
	s_waitcnt lgkmcnt(0)
	s_delay_alu instid0(VALU_DEP_1)
	v_fma_f64 v[96:97], v[102:103], v[106:107], v[96:97]
	v_movrels_b32_e32 v103, v34
	s_add_i32 m0, s8, -8
	v_movrels_b32_e32 v102, v34
	s_add_i32 m0, s8, -5
	;; [unrolled: 2-line block ×4, first 2 shown]
	v_fma_f64 v[96:97], v[102:103], v[108:109], v[96:97]
	ds_load_b128 v[102:105], v100 offset:32
	ds_load_b128 v[106:109], v100 offset:48
	s_waitcnt lgkmcnt(1)
	v_fma_f64 v[96:97], v[110:111], v[102:103], v[96:97]
	v_movrels_b32_e32 v103, v34
	s_add_i32 m0, s8, -4
	v_movrels_b32_e32 v102, v34
	s_add_i32 m0, s8, -1
	s_delay_alu instid0(VALU_DEP_1)
	v_fma_f64 v[96:97], v[102:103], v[104:105], v[96:97]
	v_movrels_b32_e32 v103, v34
	s_add_i32 m0, s8, -2
	s_add_u32 s2, s2, 8
	v_movrels_b32_e32 v102, v34
	s_mov_b32 m0, s8
	v_add_nc_u32_e32 v100, s2, v101
	s_addc_u32 s3, s3, 0
	s_add_i32 s8, s2, -7
	s_add_i32 s7, s7, 64
	s_delay_alu instid0(VALU_DEP_1)
	v_cmp_eq_u32_e32 vcc_lo, 19, v100
	v_mov_b32_e32 v100, s8
	s_or_b32 s6, vcc_lo, s6
	s_waitcnt lgkmcnt(0)
	v_fma_f64 v[96:97], v[102:103], v[106:107], v[96:97]
	v_movrels_b32_e32 v103, v35
	v_movrels_b32_e32 v102, v34
	s_delay_alu instid0(VALU_DEP_1)
	v_fma_f64 v[96:97], v[102:103], v[108:109], v[96:97]
	s_and_not1_b32 exec_lo, exec_lo, s6
	s_cbranch_execnz .LBB78_27
; %bb.28:
	s_or_b32 exec_lo, exec_lo, s6
.LBB78_29:
	s_delay_alu instid0(SALU_CYCLE_1) | instskip(SKIP_3) | instid1(VALU_DEP_1)
	s_or_b32 exec_lo, exec_lo, s0
	v_and_b32_e32 v64, 7, v99
	s_mov_b32 s3, 0
	s_mov_b32 s2, exec_lo
	v_cmpx_ne_u32_e32 0, v64
	s_cbranch_execz .LBB78_33
; %bb.30:
	v_lshl_add_u32 v65, v100, 3, 0x80
	v_mov_b32_e32 v99, 0
.LBB78_31:                              ; =>This Inner Loop Header: Depth=1
	v_cmp_eq_u32_e32 vcc_lo, 1, v100
	v_cmp_eq_u32_e64 s0, 2, v100
	v_dual_cndmask_b32 v101, v35, v37 :: v_dual_add_nc_u32 v64, -1, v64
	v_cndmask_b32_e32 v102, v34, v36, vcc_lo
	v_cmp_eq_u32_e32 vcc_lo, 3, v100
	s_delay_alu instid0(VALU_DEP_3) | instskip(NEXT) | instid1(VALU_DEP_3)
	v_cndmask_b32_e64 v101, v101, v39, s0
	v_cndmask_b32_e64 v102, v102, v38, s0
	v_cmp_eq_u32_e64 s0, 4, v100
	s_delay_alu instid0(VALU_DEP_2) | instskip(SKIP_1) | instid1(VALU_DEP_2)
	v_dual_cndmask_b32 v101, v101, v41 :: v_dual_cndmask_b32 v102, v102, v40
	v_cmp_eq_u32_e32 vcc_lo, 5, v100
	v_cndmask_b32_e64 v101, v101, v43, s0
	s_delay_alu instid0(VALU_DEP_3) | instskip(SKIP_1) | instid1(VALU_DEP_2)
	v_cndmask_b32_e64 v102, v102, v42, s0
	v_cmp_eq_u32_e64 s0, 6, v100
	v_dual_cndmask_b32 v101, v101, v45 :: v_dual_cndmask_b32 v102, v102, v44
	v_cmp_eq_u32_e32 vcc_lo, 7, v100
	s_delay_alu instid0(VALU_DEP_2) | instskip(NEXT) | instid1(VALU_DEP_3)
	v_cndmask_b32_e64 v101, v101, v47, s0
	v_cndmask_b32_e64 v102, v102, v46, s0
	v_cmp_eq_u32_e64 s0, 8, v100
	s_delay_alu instid0(VALU_DEP_2) | instskip(SKIP_1) | instid1(VALU_DEP_2)
	v_dual_cndmask_b32 v101, v101, v49 :: v_dual_cndmask_b32 v102, v102, v48
	v_cmp_eq_u32_e32 vcc_lo, 9, v100
	v_cndmask_b32_e64 v101, v101, v51, s0
	s_delay_alu instid0(VALU_DEP_3) | instskip(SKIP_1) | instid1(VALU_DEP_2)
	v_cndmask_b32_e64 v102, v102, v50, s0
	v_cmp_eq_u32_e64 s0, 10, v100
	v_dual_cndmask_b32 v101, v101, v53 :: v_dual_cndmask_b32 v102, v102, v52
	v_cmp_eq_u32_e32 vcc_lo, 11, v100
	s_delay_alu instid0(VALU_DEP_2) | instskip(NEXT) | instid1(VALU_DEP_3)
	v_cndmask_b32_e64 v103, v101, v55, s0
	v_cndmask_b32_e64 v104, v102, v54, s0
	ds_load_b64 v[101:102], v65
	v_cmp_eq_u32_e64 s0, 12, v100
	v_add_nc_u32_e32 v65, 8, v65
	v_dual_cndmask_b32 v103, v103, v57 :: v_dual_cndmask_b32 v104, v104, v56
	v_cmp_eq_u32_e32 vcc_lo, 13, v100
	s_delay_alu instid0(VALU_DEP_2) | instskip(NEXT) | instid1(VALU_DEP_3)
	v_cndmask_b32_e64 v103, v103, v59, s0
	v_cndmask_b32_e64 v104, v104, v58, s0
	v_cmp_eq_u32_e64 s0, 14, v100
	s_delay_alu instid0(VALU_DEP_3) | instskip(NEXT) | instid1(VALU_DEP_3)
	v_cndmask_b32_e32 v103, v103, v61, vcc_lo
	v_cndmask_b32_e32 v105, v104, v60, vcc_lo
	v_cmp_eq_u32_e32 vcc_lo, 0, v64
	s_delay_alu instid0(VALU_DEP_3) | instskip(NEXT) | instid1(VALU_DEP_3)
	v_cndmask_b32_e64 v104, v103, v63, s0
	v_cndmask_b32_e64 v103, v105, v62, s0
	v_add_co_u32 v100, s0, v100, 1
	s_delay_alu instid0(VALU_DEP_1) | instskip(SKIP_1) | instid1(VALU_DEP_3)
	v_add_co_ci_u32_e64 v99, s0, 0, v99, s0
	s_waitcnt lgkmcnt(0)
	v_fma_f64 v[96:97], v[103:104], v[101:102], v[96:97]
	s_or_b32 s3, vcc_lo, s3
	s_delay_alu instid0(SALU_CYCLE_1)
	s_and_not1_b32 exec_lo, exec_lo, s3
	s_cbranch_execnz .LBB78_31
; %bb.32:
	s_or_b32 exec_lo, exec_lo, s3
.LBB78_33:
	s_delay_alu instid0(SALU_CYCLE_1)
	s_or_b32 exec_lo, exec_lo, s2
.LBB78_34:
	s_delay_alu instid0(SALU_CYCLE_1)
	s_or_b32 exec_lo, exec_lo, s5
	v_mov_b32_e32 v56, 0
	ds_load_b64 v[56:57], v56 offset:88
	s_waitcnt lgkmcnt(0)
	v_mul_f64 v[56:57], v[96:97], v[56:57]
.LBB78_35:
	s_or_b32 exec_lo, exec_lo, s4
	v_cmp_lt_u32_e64 s0, 10, v0
	ds_store_b64 v98, v[54:55]
	s_waitcnt lgkmcnt(0)
	s_barrier
	buffer_gl0_inv
	s_and_saveexec_b32 s4, s0
	s_cbranch_execz .LBB78_51
; %bb.36:
	s_and_not1_b32 vcc_lo, exec_lo, s15
	s_cbranch_vccnz .LBB78_38
; %bb.37:
	v_cmp_eq_u32_e32 vcc_lo, 1, v0
	v_dual_cndmask_b32 v96, v35, v37 :: v_dual_cndmask_b32 v97, v34, v36
	v_cmp_eq_u32_e32 vcc_lo, 2, v0
	s_delay_alu instid0(VALU_DEP_2) | instskip(SKIP_1) | instid1(VALU_DEP_2)
	v_dual_cndmask_b32 v96, v96, v39 :: v_dual_cndmask_b32 v97, v97, v38
	v_cmp_eq_u32_e32 vcc_lo, 3, v0
	v_dual_cndmask_b32 v96, v96, v41 :: v_dual_cndmask_b32 v97, v97, v40
	v_cmp_eq_u32_e32 vcc_lo, 4, v0
	s_delay_alu instid0(VALU_DEP_2) | instskip(SKIP_1) | instid1(VALU_DEP_2)
	v_dual_cndmask_b32 v96, v96, v43 :: v_dual_cndmask_b32 v97, v97, v42
	;; [unrolled: 5-line block ×5, first 2 shown]
	v_cmp_eq_u32_e32 vcc_lo, 11, v0
	v_dual_cndmask_b32 v99, v96, v57 :: v_dual_cndmask_b32 v100, v97, v56
	v_cmp_eq_u32_e32 vcc_lo, 12, v0
	ds_load_b64 v[96:97], v98
	v_dual_cndmask_b32 v99, v99, v59 :: v_dual_cndmask_b32 v100, v100, v58
	v_cmp_eq_u32_e32 vcc_lo, 13, v0
	s_delay_alu instid0(VALU_DEP_2) | instskip(NEXT) | instid1(VALU_DEP_3)
	v_cndmask_b32_e32 v99, v99, v61, vcc_lo
	v_cndmask_b32_e32 v101, v100, v60, vcc_lo
	v_cmp_eq_u32_e32 vcc_lo, 14, v0
	s_delay_alu instid0(VALU_DEP_2) | instskip(SKIP_1) | instid1(VALU_DEP_1)
	v_dual_cndmask_b32 v100, v99, v63 :: v_dual_cndmask_b32 v99, v101, v62
	s_waitcnt lgkmcnt(0)
	v_mul_f64 v[96:97], v[99:100], v[96:97]
	s_cbranch_execz .LBB78_39
	s_branch .LBB78_40
.LBB78_38:
                                        ; implicit-def: $vgpr96_vgpr97
.LBB78_39:
	ds_load_b64 v[96:97], v98
.LBB78_40:
	s_and_saveexec_b32 s5, s1
	s_cbranch_execz .LBB78_50
; %bb.41:
	v_dual_mov_b32 v101, 11 :: v_dual_add_nc_u32 v100, -12, v0
	v_add_nc_u32_e32 v99, -11, v0
	s_mov_b32 s1, exec_lo
	s_delay_alu instid0(VALU_DEP_2)
	v_cmpx_lt_u32_e32 6, v100
	s_cbranch_execz .LBB78_45
; %bb.42:
	s_delay_alu instid0(VALU_DEP_2) | instskip(SKIP_3) | instid1(VALU_DEP_1)
	v_and_b32_e32 v100, -8, v99
	s_mov_b32 s6, 0
	s_mov_b64 s[2:3], 18
	s_movk_i32 s7, 0xd8
	v_sub_nc_u32_e32 v100, 0, v100
.LBB78_43:                              ; =>This Inner Loop Header: Depth=1
	v_mov_b32_e32 v111, s7
	s_lshl_b32 s8, s2, 1
	s_delay_alu instid0(SALU_CYCLE_1)
	s_add_i32 m0, s8, -13
	v_movrels_b32_e32 v110, v34
	ds_load_2addr_b64 v[101:104], v111 offset1:1
	ds_load_2addr_b64 v[105:108], v111 offset0:2 offset1:3
	s_add_i32 m0, s8, -14
	v_movrels_b32_e32 v109, v34
	s_add_i32 m0, s8, -11
	s_waitcnt lgkmcnt(1)
	s_delay_alu instid0(VALU_DEP_1) | instskip(SKIP_4) | instid1(VALU_DEP_1)
	v_fma_f64 v[96:97], v[109:110], v[101:102], v[96:97]
	v_movrels_b32_e32 v102, v34
	s_add_i32 m0, s8, -12
	v_movrels_b32_e32 v101, v34
	s_add_i32 m0, s8, -9
	v_fma_f64 v[96:97], v[101:102], v[103:104], v[96:97]
	v_movrels_b32_e32 v102, v34
	s_add_i32 m0, s8, -10
	v_movrels_b32_e32 v101, v34
	s_add_i32 m0, s8, -7
	s_waitcnt lgkmcnt(0)
	s_delay_alu instid0(VALU_DEP_1)
	v_fma_f64 v[96:97], v[101:102], v[105:106], v[96:97]
	v_movrels_b32_e32 v102, v34
	s_add_i32 m0, s8, -8
	v_movrels_b32_e32 v101, v34
	s_add_i32 m0, s8, -5
	;; [unrolled: 2-line block ×4, first 2 shown]
	v_fma_f64 v[96:97], v[101:102], v[107:108], v[96:97]
	ds_load_2addr_b64 v[101:104], v111 offset0:4 offset1:5
	ds_load_2addr_b64 v[105:108], v111 offset0:6 offset1:7
	s_waitcnt lgkmcnt(1)
	v_fma_f64 v[96:97], v[109:110], v[101:102], v[96:97]
	v_movrels_b32_e32 v102, v34
	s_add_i32 m0, s8, -4
	v_movrels_b32_e32 v101, v34
	s_add_i32 m0, s8, -1
	s_delay_alu instid0(VALU_DEP_1)
	v_fma_f64 v[96:97], v[101:102], v[103:104], v[96:97]
	v_movrels_b32_e32 v102, v34
	s_add_i32 m0, s8, -2
	s_add_u32 s2, s2, 8
	v_movrels_b32_e32 v101, v34
	s_mov_b32 m0, s8
	s_addc_u32 s3, s3, 0
	s_add_i32 s8, s2, -7
	s_add_i32 s7, s7, 64
	s_waitcnt lgkmcnt(0)
	s_delay_alu instid0(VALU_DEP_3) | instskip(SKIP_2) | instid1(VALU_DEP_1)
	v_fma_f64 v[96:97], v[101:102], v[105:106], v[96:97]
	v_movrels_b32_e32 v102, v35
	v_movrels_b32_e32 v101, v34
	v_fma_f64 v[96:97], v[101:102], v[107:108], v[96:97]
	v_add_nc_u32_e32 v101, s2, v100
	s_delay_alu instid0(VALU_DEP_1) | instskip(SKIP_2) | instid1(SALU_CYCLE_1)
	v_cmp_eq_u32_e32 vcc_lo, 18, v101
	v_mov_b32_e32 v101, s8
	s_or_b32 s6, vcc_lo, s6
	s_and_not1_b32 exec_lo, exec_lo, s6
	s_cbranch_execnz .LBB78_43
; %bb.44:
	s_or_b32 exec_lo, exec_lo, s6
.LBB78_45:
	s_delay_alu instid0(SALU_CYCLE_1) | instskip(SKIP_3) | instid1(VALU_DEP_1)
	s_or_b32 exec_lo, exec_lo, s1
	v_and_b32_e32 v64, 7, v99
	s_mov_b32 s3, 0
	s_mov_b32 s2, exec_lo
	v_cmpx_ne_u32_e32 0, v64
	s_cbranch_execz .LBB78_49
; %bb.46:
	v_lshl_add_u32 v65, v101, 3, 0x80
	v_mov_b32_e32 v99, 0
.LBB78_47:                              ; =>This Inner Loop Header: Depth=1
	v_cmp_eq_u32_e32 vcc_lo, 1, v101
	v_cmp_eq_u32_e64 s1, 2, v101
	v_add_nc_u32_e32 v64, -1, v64
	v_cndmask_b32_e32 v100, v35, v37, vcc_lo
	v_cndmask_b32_e32 v102, v34, v36, vcc_lo
	v_cmp_eq_u32_e32 vcc_lo, 3, v101
	s_delay_alu instid0(VALU_DEP_3) | instskip(NEXT) | instid1(VALU_DEP_3)
	v_cndmask_b32_e64 v100, v100, v39, s1
	v_cndmask_b32_e64 v102, v102, v38, s1
	v_cmp_eq_u32_e64 s1, 4, v101
	s_delay_alu instid0(VALU_DEP_3) | instskip(NEXT) | instid1(VALU_DEP_3)
	v_cndmask_b32_e32 v100, v100, v41, vcc_lo
	v_cndmask_b32_e32 v102, v102, v40, vcc_lo
	v_cmp_eq_u32_e32 vcc_lo, 5, v101
	s_delay_alu instid0(VALU_DEP_3) | instskip(NEXT) | instid1(VALU_DEP_3)
	v_cndmask_b32_e64 v100, v100, v43, s1
	v_cndmask_b32_e64 v102, v102, v42, s1
	v_cmp_eq_u32_e64 s1, 6, v101
	s_delay_alu instid0(VALU_DEP_3) | instskip(NEXT) | instid1(VALU_DEP_3)
	;; [unrolled: 8-line block ×4, first 2 shown]
	v_cndmask_b32_e32 v100, v100, v53, vcc_lo
	v_cndmask_b32_e32 v102, v102, v52, vcc_lo
	v_cmp_eq_u32_e32 vcc_lo, 11, v101
	s_delay_alu instid0(VALU_DEP_3) | instskip(NEXT) | instid1(VALU_DEP_3)
	v_cndmask_b32_e64 v100, v100, v55, s1
	v_cndmask_b32_e64 v104, v102, v54, s1
	ds_load_b64 v[102:103], v65
	v_add_nc_u32_e32 v65, 8, v65
	v_cmp_eq_u32_e64 s1, 12, v101
	v_cndmask_b32_e32 v100, v100, v57, vcc_lo
	v_cndmask_b32_e32 v104, v104, v56, vcc_lo
	v_cmp_eq_u32_e32 vcc_lo, 13, v101
	s_delay_alu instid0(VALU_DEP_3) | instskip(NEXT) | instid1(VALU_DEP_3)
	v_cndmask_b32_e64 v100, v100, v59, s1
	v_cndmask_b32_e64 v104, v104, v58, s1
	v_cmp_eq_u32_e64 s1, 14, v101
	s_delay_alu instid0(VALU_DEP_3) | instskip(NEXT) | instid1(VALU_DEP_3)
	v_cndmask_b32_e32 v100, v100, v61, vcc_lo
	v_cndmask_b32_e32 v104, v104, v60, vcc_lo
	v_cmp_eq_u32_e32 vcc_lo, 0, v64
	s_delay_alu instid0(VALU_DEP_3) | instskip(NEXT) | instid1(VALU_DEP_3)
	v_cndmask_b32_e64 v105, v100, v63, s1
	v_cndmask_b32_e64 v104, v104, v62, s1
	v_add_co_u32 v101, s1, v101, 1
	s_delay_alu instid0(VALU_DEP_1) | instskip(SKIP_1) | instid1(VALU_DEP_3)
	v_add_co_ci_u32_e64 v99, s1, 0, v99, s1
	s_waitcnt lgkmcnt(0)
	v_fma_f64 v[96:97], v[104:105], v[102:103], v[96:97]
	s_or_b32 s3, vcc_lo, s3
	s_delay_alu instid0(SALU_CYCLE_1)
	s_and_not1_b32 exec_lo, exec_lo, s3
	s_cbranch_execnz .LBB78_47
; %bb.48:
	s_or_b32 exec_lo, exec_lo, s3
.LBB78_49:
	s_delay_alu instid0(SALU_CYCLE_1)
	s_or_b32 exec_lo, exec_lo, s2
.LBB78_50:
	s_delay_alu instid0(SALU_CYCLE_1)
	s_or_b32 exec_lo, exec_lo, s5
	v_mov_b32_e32 v54, 0
	ds_load_b64 v[54:55], v54 offset:80
	s_waitcnt lgkmcnt(0)
	v_mul_f64 v[54:55], v[96:97], v[54:55]
.LBB78_51:
	s_or_b32 exec_lo, exec_lo, s4
	v_cmp_lt_u32_e64 s1, 9, v0
	ds_store_b64 v98, v[52:53]
	s_waitcnt lgkmcnt(0)
	s_barrier
	buffer_gl0_inv
	s_and_saveexec_b32 s4, s1
	s_cbranch_execz .LBB78_67
; %bb.52:
	s_and_not1_b32 vcc_lo, exec_lo, s15
	s_cbranch_vccnz .LBB78_54
; %bb.53:
	v_cmp_eq_u32_e32 vcc_lo, 1, v0
	v_dual_cndmask_b32 v96, v35, v37 :: v_dual_cndmask_b32 v97, v34, v36
	v_cmp_eq_u32_e32 vcc_lo, 2, v0
	s_delay_alu instid0(VALU_DEP_2) | instskip(SKIP_1) | instid1(VALU_DEP_2)
	v_dual_cndmask_b32 v96, v96, v39 :: v_dual_cndmask_b32 v97, v97, v38
	v_cmp_eq_u32_e32 vcc_lo, 3, v0
	v_dual_cndmask_b32 v96, v96, v41 :: v_dual_cndmask_b32 v97, v97, v40
	v_cmp_eq_u32_e32 vcc_lo, 4, v0
	s_delay_alu instid0(VALU_DEP_2) | instskip(SKIP_1) | instid1(VALU_DEP_2)
	v_dual_cndmask_b32 v96, v96, v43 :: v_dual_cndmask_b32 v97, v97, v42
	;; [unrolled: 5-line block ×5, first 2 shown]
	v_cmp_eq_u32_e32 vcc_lo, 11, v0
	v_dual_cndmask_b32 v99, v96, v57 :: v_dual_cndmask_b32 v100, v97, v56
	v_cmp_eq_u32_e32 vcc_lo, 12, v0
	ds_load_b64 v[96:97], v98
	v_dual_cndmask_b32 v99, v99, v59 :: v_dual_cndmask_b32 v100, v100, v58
	v_cmp_eq_u32_e32 vcc_lo, 13, v0
	s_delay_alu instid0(VALU_DEP_2) | instskip(NEXT) | instid1(VALU_DEP_3)
	v_cndmask_b32_e32 v99, v99, v61, vcc_lo
	v_cndmask_b32_e32 v101, v100, v60, vcc_lo
	v_cmp_eq_u32_e32 vcc_lo, 14, v0
	s_delay_alu instid0(VALU_DEP_2) | instskip(SKIP_1) | instid1(VALU_DEP_1)
	v_dual_cndmask_b32 v100, v99, v63 :: v_dual_cndmask_b32 v99, v101, v62
	s_waitcnt lgkmcnt(0)
	v_mul_f64 v[96:97], v[99:100], v[96:97]
	s_cbranch_execz .LBB78_55
	s_branch .LBB78_56
.LBB78_54:
                                        ; implicit-def: $vgpr96_vgpr97
.LBB78_55:
	ds_load_b64 v[96:97], v98
.LBB78_56:
	s_and_saveexec_b32 s5, s0
	s_cbranch_execz .LBB78_66
; %bb.57:
	v_add_nc_u32_e32 v100, -11, v0
	v_add_nc_u32_e32 v99, -10, v0
	s_delay_alu instid0(VALU_DEP_2)
	v_cmp_lt_u32_e32 vcc_lo, 6, v100
	v_mov_b32_e32 v100, 10
	s_and_saveexec_b32 s0, vcc_lo
	s_cbranch_execz .LBB78_61
; %bb.58:
	v_and_b32_e32 v100, -8, v99
	s_mov_b32 s6, 0
	s_mov_b64 s[2:3], 17
	s_movk_i32 s7, 0xd0
	s_delay_alu instid0(VALU_DEP_1)
	v_sub_nc_u32_e32 v101, 0, v100
.LBB78_59:                              ; =>This Inner Loop Header: Depth=1
	v_mov_b32_e32 v100, s7
	s_lshl_b32 s8, s2, 1
	s_delay_alu instid0(SALU_CYCLE_1)
	s_add_i32 m0, s8, -13
	v_movrels_b32_e32 v111, v34
	ds_load_b128 v[102:105], v100
	ds_load_b128 v[106:109], v100 offset:16
	s_add_i32 m0, s8, -14
	v_movrels_b32_e32 v110, v34
	s_add_i32 m0, s8, -11
	s_waitcnt lgkmcnt(1)
	s_delay_alu instid0(VALU_DEP_1) | instskip(SKIP_4) | instid1(VALU_DEP_1)
	v_fma_f64 v[96:97], v[110:111], v[102:103], v[96:97]
	v_movrels_b32_e32 v103, v34
	s_add_i32 m0, s8, -12
	v_movrels_b32_e32 v102, v34
	s_add_i32 m0, s8, -9
	v_fma_f64 v[96:97], v[102:103], v[104:105], v[96:97]
	v_movrels_b32_e32 v103, v34
	s_add_i32 m0, s8, -10
	v_movrels_b32_e32 v102, v34
	s_add_i32 m0, s8, -7
	s_waitcnt lgkmcnt(0)
	s_delay_alu instid0(VALU_DEP_1)
	v_fma_f64 v[96:97], v[102:103], v[106:107], v[96:97]
	v_movrels_b32_e32 v103, v34
	s_add_i32 m0, s8, -8
	v_movrels_b32_e32 v102, v34
	s_add_i32 m0, s8, -5
	;; [unrolled: 2-line block ×4, first 2 shown]
	v_fma_f64 v[96:97], v[102:103], v[108:109], v[96:97]
	ds_load_b128 v[102:105], v100 offset:32
	ds_load_b128 v[106:109], v100 offset:48
	s_waitcnt lgkmcnt(1)
	v_fma_f64 v[96:97], v[110:111], v[102:103], v[96:97]
	v_movrels_b32_e32 v103, v34
	s_add_i32 m0, s8, -4
	v_movrels_b32_e32 v102, v34
	s_add_i32 m0, s8, -1
	s_delay_alu instid0(VALU_DEP_1)
	v_fma_f64 v[96:97], v[102:103], v[104:105], v[96:97]
	v_movrels_b32_e32 v103, v34
	s_add_i32 m0, s8, -2
	s_add_u32 s2, s2, 8
	v_movrels_b32_e32 v102, v34
	s_mov_b32 m0, s8
	v_add_nc_u32_e32 v100, s2, v101
	s_addc_u32 s3, s3, 0
	s_add_i32 s8, s2, -7
	s_add_i32 s7, s7, 64
	s_delay_alu instid0(VALU_DEP_1)
	v_cmp_eq_u32_e32 vcc_lo, 17, v100
	v_mov_b32_e32 v100, s8
	s_or_b32 s6, vcc_lo, s6
	s_waitcnt lgkmcnt(0)
	v_fma_f64 v[96:97], v[102:103], v[106:107], v[96:97]
	v_movrels_b32_e32 v103, v35
	v_movrels_b32_e32 v102, v34
	s_delay_alu instid0(VALU_DEP_1)
	v_fma_f64 v[96:97], v[102:103], v[108:109], v[96:97]
	s_and_not1_b32 exec_lo, exec_lo, s6
	s_cbranch_execnz .LBB78_59
; %bb.60:
	s_or_b32 exec_lo, exec_lo, s6
.LBB78_61:
	s_delay_alu instid0(SALU_CYCLE_1) | instskip(SKIP_3) | instid1(VALU_DEP_1)
	s_or_b32 exec_lo, exec_lo, s0
	v_and_b32_e32 v64, 7, v99
	s_mov_b32 s3, 0
	s_mov_b32 s2, exec_lo
	v_cmpx_ne_u32_e32 0, v64
	s_cbranch_execz .LBB78_65
; %bb.62:
	v_lshl_add_u32 v65, v100, 3, 0x80
	v_mov_b32_e32 v99, 0
.LBB78_63:                              ; =>This Inner Loop Header: Depth=1
	v_cmp_eq_u32_e32 vcc_lo, 1, v100
	v_cmp_eq_u32_e64 s0, 2, v100
	v_dual_cndmask_b32 v101, v35, v37 :: v_dual_add_nc_u32 v64, -1, v64
	v_cndmask_b32_e32 v102, v34, v36, vcc_lo
	v_cmp_eq_u32_e32 vcc_lo, 3, v100
	s_delay_alu instid0(VALU_DEP_3) | instskip(NEXT) | instid1(VALU_DEP_3)
	v_cndmask_b32_e64 v101, v101, v39, s0
	v_cndmask_b32_e64 v102, v102, v38, s0
	v_cmp_eq_u32_e64 s0, 4, v100
	s_delay_alu instid0(VALU_DEP_2) | instskip(SKIP_1) | instid1(VALU_DEP_2)
	v_dual_cndmask_b32 v101, v101, v41 :: v_dual_cndmask_b32 v102, v102, v40
	v_cmp_eq_u32_e32 vcc_lo, 5, v100
	v_cndmask_b32_e64 v101, v101, v43, s0
	s_delay_alu instid0(VALU_DEP_3) | instskip(SKIP_1) | instid1(VALU_DEP_2)
	v_cndmask_b32_e64 v102, v102, v42, s0
	v_cmp_eq_u32_e64 s0, 6, v100
	v_dual_cndmask_b32 v101, v101, v45 :: v_dual_cndmask_b32 v102, v102, v44
	v_cmp_eq_u32_e32 vcc_lo, 7, v100
	s_delay_alu instid0(VALU_DEP_2) | instskip(NEXT) | instid1(VALU_DEP_3)
	v_cndmask_b32_e64 v101, v101, v47, s0
	v_cndmask_b32_e64 v102, v102, v46, s0
	v_cmp_eq_u32_e64 s0, 8, v100
	s_delay_alu instid0(VALU_DEP_2) | instskip(SKIP_1) | instid1(VALU_DEP_2)
	v_dual_cndmask_b32 v101, v101, v49 :: v_dual_cndmask_b32 v102, v102, v48
	v_cmp_eq_u32_e32 vcc_lo, 9, v100
	v_cndmask_b32_e64 v101, v101, v51, s0
	s_delay_alu instid0(VALU_DEP_3) | instskip(SKIP_1) | instid1(VALU_DEP_2)
	v_cndmask_b32_e64 v102, v102, v50, s0
	v_cmp_eq_u32_e64 s0, 10, v100
	v_dual_cndmask_b32 v101, v101, v53 :: v_dual_cndmask_b32 v102, v102, v52
	v_cmp_eq_u32_e32 vcc_lo, 11, v100
	s_delay_alu instid0(VALU_DEP_2) | instskip(NEXT) | instid1(VALU_DEP_3)
	v_cndmask_b32_e64 v103, v101, v55, s0
	v_cndmask_b32_e64 v104, v102, v54, s0
	ds_load_b64 v[101:102], v65
	v_cmp_eq_u32_e64 s0, 12, v100
	v_add_nc_u32_e32 v65, 8, v65
	v_dual_cndmask_b32 v103, v103, v57 :: v_dual_cndmask_b32 v104, v104, v56
	v_cmp_eq_u32_e32 vcc_lo, 13, v100
	s_delay_alu instid0(VALU_DEP_2) | instskip(NEXT) | instid1(VALU_DEP_3)
	v_cndmask_b32_e64 v103, v103, v59, s0
	v_cndmask_b32_e64 v104, v104, v58, s0
	v_cmp_eq_u32_e64 s0, 14, v100
	s_delay_alu instid0(VALU_DEP_3) | instskip(NEXT) | instid1(VALU_DEP_3)
	v_cndmask_b32_e32 v103, v103, v61, vcc_lo
	v_cndmask_b32_e32 v105, v104, v60, vcc_lo
	v_cmp_eq_u32_e32 vcc_lo, 0, v64
	s_delay_alu instid0(VALU_DEP_3) | instskip(NEXT) | instid1(VALU_DEP_3)
	v_cndmask_b32_e64 v104, v103, v63, s0
	v_cndmask_b32_e64 v103, v105, v62, s0
	v_add_co_u32 v100, s0, v100, 1
	s_delay_alu instid0(VALU_DEP_1) | instskip(SKIP_1) | instid1(VALU_DEP_3)
	v_add_co_ci_u32_e64 v99, s0, 0, v99, s0
	s_waitcnt lgkmcnt(0)
	v_fma_f64 v[96:97], v[103:104], v[101:102], v[96:97]
	s_or_b32 s3, vcc_lo, s3
	s_delay_alu instid0(SALU_CYCLE_1)
	s_and_not1_b32 exec_lo, exec_lo, s3
	s_cbranch_execnz .LBB78_63
; %bb.64:
	s_or_b32 exec_lo, exec_lo, s3
.LBB78_65:
	s_delay_alu instid0(SALU_CYCLE_1)
	s_or_b32 exec_lo, exec_lo, s2
.LBB78_66:
	s_delay_alu instid0(SALU_CYCLE_1)
	s_or_b32 exec_lo, exec_lo, s5
	v_mov_b32_e32 v52, 0
	ds_load_b64 v[52:53], v52 offset:72
	s_waitcnt lgkmcnt(0)
	v_mul_f64 v[52:53], v[96:97], v[52:53]
.LBB78_67:
	s_or_b32 exec_lo, exec_lo, s4
	v_cmp_lt_u32_e64 s0, 8, v0
	ds_store_b64 v98, v[50:51]
	s_waitcnt lgkmcnt(0)
	s_barrier
	buffer_gl0_inv
	s_and_saveexec_b32 s4, s0
	s_cbranch_execz .LBB78_83
; %bb.68:
	s_and_not1_b32 vcc_lo, exec_lo, s15
	s_cbranch_vccnz .LBB78_70
; %bb.69:
	v_cmp_eq_u32_e32 vcc_lo, 1, v0
	v_dual_cndmask_b32 v96, v35, v37 :: v_dual_cndmask_b32 v97, v34, v36
	v_cmp_eq_u32_e32 vcc_lo, 2, v0
	s_delay_alu instid0(VALU_DEP_2) | instskip(SKIP_1) | instid1(VALU_DEP_2)
	v_dual_cndmask_b32 v96, v96, v39 :: v_dual_cndmask_b32 v97, v97, v38
	v_cmp_eq_u32_e32 vcc_lo, 3, v0
	v_dual_cndmask_b32 v96, v96, v41 :: v_dual_cndmask_b32 v97, v97, v40
	v_cmp_eq_u32_e32 vcc_lo, 4, v0
	s_delay_alu instid0(VALU_DEP_2) | instskip(SKIP_1) | instid1(VALU_DEP_2)
	v_dual_cndmask_b32 v96, v96, v43 :: v_dual_cndmask_b32 v97, v97, v42
	;; [unrolled: 5-line block ×5, first 2 shown]
	v_cmp_eq_u32_e32 vcc_lo, 11, v0
	v_dual_cndmask_b32 v99, v96, v57 :: v_dual_cndmask_b32 v100, v97, v56
	v_cmp_eq_u32_e32 vcc_lo, 12, v0
	ds_load_b64 v[96:97], v98
	v_dual_cndmask_b32 v99, v99, v59 :: v_dual_cndmask_b32 v100, v100, v58
	v_cmp_eq_u32_e32 vcc_lo, 13, v0
	s_delay_alu instid0(VALU_DEP_2) | instskip(NEXT) | instid1(VALU_DEP_3)
	v_cndmask_b32_e32 v99, v99, v61, vcc_lo
	v_cndmask_b32_e32 v101, v100, v60, vcc_lo
	v_cmp_eq_u32_e32 vcc_lo, 14, v0
	s_delay_alu instid0(VALU_DEP_2) | instskip(SKIP_1) | instid1(VALU_DEP_1)
	v_dual_cndmask_b32 v100, v99, v63 :: v_dual_cndmask_b32 v99, v101, v62
	s_waitcnt lgkmcnt(0)
	v_mul_f64 v[96:97], v[99:100], v[96:97]
	s_cbranch_execz .LBB78_71
	s_branch .LBB78_72
.LBB78_70:
                                        ; implicit-def: $vgpr96_vgpr97
.LBB78_71:
	ds_load_b64 v[96:97], v98
.LBB78_72:
	s_and_saveexec_b32 s5, s1
	s_cbranch_execz .LBB78_82
; %bb.73:
	v_dual_mov_b32 v101, 9 :: v_dual_add_nc_u32 v100, -10, v0
	v_add_nc_u32_e32 v99, -9, v0
	s_mov_b32 s1, exec_lo
	s_delay_alu instid0(VALU_DEP_2)
	v_cmpx_lt_u32_e32 6, v100
	s_cbranch_execz .LBB78_77
; %bb.74:
	s_delay_alu instid0(VALU_DEP_2) | instskip(SKIP_3) | instid1(VALU_DEP_1)
	v_and_b32_e32 v100, -8, v99
	s_mov_b32 s6, 0
	s_mov_b64 s[2:3], 16
	s_movk_i32 s7, 0xc8
	v_sub_nc_u32_e32 v100, 0, v100
.LBB78_75:                              ; =>This Inner Loop Header: Depth=1
	v_mov_b32_e32 v111, s7
	s_lshl_b32 s8, s2, 1
	s_delay_alu instid0(SALU_CYCLE_1)
	s_add_i32 m0, s8, -13
	v_movrels_b32_e32 v110, v34
	ds_load_2addr_b64 v[101:104], v111 offset1:1
	ds_load_2addr_b64 v[105:108], v111 offset0:2 offset1:3
	s_add_i32 m0, s8, -14
	v_movrels_b32_e32 v109, v34
	s_add_i32 m0, s8, -11
	s_waitcnt lgkmcnt(1)
	s_delay_alu instid0(VALU_DEP_1) | instskip(SKIP_4) | instid1(VALU_DEP_1)
	v_fma_f64 v[96:97], v[109:110], v[101:102], v[96:97]
	v_movrels_b32_e32 v102, v34
	s_add_i32 m0, s8, -12
	v_movrels_b32_e32 v101, v34
	s_add_i32 m0, s8, -9
	v_fma_f64 v[96:97], v[101:102], v[103:104], v[96:97]
	v_movrels_b32_e32 v102, v34
	s_add_i32 m0, s8, -10
	v_movrels_b32_e32 v101, v34
	s_add_i32 m0, s8, -7
	s_waitcnt lgkmcnt(0)
	s_delay_alu instid0(VALU_DEP_1)
	v_fma_f64 v[96:97], v[101:102], v[105:106], v[96:97]
	v_movrels_b32_e32 v102, v34
	s_add_i32 m0, s8, -8
	v_movrels_b32_e32 v101, v34
	s_add_i32 m0, s8, -5
	v_movrels_b32_e32 v110, v34
	s_add_i32 m0, s8, -6
	v_movrels_b32_e32 v109, v34
	s_add_i32 m0, s8, -3
	v_fma_f64 v[96:97], v[101:102], v[107:108], v[96:97]
	ds_load_2addr_b64 v[101:104], v111 offset0:4 offset1:5
	ds_load_2addr_b64 v[105:108], v111 offset0:6 offset1:7
	s_waitcnt lgkmcnt(1)
	v_fma_f64 v[96:97], v[109:110], v[101:102], v[96:97]
	v_movrels_b32_e32 v102, v34
	s_add_i32 m0, s8, -4
	v_movrels_b32_e32 v101, v34
	s_add_i32 m0, s8, -1
	s_delay_alu instid0(VALU_DEP_1)
	v_fma_f64 v[96:97], v[101:102], v[103:104], v[96:97]
	v_movrels_b32_e32 v102, v34
	s_add_i32 m0, s8, -2
	s_add_u32 s2, s2, 8
	v_movrels_b32_e32 v101, v34
	s_mov_b32 m0, s8
	s_addc_u32 s3, s3, 0
	s_add_i32 s8, s2, -7
	s_add_i32 s7, s7, 64
	s_waitcnt lgkmcnt(0)
	s_delay_alu instid0(VALU_DEP_3) | instskip(SKIP_2) | instid1(VALU_DEP_1)
	v_fma_f64 v[96:97], v[101:102], v[105:106], v[96:97]
	v_movrels_b32_e32 v102, v35
	v_movrels_b32_e32 v101, v34
	v_fma_f64 v[96:97], v[101:102], v[107:108], v[96:97]
	v_add_nc_u32_e32 v101, s2, v100
	s_delay_alu instid0(VALU_DEP_1) | instskip(SKIP_2) | instid1(SALU_CYCLE_1)
	v_cmp_eq_u32_e32 vcc_lo, 16, v101
	v_mov_b32_e32 v101, s8
	s_or_b32 s6, vcc_lo, s6
	s_and_not1_b32 exec_lo, exec_lo, s6
	s_cbranch_execnz .LBB78_75
; %bb.76:
	s_or_b32 exec_lo, exec_lo, s6
.LBB78_77:
	s_delay_alu instid0(SALU_CYCLE_1) | instskip(SKIP_3) | instid1(VALU_DEP_1)
	s_or_b32 exec_lo, exec_lo, s1
	v_and_b32_e32 v64, 7, v99
	s_mov_b32 s3, 0
	s_mov_b32 s2, exec_lo
	v_cmpx_ne_u32_e32 0, v64
	s_cbranch_execz .LBB78_81
; %bb.78:
	v_lshl_add_u32 v65, v101, 3, 0x80
	v_mov_b32_e32 v99, 0
.LBB78_79:                              ; =>This Inner Loop Header: Depth=1
	v_cmp_eq_u32_e32 vcc_lo, 1, v101
	v_cmp_eq_u32_e64 s1, 2, v101
	v_add_nc_u32_e32 v64, -1, v64
	v_cndmask_b32_e32 v100, v35, v37, vcc_lo
	v_cndmask_b32_e32 v102, v34, v36, vcc_lo
	v_cmp_eq_u32_e32 vcc_lo, 3, v101
	s_delay_alu instid0(VALU_DEP_3) | instskip(NEXT) | instid1(VALU_DEP_3)
	v_cndmask_b32_e64 v100, v100, v39, s1
	v_cndmask_b32_e64 v102, v102, v38, s1
	v_cmp_eq_u32_e64 s1, 4, v101
	s_delay_alu instid0(VALU_DEP_3) | instskip(NEXT) | instid1(VALU_DEP_3)
	v_cndmask_b32_e32 v100, v100, v41, vcc_lo
	v_cndmask_b32_e32 v102, v102, v40, vcc_lo
	v_cmp_eq_u32_e32 vcc_lo, 5, v101
	s_delay_alu instid0(VALU_DEP_3) | instskip(NEXT) | instid1(VALU_DEP_3)
	v_cndmask_b32_e64 v100, v100, v43, s1
	v_cndmask_b32_e64 v102, v102, v42, s1
	v_cmp_eq_u32_e64 s1, 6, v101
	s_delay_alu instid0(VALU_DEP_3) | instskip(NEXT) | instid1(VALU_DEP_3)
	;; [unrolled: 8-line block ×4, first 2 shown]
	v_cndmask_b32_e32 v100, v100, v53, vcc_lo
	v_cndmask_b32_e32 v102, v102, v52, vcc_lo
	v_cmp_eq_u32_e32 vcc_lo, 11, v101
	s_delay_alu instid0(VALU_DEP_3) | instskip(NEXT) | instid1(VALU_DEP_3)
	v_cndmask_b32_e64 v100, v100, v55, s1
	v_cndmask_b32_e64 v104, v102, v54, s1
	ds_load_b64 v[102:103], v65
	v_add_nc_u32_e32 v65, 8, v65
	v_cmp_eq_u32_e64 s1, 12, v101
	v_cndmask_b32_e32 v100, v100, v57, vcc_lo
	v_cndmask_b32_e32 v104, v104, v56, vcc_lo
	v_cmp_eq_u32_e32 vcc_lo, 13, v101
	s_delay_alu instid0(VALU_DEP_3) | instskip(NEXT) | instid1(VALU_DEP_3)
	v_cndmask_b32_e64 v100, v100, v59, s1
	v_cndmask_b32_e64 v104, v104, v58, s1
	v_cmp_eq_u32_e64 s1, 14, v101
	s_delay_alu instid0(VALU_DEP_3) | instskip(NEXT) | instid1(VALU_DEP_3)
	v_cndmask_b32_e32 v100, v100, v61, vcc_lo
	v_cndmask_b32_e32 v104, v104, v60, vcc_lo
	v_cmp_eq_u32_e32 vcc_lo, 0, v64
	s_delay_alu instid0(VALU_DEP_3) | instskip(NEXT) | instid1(VALU_DEP_3)
	v_cndmask_b32_e64 v105, v100, v63, s1
	v_cndmask_b32_e64 v104, v104, v62, s1
	v_add_co_u32 v101, s1, v101, 1
	s_delay_alu instid0(VALU_DEP_1) | instskip(SKIP_1) | instid1(VALU_DEP_3)
	v_add_co_ci_u32_e64 v99, s1, 0, v99, s1
	s_waitcnt lgkmcnt(0)
	v_fma_f64 v[96:97], v[104:105], v[102:103], v[96:97]
	s_or_b32 s3, vcc_lo, s3
	s_delay_alu instid0(SALU_CYCLE_1)
	s_and_not1_b32 exec_lo, exec_lo, s3
	s_cbranch_execnz .LBB78_79
; %bb.80:
	s_or_b32 exec_lo, exec_lo, s3
.LBB78_81:
	s_delay_alu instid0(SALU_CYCLE_1)
	s_or_b32 exec_lo, exec_lo, s2
.LBB78_82:
	s_delay_alu instid0(SALU_CYCLE_1)
	s_or_b32 exec_lo, exec_lo, s5
	v_mov_b32_e32 v50, 0
	ds_load_b64 v[50:51], v50 offset:64
	s_waitcnt lgkmcnt(0)
	v_mul_f64 v[50:51], v[96:97], v[50:51]
.LBB78_83:
	s_or_b32 exec_lo, exec_lo, s4
	v_cmp_lt_u32_e64 s1, 7, v0
	ds_store_b64 v98, v[48:49]
	s_waitcnt lgkmcnt(0)
	s_barrier
	buffer_gl0_inv
	s_and_saveexec_b32 s4, s1
	s_cbranch_execz .LBB78_99
; %bb.84:
	s_and_not1_b32 vcc_lo, exec_lo, s15
	s_cbranch_vccnz .LBB78_86
; %bb.85:
	v_cmp_eq_u32_e32 vcc_lo, 1, v0
	v_dual_cndmask_b32 v96, v35, v37 :: v_dual_cndmask_b32 v97, v34, v36
	v_cmp_eq_u32_e32 vcc_lo, 2, v0
	s_delay_alu instid0(VALU_DEP_2) | instskip(SKIP_1) | instid1(VALU_DEP_2)
	v_dual_cndmask_b32 v96, v96, v39 :: v_dual_cndmask_b32 v97, v97, v38
	v_cmp_eq_u32_e32 vcc_lo, 3, v0
	v_dual_cndmask_b32 v96, v96, v41 :: v_dual_cndmask_b32 v97, v97, v40
	v_cmp_eq_u32_e32 vcc_lo, 4, v0
	s_delay_alu instid0(VALU_DEP_2) | instskip(SKIP_1) | instid1(VALU_DEP_2)
	v_dual_cndmask_b32 v96, v96, v43 :: v_dual_cndmask_b32 v97, v97, v42
	;; [unrolled: 5-line block ×5, first 2 shown]
	v_cmp_eq_u32_e32 vcc_lo, 11, v0
	v_dual_cndmask_b32 v99, v96, v57 :: v_dual_cndmask_b32 v100, v97, v56
	v_cmp_eq_u32_e32 vcc_lo, 12, v0
	ds_load_b64 v[96:97], v98
	v_dual_cndmask_b32 v99, v99, v59 :: v_dual_cndmask_b32 v100, v100, v58
	v_cmp_eq_u32_e32 vcc_lo, 13, v0
	s_delay_alu instid0(VALU_DEP_2) | instskip(NEXT) | instid1(VALU_DEP_3)
	v_cndmask_b32_e32 v99, v99, v61, vcc_lo
	v_cndmask_b32_e32 v101, v100, v60, vcc_lo
	v_cmp_eq_u32_e32 vcc_lo, 14, v0
	s_delay_alu instid0(VALU_DEP_2) | instskip(SKIP_1) | instid1(VALU_DEP_1)
	v_dual_cndmask_b32 v100, v99, v63 :: v_dual_cndmask_b32 v99, v101, v62
	s_waitcnt lgkmcnt(0)
	v_mul_f64 v[96:97], v[99:100], v[96:97]
	s_cbranch_execz .LBB78_87
	s_branch .LBB78_88
.LBB78_86:
                                        ; implicit-def: $vgpr96_vgpr97
.LBB78_87:
	ds_load_b64 v[96:97], v98
.LBB78_88:
	s_and_saveexec_b32 s5, s0
	s_cbranch_execz .LBB78_98
; %bb.89:
	v_add_nc_u32_e32 v99, -9, v0
	s_delay_alu instid0(VALU_DEP_1)
	v_cmp_lt_u32_e32 vcc_lo, 6, v99
	v_mov_b32_e32 v99, 8
	s_and_saveexec_b32 s0, vcc_lo
	s_cbranch_execz .LBB78_93
; %bb.90:
	v_and_b32_e32 v99, 8, v0
	s_mov_b32 s6, 0
	s_mov_b64 s[2:3], 15
	s_movk_i32 s7, 0xc0
	s_delay_alu instid0(VALU_DEP_1)
	v_sub_nc_u32_e32 v100, 0, v99
.LBB78_91:                              ; =>This Inner Loop Header: Depth=1
	v_mov_b32_e32 v99, s7
	s_lshl_b32 s8, s2, 1
	s_delay_alu instid0(SALU_CYCLE_1)
	s_add_i32 m0, s8, -13
	v_movrels_b32_e32 v110, v34
	ds_load_b128 v[101:104], v99
	ds_load_b128 v[105:108], v99 offset:16
	s_add_i32 m0, s8, -14
	v_movrels_b32_e32 v109, v34
	s_add_i32 m0, s8, -11
	s_waitcnt lgkmcnt(1)
	s_delay_alu instid0(VALU_DEP_1) | instskip(SKIP_4) | instid1(VALU_DEP_1)
	v_fma_f64 v[96:97], v[109:110], v[101:102], v[96:97]
	v_movrels_b32_e32 v102, v34
	s_add_i32 m0, s8, -12
	v_movrels_b32_e32 v101, v34
	s_add_i32 m0, s8, -9
	v_fma_f64 v[96:97], v[101:102], v[103:104], v[96:97]
	v_movrels_b32_e32 v102, v34
	s_add_i32 m0, s8, -10
	v_movrels_b32_e32 v101, v34
	s_add_i32 m0, s8, -7
	s_waitcnt lgkmcnt(0)
	s_delay_alu instid0(VALU_DEP_1)
	v_fma_f64 v[96:97], v[101:102], v[105:106], v[96:97]
	v_movrels_b32_e32 v102, v34
	s_add_i32 m0, s8, -8
	v_movrels_b32_e32 v101, v34
	s_add_i32 m0, s8, -5
	;; [unrolled: 2-line block ×4, first 2 shown]
	v_fma_f64 v[96:97], v[101:102], v[107:108], v[96:97]
	ds_load_b128 v[101:104], v99 offset:32
	ds_load_b128 v[105:108], v99 offset:48
	s_waitcnt lgkmcnt(1)
	v_fma_f64 v[96:97], v[109:110], v[101:102], v[96:97]
	v_movrels_b32_e32 v102, v34
	s_add_i32 m0, s8, -4
	v_movrels_b32_e32 v101, v34
	s_add_i32 m0, s8, -1
	s_delay_alu instid0(VALU_DEP_1)
	v_fma_f64 v[96:97], v[101:102], v[103:104], v[96:97]
	v_movrels_b32_e32 v102, v34
	s_add_i32 m0, s8, -2
	s_add_u32 s2, s2, 8
	v_movrels_b32_e32 v101, v34
	s_mov_b32 m0, s8
	v_add_nc_u32_e32 v99, s2, v100
	s_addc_u32 s3, s3, 0
	s_add_i32 s8, s2, -7
	s_add_i32 s7, s7, 64
	s_delay_alu instid0(VALU_DEP_1)
	v_cmp_eq_u32_e32 vcc_lo, 7, v99
	v_mov_b32_e32 v99, s8
	s_or_b32 s6, vcc_lo, s6
	s_waitcnt lgkmcnt(0)
	v_fma_f64 v[96:97], v[101:102], v[105:106], v[96:97]
	v_movrels_b32_e32 v102, v35
	v_movrels_b32_e32 v101, v34
	s_delay_alu instid0(VALU_DEP_1)
	v_fma_f64 v[96:97], v[101:102], v[107:108], v[96:97]
	s_and_not1_b32 exec_lo, exec_lo, s6
	s_cbranch_execnz .LBB78_91
; %bb.92:
	s_or_b32 exec_lo, exec_lo, s6
.LBB78_93:
	s_delay_alu instid0(SALU_CYCLE_1) | instskip(SKIP_3) | instid1(VALU_DEP_1)
	s_or_b32 exec_lo, exec_lo, s0
	v_and_b32_e32 v64, 7, v0
	s_mov_b32 s3, 0
	s_mov_b32 s2, exec_lo
	v_cmpx_ne_u32_e32 0, v64
	s_cbranch_execz .LBB78_97
; %bb.94:
	v_lshl_add_u32 v65, v99, 3, 0x80
	v_mov_b32_e32 v100, 0
.LBB78_95:                              ; =>This Inner Loop Header: Depth=1
	v_cmp_eq_u32_e32 vcc_lo, 1, v99
	v_cmp_eq_u32_e64 s0, 2, v99
	v_dual_cndmask_b32 v101, v35, v37 :: v_dual_add_nc_u32 v64, -1, v64
	v_cndmask_b32_e32 v102, v34, v36, vcc_lo
	v_cmp_eq_u32_e32 vcc_lo, 3, v99
	s_delay_alu instid0(VALU_DEP_3) | instskip(NEXT) | instid1(VALU_DEP_3)
	v_cndmask_b32_e64 v101, v101, v39, s0
	v_cndmask_b32_e64 v102, v102, v38, s0
	v_cmp_eq_u32_e64 s0, 4, v99
	s_delay_alu instid0(VALU_DEP_2) | instskip(SKIP_1) | instid1(VALU_DEP_2)
	v_dual_cndmask_b32 v101, v101, v41 :: v_dual_cndmask_b32 v102, v102, v40
	v_cmp_eq_u32_e32 vcc_lo, 5, v99
	v_cndmask_b32_e64 v101, v101, v43, s0
	s_delay_alu instid0(VALU_DEP_3) | instskip(SKIP_1) | instid1(VALU_DEP_2)
	v_cndmask_b32_e64 v102, v102, v42, s0
	v_cmp_eq_u32_e64 s0, 6, v99
	v_dual_cndmask_b32 v101, v101, v45 :: v_dual_cndmask_b32 v102, v102, v44
	v_cmp_eq_u32_e32 vcc_lo, 7, v99
	s_delay_alu instid0(VALU_DEP_2) | instskip(NEXT) | instid1(VALU_DEP_3)
	v_cndmask_b32_e64 v101, v101, v47, s0
	v_cndmask_b32_e64 v102, v102, v46, s0
	v_cmp_eq_u32_e64 s0, 8, v99
	s_delay_alu instid0(VALU_DEP_2) | instskip(SKIP_1) | instid1(VALU_DEP_2)
	v_dual_cndmask_b32 v101, v101, v49 :: v_dual_cndmask_b32 v102, v102, v48
	v_cmp_eq_u32_e32 vcc_lo, 9, v99
	v_cndmask_b32_e64 v101, v101, v51, s0
	s_delay_alu instid0(VALU_DEP_3) | instskip(SKIP_1) | instid1(VALU_DEP_2)
	v_cndmask_b32_e64 v102, v102, v50, s0
	v_cmp_eq_u32_e64 s0, 10, v99
	v_dual_cndmask_b32 v101, v101, v53 :: v_dual_cndmask_b32 v102, v102, v52
	v_cmp_eq_u32_e32 vcc_lo, 11, v99
	s_delay_alu instid0(VALU_DEP_2) | instskip(NEXT) | instid1(VALU_DEP_3)
	v_cndmask_b32_e64 v103, v101, v55, s0
	v_cndmask_b32_e64 v104, v102, v54, s0
	ds_load_b64 v[101:102], v65
	v_cmp_eq_u32_e64 s0, 12, v99
	v_add_nc_u32_e32 v65, 8, v65
	v_dual_cndmask_b32 v103, v103, v57 :: v_dual_cndmask_b32 v104, v104, v56
	v_cmp_eq_u32_e32 vcc_lo, 13, v99
	s_delay_alu instid0(VALU_DEP_2) | instskip(NEXT) | instid1(VALU_DEP_3)
	v_cndmask_b32_e64 v103, v103, v59, s0
	v_cndmask_b32_e64 v104, v104, v58, s0
	v_cmp_eq_u32_e64 s0, 14, v99
	s_delay_alu instid0(VALU_DEP_3) | instskip(NEXT) | instid1(VALU_DEP_3)
	v_cndmask_b32_e32 v103, v103, v61, vcc_lo
	v_cndmask_b32_e32 v105, v104, v60, vcc_lo
	v_cmp_eq_u32_e32 vcc_lo, 0, v64
	s_delay_alu instid0(VALU_DEP_3) | instskip(NEXT) | instid1(VALU_DEP_3)
	v_cndmask_b32_e64 v104, v103, v63, s0
	v_cndmask_b32_e64 v103, v105, v62, s0
	v_add_co_u32 v99, s0, v99, 1
	s_delay_alu instid0(VALU_DEP_1) | instskip(SKIP_1) | instid1(VALU_DEP_3)
	v_add_co_ci_u32_e64 v100, s0, 0, v100, s0
	s_waitcnt lgkmcnt(0)
	v_fma_f64 v[96:97], v[103:104], v[101:102], v[96:97]
	s_or_b32 s3, vcc_lo, s3
	s_delay_alu instid0(SALU_CYCLE_1)
	s_and_not1_b32 exec_lo, exec_lo, s3
	s_cbranch_execnz .LBB78_95
; %bb.96:
	s_or_b32 exec_lo, exec_lo, s3
.LBB78_97:
	s_delay_alu instid0(SALU_CYCLE_1)
	s_or_b32 exec_lo, exec_lo, s2
.LBB78_98:
	s_delay_alu instid0(SALU_CYCLE_1)
	s_or_b32 exec_lo, exec_lo, s5
	v_mov_b32_e32 v48, 0
	ds_load_b64 v[48:49], v48 offset:56
	s_waitcnt lgkmcnt(0)
	v_mul_f64 v[48:49], v[96:97], v[48:49]
.LBB78_99:
	s_or_b32 exec_lo, exec_lo, s4
	v_cmp_lt_u32_e64 s0, 6, v0
	ds_store_b64 v98, v[46:47]
	s_waitcnt lgkmcnt(0)
	s_barrier
	buffer_gl0_inv
	s_and_saveexec_b32 s4, s0
	s_cbranch_execz .LBB78_115
; %bb.100:
	s_and_not1_b32 vcc_lo, exec_lo, s15
	s_cbranch_vccnz .LBB78_102
; %bb.101:
	v_cmp_eq_u32_e32 vcc_lo, 1, v0
	v_dual_cndmask_b32 v96, v35, v37 :: v_dual_cndmask_b32 v97, v34, v36
	v_cmp_eq_u32_e32 vcc_lo, 2, v0
	s_delay_alu instid0(VALU_DEP_2) | instskip(SKIP_1) | instid1(VALU_DEP_2)
	v_dual_cndmask_b32 v96, v96, v39 :: v_dual_cndmask_b32 v97, v97, v38
	v_cmp_eq_u32_e32 vcc_lo, 3, v0
	v_dual_cndmask_b32 v96, v96, v41 :: v_dual_cndmask_b32 v97, v97, v40
	v_cmp_eq_u32_e32 vcc_lo, 4, v0
	s_delay_alu instid0(VALU_DEP_2) | instskip(SKIP_1) | instid1(VALU_DEP_2)
	v_dual_cndmask_b32 v96, v96, v43 :: v_dual_cndmask_b32 v97, v97, v42
	;; [unrolled: 5-line block ×5, first 2 shown]
	v_cmp_eq_u32_e32 vcc_lo, 11, v0
	v_dual_cndmask_b32 v99, v96, v57 :: v_dual_cndmask_b32 v100, v97, v56
	v_cmp_eq_u32_e32 vcc_lo, 12, v0
	ds_load_b64 v[96:97], v98
	v_dual_cndmask_b32 v99, v99, v59 :: v_dual_cndmask_b32 v100, v100, v58
	v_cmp_eq_u32_e32 vcc_lo, 13, v0
	s_delay_alu instid0(VALU_DEP_2) | instskip(NEXT) | instid1(VALU_DEP_3)
	v_cndmask_b32_e32 v99, v99, v61, vcc_lo
	v_cndmask_b32_e32 v101, v100, v60, vcc_lo
	v_cmp_eq_u32_e32 vcc_lo, 14, v0
	s_delay_alu instid0(VALU_DEP_2) | instskip(SKIP_1) | instid1(VALU_DEP_1)
	v_dual_cndmask_b32 v100, v99, v63 :: v_dual_cndmask_b32 v99, v101, v62
	s_waitcnt lgkmcnt(0)
	v_mul_f64 v[96:97], v[99:100], v[96:97]
	s_cbranch_execz .LBB78_103
	s_branch .LBB78_104
.LBB78_102:
                                        ; implicit-def: $vgpr96_vgpr97
.LBB78_103:
	ds_load_b64 v[96:97], v98
.LBB78_104:
	s_and_saveexec_b32 s5, s1
	s_cbranch_execz .LBB78_114
; %bb.105:
	v_dual_mov_b32 v101, 7 :: v_dual_add_nc_u32 v100, -8, v0
	v_add_nc_u32_e32 v99, -7, v0
	s_mov_b32 s1, exec_lo
	s_delay_alu instid0(VALU_DEP_2)
	v_cmpx_lt_u32_e32 6, v100
	s_cbranch_execz .LBB78_109
; %bb.106:
	s_delay_alu instid0(VALU_DEP_2) | instskip(SKIP_3) | instid1(VALU_DEP_1)
	v_and_b32_e32 v100, -8, v99
	s_mov_b32 s6, 0
	s_mov_b64 s[2:3], 14
	s_movk_i32 s7, 0xb8
	v_sub_nc_u32_e32 v100, 0, v100
.LBB78_107:                             ; =>This Inner Loop Header: Depth=1
	v_mov_b32_e32 v111, s7
	s_lshl_b32 s8, s2, 1
	s_delay_alu instid0(SALU_CYCLE_1)
	s_add_i32 m0, s8, -13
	v_movrels_b32_e32 v110, v34
	ds_load_2addr_b64 v[101:104], v111 offset1:1
	ds_load_2addr_b64 v[105:108], v111 offset0:2 offset1:3
	s_add_i32 m0, s8, -14
	v_movrels_b32_e32 v109, v34
	s_add_i32 m0, s8, -11
	s_waitcnt lgkmcnt(1)
	s_delay_alu instid0(VALU_DEP_1) | instskip(SKIP_4) | instid1(VALU_DEP_1)
	v_fma_f64 v[96:97], v[109:110], v[101:102], v[96:97]
	v_movrels_b32_e32 v102, v34
	s_add_i32 m0, s8, -12
	v_movrels_b32_e32 v101, v34
	s_add_i32 m0, s8, -9
	v_fma_f64 v[96:97], v[101:102], v[103:104], v[96:97]
	v_movrels_b32_e32 v102, v34
	s_add_i32 m0, s8, -10
	v_movrels_b32_e32 v101, v34
	s_add_i32 m0, s8, -7
	s_waitcnt lgkmcnt(0)
	s_delay_alu instid0(VALU_DEP_1)
	v_fma_f64 v[96:97], v[101:102], v[105:106], v[96:97]
	v_movrels_b32_e32 v102, v34
	s_add_i32 m0, s8, -8
	v_movrels_b32_e32 v101, v34
	s_add_i32 m0, s8, -5
	;; [unrolled: 2-line block ×4, first 2 shown]
	v_fma_f64 v[96:97], v[101:102], v[107:108], v[96:97]
	ds_load_2addr_b64 v[101:104], v111 offset0:4 offset1:5
	ds_load_2addr_b64 v[105:108], v111 offset0:6 offset1:7
	s_waitcnt lgkmcnt(1)
	v_fma_f64 v[96:97], v[109:110], v[101:102], v[96:97]
	v_movrels_b32_e32 v102, v34
	s_add_i32 m0, s8, -4
	v_movrels_b32_e32 v101, v34
	s_add_i32 m0, s8, -1
	s_delay_alu instid0(VALU_DEP_1)
	v_fma_f64 v[96:97], v[101:102], v[103:104], v[96:97]
	v_movrels_b32_e32 v102, v34
	s_add_i32 m0, s8, -2
	s_add_u32 s2, s2, 8
	v_movrels_b32_e32 v101, v34
	s_mov_b32 m0, s8
	s_addc_u32 s3, s3, 0
	s_add_i32 s8, s2, -7
	s_add_i32 s7, s7, 64
	s_waitcnt lgkmcnt(0)
	s_delay_alu instid0(VALU_DEP_3) | instskip(SKIP_2) | instid1(VALU_DEP_1)
	v_fma_f64 v[96:97], v[101:102], v[105:106], v[96:97]
	v_movrels_b32_e32 v102, v35
	v_movrels_b32_e32 v101, v34
	v_fma_f64 v[96:97], v[101:102], v[107:108], v[96:97]
	v_add_nc_u32_e32 v101, s2, v100
	s_delay_alu instid0(VALU_DEP_1) | instskip(SKIP_2) | instid1(SALU_CYCLE_1)
	v_cmp_eq_u32_e32 vcc_lo, 14, v101
	v_mov_b32_e32 v101, s8
	s_or_b32 s6, vcc_lo, s6
	s_and_not1_b32 exec_lo, exec_lo, s6
	s_cbranch_execnz .LBB78_107
; %bb.108:
	s_or_b32 exec_lo, exec_lo, s6
.LBB78_109:
	s_delay_alu instid0(SALU_CYCLE_1) | instskip(SKIP_3) | instid1(VALU_DEP_1)
	s_or_b32 exec_lo, exec_lo, s1
	v_and_b32_e32 v64, 7, v99
	s_mov_b32 s3, 0
	s_mov_b32 s2, exec_lo
	v_cmpx_ne_u32_e32 0, v64
	s_cbranch_execz .LBB78_113
; %bb.110:
	v_lshl_add_u32 v65, v101, 3, 0x80
	v_mov_b32_e32 v99, 0
.LBB78_111:                             ; =>This Inner Loop Header: Depth=1
	v_cmp_eq_u32_e32 vcc_lo, 1, v101
	v_cmp_eq_u32_e64 s1, 2, v101
	v_add_nc_u32_e32 v64, -1, v64
	v_cndmask_b32_e32 v100, v35, v37, vcc_lo
	v_cndmask_b32_e32 v102, v34, v36, vcc_lo
	v_cmp_eq_u32_e32 vcc_lo, 3, v101
	s_delay_alu instid0(VALU_DEP_3) | instskip(NEXT) | instid1(VALU_DEP_3)
	v_cndmask_b32_e64 v100, v100, v39, s1
	v_cndmask_b32_e64 v102, v102, v38, s1
	v_cmp_eq_u32_e64 s1, 4, v101
	s_delay_alu instid0(VALU_DEP_3) | instskip(NEXT) | instid1(VALU_DEP_3)
	v_cndmask_b32_e32 v100, v100, v41, vcc_lo
	v_cndmask_b32_e32 v102, v102, v40, vcc_lo
	v_cmp_eq_u32_e32 vcc_lo, 5, v101
	s_delay_alu instid0(VALU_DEP_3) | instskip(NEXT) | instid1(VALU_DEP_3)
	v_cndmask_b32_e64 v100, v100, v43, s1
	v_cndmask_b32_e64 v102, v102, v42, s1
	v_cmp_eq_u32_e64 s1, 6, v101
	s_delay_alu instid0(VALU_DEP_3) | instskip(NEXT) | instid1(VALU_DEP_3)
	;; [unrolled: 8-line block ×4, first 2 shown]
	v_cndmask_b32_e32 v100, v100, v53, vcc_lo
	v_cndmask_b32_e32 v102, v102, v52, vcc_lo
	v_cmp_eq_u32_e32 vcc_lo, 11, v101
	s_delay_alu instid0(VALU_DEP_3) | instskip(NEXT) | instid1(VALU_DEP_3)
	v_cndmask_b32_e64 v100, v100, v55, s1
	v_cndmask_b32_e64 v104, v102, v54, s1
	ds_load_b64 v[102:103], v65
	v_add_nc_u32_e32 v65, 8, v65
	v_cmp_eq_u32_e64 s1, 12, v101
	v_cndmask_b32_e32 v100, v100, v57, vcc_lo
	v_cndmask_b32_e32 v104, v104, v56, vcc_lo
	v_cmp_eq_u32_e32 vcc_lo, 13, v101
	s_delay_alu instid0(VALU_DEP_3) | instskip(NEXT) | instid1(VALU_DEP_3)
	v_cndmask_b32_e64 v100, v100, v59, s1
	v_cndmask_b32_e64 v104, v104, v58, s1
	v_cmp_eq_u32_e64 s1, 14, v101
	s_delay_alu instid0(VALU_DEP_3) | instskip(NEXT) | instid1(VALU_DEP_3)
	v_cndmask_b32_e32 v100, v100, v61, vcc_lo
	v_cndmask_b32_e32 v104, v104, v60, vcc_lo
	v_cmp_eq_u32_e32 vcc_lo, 0, v64
	s_delay_alu instid0(VALU_DEP_3) | instskip(NEXT) | instid1(VALU_DEP_3)
	v_cndmask_b32_e64 v105, v100, v63, s1
	v_cndmask_b32_e64 v104, v104, v62, s1
	v_add_co_u32 v101, s1, v101, 1
	s_delay_alu instid0(VALU_DEP_1) | instskip(SKIP_1) | instid1(VALU_DEP_3)
	v_add_co_ci_u32_e64 v99, s1, 0, v99, s1
	s_waitcnt lgkmcnt(0)
	v_fma_f64 v[96:97], v[104:105], v[102:103], v[96:97]
	s_or_b32 s3, vcc_lo, s3
	s_delay_alu instid0(SALU_CYCLE_1)
	s_and_not1_b32 exec_lo, exec_lo, s3
	s_cbranch_execnz .LBB78_111
; %bb.112:
	s_or_b32 exec_lo, exec_lo, s3
.LBB78_113:
	s_delay_alu instid0(SALU_CYCLE_1)
	s_or_b32 exec_lo, exec_lo, s2
.LBB78_114:
	s_delay_alu instid0(SALU_CYCLE_1)
	s_or_b32 exec_lo, exec_lo, s5
	v_mov_b32_e32 v46, 0
	ds_load_b64 v[46:47], v46 offset:48
	s_waitcnt lgkmcnt(0)
	v_mul_f64 v[46:47], v[96:97], v[46:47]
.LBB78_115:
	s_or_b32 exec_lo, exec_lo, s4
	v_cmp_lt_u32_e64 s2, 5, v0
	ds_store_b64 v98, v[44:45]
	s_waitcnt lgkmcnt(0)
	s_barrier
	buffer_gl0_inv
	s_and_saveexec_b32 s3, s2
	s_cbranch_execz .LBB78_131
; %bb.116:
	s_and_not1_b32 vcc_lo, exec_lo, s15
	s_cbranch_vccnz .LBB78_118
; %bb.117:
	v_cmp_eq_u32_e32 vcc_lo, 1, v0
	v_dual_cndmask_b32 v96, v35, v37 :: v_dual_cndmask_b32 v97, v34, v36
	v_cmp_eq_u32_e32 vcc_lo, 2, v0
	s_delay_alu instid0(VALU_DEP_2) | instskip(SKIP_1) | instid1(VALU_DEP_2)
	v_dual_cndmask_b32 v96, v96, v39 :: v_dual_cndmask_b32 v97, v97, v38
	v_cmp_eq_u32_e32 vcc_lo, 3, v0
	v_dual_cndmask_b32 v96, v96, v41 :: v_dual_cndmask_b32 v97, v97, v40
	v_cmp_eq_u32_e32 vcc_lo, 4, v0
	s_delay_alu instid0(VALU_DEP_2) | instskip(SKIP_1) | instid1(VALU_DEP_2)
	v_dual_cndmask_b32 v96, v96, v43 :: v_dual_cndmask_b32 v97, v97, v42
	;; [unrolled: 5-line block ×5, first 2 shown]
	v_cmp_eq_u32_e32 vcc_lo, 11, v0
	v_dual_cndmask_b32 v99, v96, v57 :: v_dual_cndmask_b32 v100, v97, v56
	v_cmp_eq_u32_e32 vcc_lo, 12, v0
	ds_load_b64 v[96:97], v98
	v_dual_cndmask_b32 v99, v99, v59 :: v_dual_cndmask_b32 v100, v100, v58
	v_cmp_eq_u32_e32 vcc_lo, 13, v0
	s_delay_alu instid0(VALU_DEP_2) | instskip(NEXT) | instid1(VALU_DEP_3)
	v_cndmask_b32_e32 v99, v99, v61, vcc_lo
	v_cndmask_b32_e32 v101, v100, v60, vcc_lo
	v_cmp_eq_u32_e32 vcc_lo, 14, v0
	s_delay_alu instid0(VALU_DEP_2) | instskip(SKIP_1) | instid1(VALU_DEP_1)
	v_dual_cndmask_b32 v100, v99, v63 :: v_dual_cndmask_b32 v99, v101, v62
	s_waitcnt lgkmcnt(0)
	v_mul_f64 v[96:97], v[99:100], v[96:97]
	s_cbranch_execz .LBB78_119
	s_branch .LBB78_120
.LBB78_118:
                                        ; implicit-def: $vgpr96_vgpr97
.LBB78_119:
	ds_load_b64 v[96:97], v98
.LBB78_120:
	s_and_saveexec_b32 s4, s0
	s_cbranch_execz .LBB78_130
; %bb.121:
	v_add_nc_u32_e32 v100, -7, v0
	v_add_nc_u32_e32 v99, -6, v0
	s_delay_alu instid0(VALU_DEP_2)
	v_cmp_lt_u32_e32 vcc_lo, 6, v100
	v_mov_b32_e32 v100, 6
	s_and_saveexec_b32 s5, vcc_lo
	s_cbranch_execz .LBB78_125
; %bb.122:
	v_and_b32_e32 v100, -8, v99
	s_mov_b32 s6, 0
	s_mov_b64 s[0:1], 13
	s_movk_i32 s7, 0xb0
	s_delay_alu instid0(VALU_DEP_1)
	v_sub_nc_u32_e32 v101, 0, v100
.LBB78_123:                             ; =>This Inner Loop Header: Depth=1
	v_mov_b32_e32 v100, s7
	s_lshl_b32 s8, s0, 1
	s_delay_alu instid0(SALU_CYCLE_1)
	s_add_i32 m0, s8, -13
	v_movrels_b32_e32 v111, v34
	ds_load_b128 v[102:105], v100
	ds_load_b128 v[106:109], v100 offset:16
	s_add_i32 m0, s8, -14
	v_movrels_b32_e32 v110, v34
	s_add_i32 m0, s8, -11
	s_waitcnt lgkmcnt(1)
	s_delay_alu instid0(VALU_DEP_1) | instskip(SKIP_4) | instid1(VALU_DEP_1)
	v_fma_f64 v[96:97], v[110:111], v[102:103], v[96:97]
	v_movrels_b32_e32 v103, v34
	s_add_i32 m0, s8, -12
	v_movrels_b32_e32 v102, v34
	s_add_i32 m0, s8, -9
	v_fma_f64 v[96:97], v[102:103], v[104:105], v[96:97]
	v_movrels_b32_e32 v103, v34
	s_add_i32 m0, s8, -10
	v_movrels_b32_e32 v102, v34
	s_add_i32 m0, s8, -7
	s_waitcnt lgkmcnt(0)
	s_delay_alu instid0(VALU_DEP_1)
	v_fma_f64 v[96:97], v[102:103], v[106:107], v[96:97]
	v_movrels_b32_e32 v103, v34
	s_add_i32 m0, s8, -8
	v_movrels_b32_e32 v102, v34
	s_add_i32 m0, s8, -5
	;; [unrolled: 2-line block ×4, first 2 shown]
	v_fma_f64 v[96:97], v[102:103], v[108:109], v[96:97]
	ds_load_b128 v[102:105], v100 offset:32
	ds_load_b128 v[106:109], v100 offset:48
	s_waitcnt lgkmcnt(1)
	v_fma_f64 v[96:97], v[110:111], v[102:103], v[96:97]
	v_movrels_b32_e32 v103, v34
	s_add_i32 m0, s8, -4
	v_movrels_b32_e32 v102, v34
	s_add_i32 m0, s8, -1
	s_delay_alu instid0(VALU_DEP_1)
	v_fma_f64 v[96:97], v[102:103], v[104:105], v[96:97]
	v_movrels_b32_e32 v103, v34
	s_add_i32 m0, s8, -2
	s_add_u32 s0, s0, 8
	v_movrels_b32_e32 v102, v34
	s_mov_b32 m0, s8
	v_add_nc_u32_e32 v100, s0, v101
	s_addc_u32 s1, s1, 0
	s_add_i32 s8, s0, -7
	s_add_i32 s7, s7, 64
	s_delay_alu instid0(VALU_DEP_1)
	v_cmp_eq_u32_e32 vcc_lo, 13, v100
	v_mov_b32_e32 v100, s8
	s_or_b32 s6, vcc_lo, s6
	s_waitcnt lgkmcnt(0)
	v_fma_f64 v[96:97], v[102:103], v[106:107], v[96:97]
	v_movrels_b32_e32 v103, v35
	v_movrels_b32_e32 v102, v34
	s_delay_alu instid0(VALU_DEP_1)
	v_fma_f64 v[96:97], v[102:103], v[108:109], v[96:97]
	s_and_not1_b32 exec_lo, exec_lo, s6
	s_cbranch_execnz .LBB78_123
; %bb.124:
	s_or_b32 exec_lo, exec_lo, s6
.LBB78_125:
	s_delay_alu instid0(SALU_CYCLE_1) | instskip(SKIP_3) | instid1(VALU_DEP_1)
	s_or_b32 exec_lo, exec_lo, s5
	v_and_b32_e32 v64, 7, v99
	s_mov_b32 s5, 0
	s_mov_b32 s1, exec_lo
	v_cmpx_ne_u32_e32 0, v64
	s_cbranch_execz .LBB78_129
; %bb.126:
	v_lshl_add_u32 v65, v100, 3, 0x80
	v_mov_b32_e32 v99, 0
.LBB78_127:                             ; =>This Inner Loop Header: Depth=1
	v_cmp_eq_u32_e32 vcc_lo, 1, v100
	v_cmp_eq_u32_e64 s0, 2, v100
	v_dual_cndmask_b32 v101, v35, v37 :: v_dual_add_nc_u32 v64, -1, v64
	v_cndmask_b32_e32 v102, v34, v36, vcc_lo
	v_cmp_eq_u32_e32 vcc_lo, 3, v100
	s_delay_alu instid0(VALU_DEP_3) | instskip(NEXT) | instid1(VALU_DEP_3)
	v_cndmask_b32_e64 v101, v101, v39, s0
	v_cndmask_b32_e64 v102, v102, v38, s0
	v_cmp_eq_u32_e64 s0, 4, v100
	s_delay_alu instid0(VALU_DEP_2) | instskip(SKIP_1) | instid1(VALU_DEP_2)
	v_dual_cndmask_b32 v101, v101, v41 :: v_dual_cndmask_b32 v102, v102, v40
	v_cmp_eq_u32_e32 vcc_lo, 5, v100
	v_cndmask_b32_e64 v101, v101, v43, s0
	s_delay_alu instid0(VALU_DEP_3) | instskip(SKIP_1) | instid1(VALU_DEP_2)
	v_cndmask_b32_e64 v102, v102, v42, s0
	v_cmp_eq_u32_e64 s0, 6, v100
	v_dual_cndmask_b32 v101, v101, v45 :: v_dual_cndmask_b32 v102, v102, v44
	v_cmp_eq_u32_e32 vcc_lo, 7, v100
	s_delay_alu instid0(VALU_DEP_2) | instskip(NEXT) | instid1(VALU_DEP_3)
	v_cndmask_b32_e64 v101, v101, v47, s0
	v_cndmask_b32_e64 v102, v102, v46, s0
	v_cmp_eq_u32_e64 s0, 8, v100
	s_delay_alu instid0(VALU_DEP_2) | instskip(SKIP_1) | instid1(VALU_DEP_2)
	v_dual_cndmask_b32 v101, v101, v49 :: v_dual_cndmask_b32 v102, v102, v48
	v_cmp_eq_u32_e32 vcc_lo, 9, v100
	v_cndmask_b32_e64 v101, v101, v51, s0
	s_delay_alu instid0(VALU_DEP_3) | instskip(SKIP_1) | instid1(VALU_DEP_2)
	v_cndmask_b32_e64 v102, v102, v50, s0
	v_cmp_eq_u32_e64 s0, 10, v100
	v_dual_cndmask_b32 v101, v101, v53 :: v_dual_cndmask_b32 v102, v102, v52
	v_cmp_eq_u32_e32 vcc_lo, 11, v100
	s_delay_alu instid0(VALU_DEP_2) | instskip(NEXT) | instid1(VALU_DEP_3)
	v_cndmask_b32_e64 v103, v101, v55, s0
	v_cndmask_b32_e64 v104, v102, v54, s0
	ds_load_b64 v[101:102], v65
	v_cmp_eq_u32_e64 s0, 12, v100
	v_add_nc_u32_e32 v65, 8, v65
	v_dual_cndmask_b32 v103, v103, v57 :: v_dual_cndmask_b32 v104, v104, v56
	v_cmp_eq_u32_e32 vcc_lo, 13, v100
	s_delay_alu instid0(VALU_DEP_2) | instskip(NEXT) | instid1(VALU_DEP_3)
	v_cndmask_b32_e64 v103, v103, v59, s0
	v_cndmask_b32_e64 v104, v104, v58, s0
	v_cmp_eq_u32_e64 s0, 14, v100
	s_delay_alu instid0(VALU_DEP_3) | instskip(NEXT) | instid1(VALU_DEP_3)
	v_cndmask_b32_e32 v103, v103, v61, vcc_lo
	v_cndmask_b32_e32 v105, v104, v60, vcc_lo
	v_cmp_eq_u32_e32 vcc_lo, 0, v64
	s_delay_alu instid0(VALU_DEP_3) | instskip(NEXT) | instid1(VALU_DEP_3)
	v_cndmask_b32_e64 v104, v103, v63, s0
	v_cndmask_b32_e64 v103, v105, v62, s0
	v_add_co_u32 v100, s0, v100, 1
	s_delay_alu instid0(VALU_DEP_1) | instskip(SKIP_1) | instid1(VALU_DEP_3)
	v_add_co_ci_u32_e64 v99, s0, 0, v99, s0
	s_waitcnt lgkmcnt(0)
	v_fma_f64 v[96:97], v[103:104], v[101:102], v[96:97]
	s_or_b32 s5, vcc_lo, s5
	s_delay_alu instid0(SALU_CYCLE_1)
	s_and_not1_b32 exec_lo, exec_lo, s5
	s_cbranch_execnz .LBB78_127
; %bb.128:
	s_or_b32 exec_lo, exec_lo, s5
.LBB78_129:
	s_delay_alu instid0(SALU_CYCLE_1)
	s_or_b32 exec_lo, exec_lo, s1
.LBB78_130:
	s_delay_alu instid0(SALU_CYCLE_1)
	s_or_b32 exec_lo, exec_lo, s4
	v_mov_b32_e32 v44, 0
	ds_load_b64 v[44:45], v44 offset:40
	s_waitcnt lgkmcnt(0)
	v_mul_f64 v[44:45], v[96:97], v[44:45]
.LBB78_131:
	s_or_b32 exec_lo, exec_lo, s3
	v_cmp_lt_u32_e64 s1, 4, v0
	ds_store_b64 v98, v[42:43]
	s_waitcnt lgkmcnt(0)
	s_barrier
	buffer_gl0_inv
	s_and_saveexec_b32 s4, s1
	s_cbranch_execz .LBB78_147
; %bb.132:
	s_and_not1_b32 vcc_lo, exec_lo, s15
	s_cbranch_vccnz .LBB78_134
; %bb.133:
	v_cmp_eq_u32_e32 vcc_lo, 1, v0
	v_dual_cndmask_b32 v96, v35, v37 :: v_dual_cndmask_b32 v97, v34, v36
	v_cmp_eq_u32_e32 vcc_lo, 2, v0
	s_delay_alu instid0(VALU_DEP_2) | instskip(SKIP_1) | instid1(VALU_DEP_2)
	v_dual_cndmask_b32 v96, v96, v39 :: v_dual_cndmask_b32 v97, v97, v38
	v_cmp_eq_u32_e32 vcc_lo, 3, v0
	v_dual_cndmask_b32 v96, v96, v41 :: v_dual_cndmask_b32 v97, v97, v40
	v_cmp_eq_u32_e32 vcc_lo, 4, v0
	s_delay_alu instid0(VALU_DEP_2) | instskip(SKIP_1) | instid1(VALU_DEP_2)
	v_dual_cndmask_b32 v96, v96, v43 :: v_dual_cndmask_b32 v97, v97, v42
	;; [unrolled: 5-line block ×5, first 2 shown]
	v_cmp_eq_u32_e32 vcc_lo, 11, v0
	v_dual_cndmask_b32 v99, v96, v57 :: v_dual_cndmask_b32 v100, v97, v56
	v_cmp_eq_u32_e32 vcc_lo, 12, v0
	ds_load_b64 v[96:97], v98
	v_dual_cndmask_b32 v99, v99, v59 :: v_dual_cndmask_b32 v100, v100, v58
	v_cmp_eq_u32_e32 vcc_lo, 13, v0
	s_delay_alu instid0(VALU_DEP_2) | instskip(NEXT) | instid1(VALU_DEP_3)
	v_cndmask_b32_e32 v99, v99, v61, vcc_lo
	v_cndmask_b32_e32 v101, v100, v60, vcc_lo
	v_cmp_eq_u32_e32 vcc_lo, 14, v0
	s_delay_alu instid0(VALU_DEP_2) | instskip(SKIP_1) | instid1(VALU_DEP_1)
	v_dual_cndmask_b32 v100, v99, v63 :: v_dual_cndmask_b32 v99, v101, v62
	s_waitcnt lgkmcnt(0)
	v_mul_f64 v[96:97], v[99:100], v[96:97]
	s_cbranch_execz .LBB78_135
	s_branch .LBB78_136
.LBB78_134:
                                        ; implicit-def: $vgpr96_vgpr97
.LBB78_135:
	ds_load_b64 v[96:97], v98
.LBB78_136:
	s_and_saveexec_b32 s5, s2
	s_cbranch_execz .LBB78_146
; %bb.137:
	v_dual_mov_b32 v101, 5 :: v_dual_add_nc_u32 v100, -6, v0
	v_add_nc_u32_e32 v99, -5, v0
	s_mov_b32 s0, exec_lo
	s_delay_alu instid0(VALU_DEP_2)
	v_cmpx_lt_u32_e32 6, v100
	s_cbranch_execz .LBB78_141
; %bb.138:
	s_delay_alu instid0(VALU_DEP_2) | instskip(SKIP_3) | instid1(VALU_DEP_1)
	v_and_b32_e32 v100, -8, v99
	s_mov_b32 s6, 0
	s_mov_b64 s[2:3], 12
	s_movk_i32 s7, 0xa8
	v_sub_nc_u32_e32 v100, 0, v100
.LBB78_139:                             ; =>This Inner Loop Header: Depth=1
	v_mov_b32_e32 v111, s7
	s_lshl_b32 s8, s2, 1
	s_delay_alu instid0(SALU_CYCLE_1)
	s_add_i32 m0, s8, -13
	v_movrels_b32_e32 v110, v34
	ds_load_2addr_b64 v[101:104], v111 offset1:1
	ds_load_2addr_b64 v[105:108], v111 offset0:2 offset1:3
	s_add_i32 m0, s8, -14
	v_movrels_b32_e32 v109, v34
	s_add_i32 m0, s8, -11
	s_waitcnt lgkmcnt(1)
	s_delay_alu instid0(VALU_DEP_1) | instskip(SKIP_4) | instid1(VALU_DEP_1)
	v_fma_f64 v[96:97], v[109:110], v[101:102], v[96:97]
	v_movrels_b32_e32 v102, v34
	s_add_i32 m0, s8, -12
	v_movrels_b32_e32 v101, v34
	s_add_i32 m0, s8, -9
	v_fma_f64 v[96:97], v[101:102], v[103:104], v[96:97]
	v_movrels_b32_e32 v102, v34
	s_add_i32 m0, s8, -10
	v_movrels_b32_e32 v101, v34
	s_add_i32 m0, s8, -7
	s_waitcnt lgkmcnt(0)
	s_delay_alu instid0(VALU_DEP_1)
	v_fma_f64 v[96:97], v[101:102], v[105:106], v[96:97]
	v_movrels_b32_e32 v102, v34
	s_add_i32 m0, s8, -8
	v_movrels_b32_e32 v101, v34
	s_add_i32 m0, s8, -5
	;; [unrolled: 2-line block ×4, first 2 shown]
	v_fma_f64 v[96:97], v[101:102], v[107:108], v[96:97]
	ds_load_2addr_b64 v[101:104], v111 offset0:4 offset1:5
	ds_load_2addr_b64 v[105:108], v111 offset0:6 offset1:7
	s_waitcnt lgkmcnt(1)
	v_fma_f64 v[96:97], v[109:110], v[101:102], v[96:97]
	v_movrels_b32_e32 v102, v34
	s_add_i32 m0, s8, -4
	v_movrels_b32_e32 v101, v34
	s_add_i32 m0, s8, -1
	s_delay_alu instid0(VALU_DEP_1)
	v_fma_f64 v[96:97], v[101:102], v[103:104], v[96:97]
	v_movrels_b32_e32 v102, v34
	s_add_i32 m0, s8, -2
	s_add_u32 s2, s2, 8
	v_movrels_b32_e32 v101, v34
	s_mov_b32 m0, s8
	s_addc_u32 s3, s3, 0
	s_add_i32 s8, s2, -7
	s_add_i32 s7, s7, 64
	s_waitcnt lgkmcnt(0)
	s_delay_alu instid0(VALU_DEP_3) | instskip(SKIP_2) | instid1(VALU_DEP_1)
	v_fma_f64 v[96:97], v[101:102], v[105:106], v[96:97]
	v_movrels_b32_e32 v102, v35
	v_movrels_b32_e32 v101, v34
	v_fma_f64 v[96:97], v[101:102], v[107:108], v[96:97]
	v_add_nc_u32_e32 v101, s2, v100
	s_delay_alu instid0(VALU_DEP_1) | instskip(SKIP_2) | instid1(SALU_CYCLE_1)
	v_cmp_eq_u32_e32 vcc_lo, 12, v101
	v_mov_b32_e32 v101, s8
	s_or_b32 s6, vcc_lo, s6
	s_and_not1_b32 exec_lo, exec_lo, s6
	s_cbranch_execnz .LBB78_139
; %bb.140:
	s_or_b32 exec_lo, exec_lo, s6
.LBB78_141:
	s_delay_alu instid0(SALU_CYCLE_1) | instskip(SKIP_3) | instid1(VALU_DEP_1)
	s_or_b32 exec_lo, exec_lo, s0
	v_and_b32_e32 v64, 7, v99
	s_mov_b32 s3, 0
	s_mov_b32 s2, exec_lo
	v_cmpx_ne_u32_e32 0, v64
	s_cbranch_execz .LBB78_145
; %bb.142:
	v_lshl_add_u32 v65, v101, 3, 0x80
	v_mov_b32_e32 v99, 0
.LBB78_143:                             ; =>This Inner Loop Header: Depth=1
	v_cmp_eq_u32_e32 vcc_lo, 1, v101
	v_cmp_eq_u32_e64 s0, 2, v101
	v_add_nc_u32_e32 v64, -1, v64
	v_cndmask_b32_e32 v100, v35, v37, vcc_lo
	v_cndmask_b32_e32 v102, v34, v36, vcc_lo
	v_cmp_eq_u32_e32 vcc_lo, 3, v101
	s_delay_alu instid0(VALU_DEP_3) | instskip(NEXT) | instid1(VALU_DEP_3)
	v_cndmask_b32_e64 v100, v100, v39, s0
	v_cndmask_b32_e64 v102, v102, v38, s0
	v_cmp_eq_u32_e64 s0, 4, v101
	s_delay_alu instid0(VALU_DEP_3) | instskip(NEXT) | instid1(VALU_DEP_3)
	v_cndmask_b32_e32 v100, v100, v41, vcc_lo
	v_cndmask_b32_e32 v102, v102, v40, vcc_lo
	v_cmp_eq_u32_e32 vcc_lo, 5, v101
	s_delay_alu instid0(VALU_DEP_3) | instskip(NEXT) | instid1(VALU_DEP_3)
	v_cndmask_b32_e64 v100, v100, v43, s0
	v_cndmask_b32_e64 v102, v102, v42, s0
	v_cmp_eq_u32_e64 s0, 6, v101
	s_delay_alu instid0(VALU_DEP_3) | instskip(NEXT) | instid1(VALU_DEP_3)
	;; [unrolled: 8-line block ×4, first 2 shown]
	v_cndmask_b32_e32 v100, v100, v53, vcc_lo
	v_cndmask_b32_e32 v102, v102, v52, vcc_lo
	v_cmp_eq_u32_e32 vcc_lo, 11, v101
	s_delay_alu instid0(VALU_DEP_3) | instskip(NEXT) | instid1(VALU_DEP_3)
	v_cndmask_b32_e64 v100, v100, v55, s0
	v_cndmask_b32_e64 v104, v102, v54, s0
	ds_load_b64 v[102:103], v65
	v_add_nc_u32_e32 v65, 8, v65
	v_cmp_eq_u32_e64 s0, 12, v101
	v_cndmask_b32_e32 v100, v100, v57, vcc_lo
	v_cndmask_b32_e32 v104, v104, v56, vcc_lo
	v_cmp_eq_u32_e32 vcc_lo, 13, v101
	s_delay_alu instid0(VALU_DEP_3) | instskip(NEXT) | instid1(VALU_DEP_3)
	v_cndmask_b32_e64 v100, v100, v59, s0
	v_cndmask_b32_e64 v104, v104, v58, s0
	v_cmp_eq_u32_e64 s0, 14, v101
	s_delay_alu instid0(VALU_DEP_3) | instskip(NEXT) | instid1(VALU_DEP_3)
	v_cndmask_b32_e32 v100, v100, v61, vcc_lo
	v_cndmask_b32_e32 v104, v104, v60, vcc_lo
	v_cmp_eq_u32_e32 vcc_lo, 0, v64
	s_delay_alu instid0(VALU_DEP_3) | instskip(NEXT) | instid1(VALU_DEP_3)
	v_cndmask_b32_e64 v105, v100, v63, s0
	v_cndmask_b32_e64 v104, v104, v62, s0
	v_add_co_u32 v101, s0, v101, 1
	s_delay_alu instid0(VALU_DEP_1) | instskip(SKIP_1) | instid1(VALU_DEP_3)
	v_add_co_ci_u32_e64 v99, s0, 0, v99, s0
	s_waitcnt lgkmcnt(0)
	v_fma_f64 v[96:97], v[104:105], v[102:103], v[96:97]
	s_or_b32 s3, vcc_lo, s3
	s_delay_alu instid0(SALU_CYCLE_1)
	s_and_not1_b32 exec_lo, exec_lo, s3
	s_cbranch_execnz .LBB78_143
; %bb.144:
	s_or_b32 exec_lo, exec_lo, s3
.LBB78_145:
	s_delay_alu instid0(SALU_CYCLE_1)
	s_or_b32 exec_lo, exec_lo, s2
.LBB78_146:
	s_delay_alu instid0(SALU_CYCLE_1)
	s_or_b32 exec_lo, exec_lo, s5
	v_mov_b32_e32 v42, 0
	ds_load_b64 v[42:43], v42 offset:32
	s_waitcnt lgkmcnt(0)
	v_mul_f64 v[42:43], v[96:97], v[42:43]
.LBB78_147:
	s_or_b32 exec_lo, exec_lo, s4
	v_cmp_lt_u32_e64 s0, 3, v0
	ds_store_b64 v98, v[40:41]
	s_waitcnt lgkmcnt(0)
	s_barrier
	buffer_gl0_inv
	s_and_saveexec_b32 s4, s0
	s_cbranch_execz .LBB78_163
; %bb.148:
	s_and_not1_b32 vcc_lo, exec_lo, s15
	s_cbranch_vccnz .LBB78_150
; %bb.149:
	v_cmp_eq_u32_e32 vcc_lo, 1, v0
	v_dual_cndmask_b32 v96, v35, v37 :: v_dual_cndmask_b32 v97, v34, v36
	v_cmp_eq_u32_e32 vcc_lo, 2, v0
	s_delay_alu instid0(VALU_DEP_2) | instskip(SKIP_1) | instid1(VALU_DEP_2)
	v_dual_cndmask_b32 v96, v96, v39 :: v_dual_cndmask_b32 v97, v97, v38
	v_cmp_eq_u32_e32 vcc_lo, 3, v0
	v_dual_cndmask_b32 v96, v96, v41 :: v_dual_cndmask_b32 v97, v97, v40
	v_cmp_eq_u32_e32 vcc_lo, 4, v0
	s_delay_alu instid0(VALU_DEP_2) | instskip(SKIP_1) | instid1(VALU_DEP_2)
	v_dual_cndmask_b32 v96, v96, v43 :: v_dual_cndmask_b32 v97, v97, v42
	;; [unrolled: 5-line block ×5, first 2 shown]
	v_cmp_eq_u32_e32 vcc_lo, 11, v0
	v_dual_cndmask_b32 v99, v96, v57 :: v_dual_cndmask_b32 v100, v97, v56
	v_cmp_eq_u32_e32 vcc_lo, 12, v0
	ds_load_b64 v[96:97], v98
	v_dual_cndmask_b32 v99, v99, v59 :: v_dual_cndmask_b32 v100, v100, v58
	v_cmp_eq_u32_e32 vcc_lo, 13, v0
	s_delay_alu instid0(VALU_DEP_2) | instskip(NEXT) | instid1(VALU_DEP_3)
	v_cndmask_b32_e32 v99, v99, v61, vcc_lo
	v_cndmask_b32_e32 v101, v100, v60, vcc_lo
	v_cmp_eq_u32_e32 vcc_lo, 14, v0
	s_delay_alu instid0(VALU_DEP_2) | instskip(SKIP_1) | instid1(VALU_DEP_1)
	v_dual_cndmask_b32 v100, v99, v63 :: v_dual_cndmask_b32 v99, v101, v62
	s_waitcnt lgkmcnt(0)
	v_mul_f64 v[96:97], v[99:100], v[96:97]
	s_cbranch_execz .LBB78_151
	s_branch .LBB78_152
.LBB78_150:
                                        ; implicit-def: $vgpr96_vgpr97
.LBB78_151:
	ds_load_b64 v[96:97], v98
.LBB78_152:
	s_and_saveexec_b32 s5, s1
	s_cbranch_execz .LBB78_162
; %bb.153:
	v_dual_mov_b32 v101, 4 :: v_dual_add_nc_u32 v100, -5, v0
	v_add_nc_u32_e32 v99, -4, v0
	s_mov_b32 s1, exec_lo
	s_delay_alu instid0(VALU_DEP_2)
	v_cmpx_lt_u32_e32 6, v100
	s_cbranch_execz .LBB78_157
; %bb.154:
	s_delay_alu instid0(VALU_DEP_2) | instskip(SKIP_3) | instid1(VALU_DEP_1)
	v_and_b32_e32 v100, -8, v99
	s_mov_b32 s6, 0
	s_mov_b64 s[2:3], 5
	s_movk_i32 s7, 0xa0
	v_sub_nc_u32_e32 v100, 0, v100
.LBB78_155:                             ; =>This Inner Loop Header: Depth=1
	v_mov_b32_e32 v111, s7
	s_lshl_b32 s8, s2, 1
	s_delay_alu instid0(SALU_CYCLE_1)
	s_add_i32 m0, s8, -1
	s_add_i32 s9, s8, 3
	ds_load_b128 v[101:104], v111
	ds_load_b128 v[105:108], v111 offset:16
	v_movrels_b32_e32 v110, v34
	s_add_i32 m0, s8, -2
	s_add_i32 s10, s8, 2
	v_movrels_b32_e32 v109, v34
	s_mov_b32 m0, s8
	s_waitcnt lgkmcnt(1)
	s_delay_alu instid0(VALU_DEP_1) | instskip(SKIP_4) | instid1(VALU_DEP_1)
	v_fma_f64 v[96:97], v[109:110], v[101:102], v[96:97]
	v_movrels_b32_e32 v102, v35
	v_movrels_b32_e32 v101, v34
	s_mov_b32 m0, s9
	s_add_i32 s9, s8, 5
	v_fma_f64 v[96:97], v[101:102], v[103:104], v[96:97]
	v_movrels_b32_e32 v102, v34
	s_mov_b32 m0, s10
	s_add_i32 s10, s8, 4
	v_movrels_b32_e32 v101, v34
	s_mov_b32 m0, s9
	s_add_i32 s9, s8, 7
	s_waitcnt lgkmcnt(0)
	s_delay_alu instid0(VALU_DEP_1)
	v_fma_f64 v[96:97], v[101:102], v[105:106], v[96:97]
	v_movrels_b32_e32 v102, v34
	s_mov_b32 m0, s10
	s_add_i32 s10, s8, 6
	v_movrels_b32_e32 v101, v34
	s_mov_b32 m0, s9
	s_add_i32 s9, s8, 9
	v_movrels_b32_e32 v110, v34
	s_mov_b32 m0, s10
	s_add_i32 s10, s8, 8
	v_movrels_b32_e32 v109, v34
	s_mov_b32 m0, s9
	s_add_i32 s9, s8, 11
	v_fma_f64 v[96:97], v[101:102], v[107:108], v[96:97]
	ds_load_b128 v[101:104], v111 offset:32
	ds_load_b128 v[105:108], v111 offset:48
	s_waitcnt lgkmcnt(1)
	v_fma_f64 v[96:97], v[109:110], v[101:102], v[96:97]
	v_movrels_b32_e32 v102, v34
	s_mov_b32 m0, s10
	s_add_i32 s10, s8, 10
	v_movrels_b32_e32 v101, v34
	s_mov_b32 m0, s9
	s_add_i32 s9, s8, 13
	s_add_i32 s8, s8, 12
	s_add_u32 s2, s2, 8
	s_addc_u32 s3, s3, 0
	s_add_i32 s7, s7, 64
	s_delay_alu instid0(VALU_DEP_3)
	v_fma_f64 v[96:97], v[101:102], v[103:104], v[96:97]
	v_movrels_b32_e32 v102, v34
	s_mov_b32 m0, s10
	v_movrels_b32_e32 v101, v34
	s_mov_b32 m0, s9
	s_waitcnt lgkmcnt(0)
	s_delay_alu instid0(VALU_DEP_1) | instskip(SKIP_4) | instid1(VALU_DEP_1)
	v_fma_f64 v[96:97], v[101:102], v[105:106], v[96:97]
	v_movrels_b32_e32 v102, v34
	s_mov_b32 m0, s8
	s_add_i32 s8, s2, -1
	v_movrels_b32_e32 v101, v34
	v_fma_f64 v[96:97], v[101:102], v[107:108], v[96:97]
	v_add_nc_u32_e32 v101, s2, v100
	s_delay_alu instid0(VALU_DEP_1) | instskip(SKIP_2) | instid1(SALU_CYCLE_1)
	v_cmp_eq_u32_e32 vcc_lo, 5, v101
	v_mov_b32_e32 v101, s8
	s_or_b32 s6, vcc_lo, s6
	s_and_not1_b32 exec_lo, exec_lo, s6
	s_cbranch_execnz .LBB78_155
; %bb.156:
	s_or_b32 exec_lo, exec_lo, s6
.LBB78_157:
	s_delay_alu instid0(SALU_CYCLE_1) | instskip(SKIP_3) | instid1(VALU_DEP_1)
	s_or_b32 exec_lo, exec_lo, s1
	v_and_b32_e32 v64, 7, v99
	s_mov_b32 s3, 0
	s_mov_b32 s2, exec_lo
	v_cmpx_ne_u32_e32 0, v64
	s_cbranch_execz .LBB78_161
; %bb.158:
	v_lshl_add_u32 v65, v101, 3, 0x80
	v_mov_b32_e32 v99, 0
.LBB78_159:                             ; =>This Inner Loop Header: Depth=1
	v_cmp_eq_u32_e32 vcc_lo, 1, v101
	v_cmp_eq_u32_e64 s1, 2, v101
	v_add_nc_u32_e32 v64, -1, v64
	v_cndmask_b32_e32 v100, v35, v37, vcc_lo
	v_cndmask_b32_e32 v102, v34, v36, vcc_lo
	v_cmp_eq_u32_e32 vcc_lo, 3, v101
	s_delay_alu instid0(VALU_DEP_3) | instskip(NEXT) | instid1(VALU_DEP_3)
	v_cndmask_b32_e64 v100, v100, v39, s1
	v_cndmask_b32_e64 v102, v102, v38, s1
	v_cmp_eq_u32_e64 s1, 4, v101
	s_delay_alu instid0(VALU_DEP_3) | instskip(NEXT) | instid1(VALU_DEP_3)
	v_cndmask_b32_e32 v100, v100, v41, vcc_lo
	v_cndmask_b32_e32 v102, v102, v40, vcc_lo
	v_cmp_eq_u32_e32 vcc_lo, 5, v101
	s_delay_alu instid0(VALU_DEP_3) | instskip(NEXT) | instid1(VALU_DEP_3)
	v_cndmask_b32_e64 v100, v100, v43, s1
	v_cndmask_b32_e64 v102, v102, v42, s1
	v_cmp_eq_u32_e64 s1, 6, v101
	s_delay_alu instid0(VALU_DEP_3) | instskip(NEXT) | instid1(VALU_DEP_3)
	v_cndmask_b32_e32 v100, v100, v45, vcc_lo
	v_cndmask_b32_e32 v102, v102, v44, vcc_lo
	v_cmp_eq_u32_e32 vcc_lo, 7, v101
	s_delay_alu instid0(VALU_DEP_3) | instskip(NEXT) | instid1(VALU_DEP_3)
	v_cndmask_b32_e64 v100, v100, v47, s1
	v_cndmask_b32_e64 v102, v102, v46, s1
	v_cmp_eq_u32_e64 s1, 8, v101
	s_delay_alu instid0(VALU_DEP_3) | instskip(NEXT) | instid1(VALU_DEP_3)
	v_cndmask_b32_e32 v100, v100, v49, vcc_lo
	v_cndmask_b32_e32 v102, v102, v48, vcc_lo
	v_cmp_eq_u32_e32 vcc_lo, 9, v101
	s_delay_alu instid0(VALU_DEP_3) | instskip(NEXT) | instid1(VALU_DEP_3)
	v_cndmask_b32_e64 v100, v100, v51, s1
	v_cndmask_b32_e64 v102, v102, v50, s1
	v_cmp_eq_u32_e64 s1, 10, v101
	s_delay_alu instid0(VALU_DEP_3) | instskip(NEXT) | instid1(VALU_DEP_3)
	v_cndmask_b32_e32 v100, v100, v53, vcc_lo
	v_cndmask_b32_e32 v102, v102, v52, vcc_lo
	v_cmp_eq_u32_e32 vcc_lo, 11, v101
	s_delay_alu instid0(VALU_DEP_3) | instskip(NEXT) | instid1(VALU_DEP_3)
	v_cndmask_b32_e64 v100, v100, v55, s1
	v_cndmask_b32_e64 v104, v102, v54, s1
	ds_load_b64 v[102:103], v65
	v_add_nc_u32_e32 v65, 8, v65
	v_cmp_eq_u32_e64 s1, 12, v101
	v_cndmask_b32_e32 v100, v100, v57, vcc_lo
	v_cndmask_b32_e32 v104, v104, v56, vcc_lo
	v_cmp_eq_u32_e32 vcc_lo, 13, v101
	s_delay_alu instid0(VALU_DEP_3) | instskip(NEXT) | instid1(VALU_DEP_3)
	v_cndmask_b32_e64 v100, v100, v59, s1
	v_cndmask_b32_e64 v104, v104, v58, s1
	v_cmp_eq_u32_e64 s1, 14, v101
	s_delay_alu instid0(VALU_DEP_3) | instskip(NEXT) | instid1(VALU_DEP_3)
	v_cndmask_b32_e32 v100, v100, v61, vcc_lo
	v_cndmask_b32_e32 v104, v104, v60, vcc_lo
	v_cmp_eq_u32_e32 vcc_lo, 0, v64
	s_delay_alu instid0(VALU_DEP_3) | instskip(NEXT) | instid1(VALU_DEP_3)
	v_cndmask_b32_e64 v105, v100, v63, s1
	v_cndmask_b32_e64 v104, v104, v62, s1
	v_add_co_u32 v101, s1, v101, 1
	s_delay_alu instid0(VALU_DEP_1) | instskip(SKIP_1) | instid1(VALU_DEP_3)
	v_add_co_ci_u32_e64 v99, s1, 0, v99, s1
	s_waitcnt lgkmcnt(0)
	v_fma_f64 v[96:97], v[104:105], v[102:103], v[96:97]
	s_or_b32 s3, vcc_lo, s3
	s_delay_alu instid0(SALU_CYCLE_1)
	s_and_not1_b32 exec_lo, exec_lo, s3
	s_cbranch_execnz .LBB78_159
; %bb.160:
	s_or_b32 exec_lo, exec_lo, s3
.LBB78_161:
	s_delay_alu instid0(SALU_CYCLE_1)
	s_or_b32 exec_lo, exec_lo, s2
.LBB78_162:
	s_delay_alu instid0(SALU_CYCLE_1)
	s_or_b32 exec_lo, exec_lo, s5
	v_mov_b32_e32 v40, 0
	ds_load_b64 v[40:41], v40 offset:24
	s_waitcnt lgkmcnt(0)
	v_mul_f64 v[40:41], v[96:97], v[40:41]
.LBB78_163:
	s_or_b32 exec_lo, exec_lo, s4
	v_cmp_lt_u32_e64 s1, 2, v0
	ds_store_b64 v98, v[38:39]
	s_waitcnt lgkmcnt(0)
	s_barrier
	buffer_gl0_inv
	s_and_saveexec_b32 s4, s1
	s_cbranch_execz .LBB78_179
; %bb.164:
	s_and_not1_b32 vcc_lo, exec_lo, s15
	s_cbranch_vccnz .LBB78_166
; %bb.165:
	v_cmp_eq_u32_e32 vcc_lo, 1, v0
	v_dual_cndmask_b32 v96, v35, v37 :: v_dual_cndmask_b32 v97, v34, v36
	v_cmp_eq_u32_e32 vcc_lo, 2, v0
	s_delay_alu instid0(VALU_DEP_2) | instskip(SKIP_1) | instid1(VALU_DEP_2)
	v_dual_cndmask_b32 v96, v96, v39 :: v_dual_cndmask_b32 v97, v97, v38
	v_cmp_eq_u32_e32 vcc_lo, 3, v0
	v_dual_cndmask_b32 v96, v96, v41 :: v_dual_cndmask_b32 v97, v97, v40
	v_cmp_eq_u32_e32 vcc_lo, 4, v0
	s_delay_alu instid0(VALU_DEP_2) | instskip(SKIP_1) | instid1(VALU_DEP_2)
	v_dual_cndmask_b32 v96, v96, v43 :: v_dual_cndmask_b32 v97, v97, v42
	;; [unrolled: 5-line block ×5, first 2 shown]
	v_cmp_eq_u32_e32 vcc_lo, 11, v0
	v_dual_cndmask_b32 v99, v96, v57 :: v_dual_cndmask_b32 v100, v97, v56
	v_cmp_eq_u32_e32 vcc_lo, 12, v0
	ds_load_b64 v[96:97], v98
	v_dual_cndmask_b32 v99, v99, v59 :: v_dual_cndmask_b32 v100, v100, v58
	v_cmp_eq_u32_e32 vcc_lo, 13, v0
	s_delay_alu instid0(VALU_DEP_2) | instskip(NEXT) | instid1(VALU_DEP_3)
	v_cndmask_b32_e32 v99, v99, v61, vcc_lo
	v_cndmask_b32_e32 v101, v100, v60, vcc_lo
	v_cmp_eq_u32_e32 vcc_lo, 14, v0
	s_delay_alu instid0(VALU_DEP_2) | instskip(SKIP_1) | instid1(VALU_DEP_1)
	v_dual_cndmask_b32 v100, v99, v63 :: v_dual_cndmask_b32 v99, v101, v62
	s_waitcnt lgkmcnt(0)
	v_mul_f64 v[96:97], v[99:100], v[96:97]
	s_cbranch_execz .LBB78_167
	s_branch .LBB78_168
.LBB78_166:
                                        ; implicit-def: $vgpr96_vgpr97
.LBB78_167:
	ds_load_b64 v[96:97], v98
.LBB78_168:
	s_and_saveexec_b32 s5, s0
	s_cbranch_execz .LBB78_178
; %bb.169:
	v_dual_mov_b32 v101, 3 :: v_dual_add_nc_u32 v100, -4, v0
	v_add_nc_u32_e32 v99, -3, v0
	s_mov_b32 s0, exec_lo
	s_delay_alu instid0(VALU_DEP_2)
	v_cmpx_lt_u32_e32 6, v100
	s_cbranch_execz .LBB78_173
; %bb.170:
	s_delay_alu instid0(VALU_DEP_2) | instskip(SKIP_3) | instid1(VALU_DEP_1)
	v_and_b32_e32 v100, -8, v99
	s_mov_b32 s6, 0
	s_mov_b64 s[2:3], 10
	s_movk_i32 s7, 0x98
	v_sub_nc_u32_e32 v100, 0, v100
.LBB78_171:                             ; =>This Inner Loop Header: Depth=1
	v_mov_b32_e32 v111, s7
	s_lshl_b32 s8, s2, 1
	s_delay_alu instid0(SALU_CYCLE_1)
	s_add_i32 m0, s8, -13
	v_movrels_b32_e32 v110, v34
	ds_load_2addr_b64 v[101:104], v111 offset1:1
	ds_load_2addr_b64 v[105:108], v111 offset0:2 offset1:3
	s_add_i32 m0, s8, -14
	v_movrels_b32_e32 v109, v34
	s_add_i32 m0, s8, -11
	s_waitcnt lgkmcnt(1)
	s_delay_alu instid0(VALU_DEP_1) | instskip(SKIP_4) | instid1(VALU_DEP_1)
	v_fma_f64 v[96:97], v[109:110], v[101:102], v[96:97]
	v_movrels_b32_e32 v102, v34
	s_add_i32 m0, s8, -12
	v_movrels_b32_e32 v101, v34
	s_add_i32 m0, s8, -9
	v_fma_f64 v[96:97], v[101:102], v[103:104], v[96:97]
	v_movrels_b32_e32 v102, v34
	s_add_i32 m0, s8, -10
	v_movrels_b32_e32 v101, v34
	s_add_i32 m0, s8, -7
	s_waitcnt lgkmcnt(0)
	s_delay_alu instid0(VALU_DEP_1)
	v_fma_f64 v[96:97], v[101:102], v[105:106], v[96:97]
	v_movrels_b32_e32 v102, v34
	s_add_i32 m0, s8, -8
	v_movrels_b32_e32 v101, v34
	s_add_i32 m0, s8, -5
	;; [unrolled: 2-line block ×4, first 2 shown]
	v_fma_f64 v[96:97], v[101:102], v[107:108], v[96:97]
	ds_load_2addr_b64 v[101:104], v111 offset0:4 offset1:5
	ds_load_2addr_b64 v[105:108], v111 offset0:6 offset1:7
	s_waitcnt lgkmcnt(1)
	v_fma_f64 v[96:97], v[109:110], v[101:102], v[96:97]
	v_movrels_b32_e32 v102, v34
	s_add_i32 m0, s8, -4
	v_movrels_b32_e32 v101, v34
	s_add_i32 m0, s8, -1
	s_delay_alu instid0(VALU_DEP_1)
	v_fma_f64 v[96:97], v[101:102], v[103:104], v[96:97]
	v_movrels_b32_e32 v102, v34
	s_add_i32 m0, s8, -2
	s_add_u32 s2, s2, 8
	v_movrels_b32_e32 v101, v34
	s_mov_b32 m0, s8
	s_addc_u32 s3, s3, 0
	s_add_i32 s8, s2, -7
	s_add_i32 s7, s7, 64
	s_waitcnt lgkmcnt(0)
	s_delay_alu instid0(VALU_DEP_3) | instskip(SKIP_2) | instid1(VALU_DEP_1)
	v_fma_f64 v[96:97], v[101:102], v[105:106], v[96:97]
	v_movrels_b32_e32 v102, v35
	v_movrels_b32_e32 v101, v34
	v_fma_f64 v[96:97], v[101:102], v[107:108], v[96:97]
	v_add_nc_u32_e32 v101, s2, v100
	s_delay_alu instid0(VALU_DEP_1) | instskip(SKIP_2) | instid1(SALU_CYCLE_1)
	v_cmp_eq_u32_e32 vcc_lo, 10, v101
	v_mov_b32_e32 v101, s8
	s_or_b32 s6, vcc_lo, s6
	s_and_not1_b32 exec_lo, exec_lo, s6
	s_cbranch_execnz .LBB78_171
; %bb.172:
	s_or_b32 exec_lo, exec_lo, s6
.LBB78_173:
	s_delay_alu instid0(SALU_CYCLE_1) | instskip(SKIP_3) | instid1(VALU_DEP_1)
	s_or_b32 exec_lo, exec_lo, s0
	v_and_b32_e32 v64, 7, v99
	s_mov_b32 s3, 0
	s_mov_b32 s2, exec_lo
	v_cmpx_ne_u32_e32 0, v64
	s_cbranch_execz .LBB78_177
; %bb.174:
	v_lshl_add_u32 v65, v101, 3, 0x80
	v_mov_b32_e32 v99, 0
.LBB78_175:                             ; =>This Inner Loop Header: Depth=1
	v_cmp_eq_u32_e32 vcc_lo, 1, v101
	v_cmp_eq_u32_e64 s0, 2, v101
	v_add_nc_u32_e32 v64, -1, v64
	v_cndmask_b32_e32 v100, v35, v37, vcc_lo
	v_cndmask_b32_e32 v102, v34, v36, vcc_lo
	v_cmp_eq_u32_e32 vcc_lo, 3, v101
	s_delay_alu instid0(VALU_DEP_3) | instskip(NEXT) | instid1(VALU_DEP_3)
	v_cndmask_b32_e64 v100, v100, v39, s0
	v_cndmask_b32_e64 v102, v102, v38, s0
	v_cmp_eq_u32_e64 s0, 4, v101
	s_delay_alu instid0(VALU_DEP_3) | instskip(NEXT) | instid1(VALU_DEP_3)
	v_cndmask_b32_e32 v100, v100, v41, vcc_lo
	v_cndmask_b32_e32 v102, v102, v40, vcc_lo
	v_cmp_eq_u32_e32 vcc_lo, 5, v101
	s_delay_alu instid0(VALU_DEP_3) | instskip(NEXT) | instid1(VALU_DEP_3)
	v_cndmask_b32_e64 v100, v100, v43, s0
	v_cndmask_b32_e64 v102, v102, v42, s0
	v_cmp_eq_u32_e64 s0, 6, v101
	s_delay_alu instid0(VALU_DEP_3) | instskip(NEXT) | instid1(VALU_DEP_3)
	v_cndmask_b32_e32 v100, v100, v45, vcc_lo
	v_cndmask_b32_e32 v102, v102, v44, vcc_lo
	v_cmp_eq_u32_e32 vcc_lo, 7, v101
	s_delay_alu instid0(VALU_DEP_3) | instskip(NEXT) | instid1(VALU_DEP_3)
	v_cndmask_b32_e64 v100, v100, v47, s0
	v_cndmask_b32_e64 v102, v102, v46, s0
	v_cmp_eq_u32_e64 s0, 8, v101
	s_delay_alu instid0(VALU_DEP_3) | instskip(NEXT) | instid1(VALU_DEP_3)
	v_cndmask_b32_e32 v100, v100, v49, vcc_lo
	v_cndmask_b32_e32 v102, v102, v48, vcc_lo
	v_cmp_eq_u32_e32 vcc_lo, 9, v101
	s_delay_alu instid0(VALU_DEP_3) | instskip(NEXT) | instid1(VALU_DEP_3)
	v_cndmask_b32_e64 v100, v100, v51, s0
	v_cndmask_b32_e64 v102, v102, v50, s0
	v_cmp_eq_u32_e64 s0, 10, v101
	s_delay_alu instid0(VALU_DEP_3) | instskip(NEXT) | instid1(VALU_DEP_3)
	v_cndmask_b32_e32 v100, v100, v53, vcc_lo
	v_cndmask_b32_e32 v102, v102, v52, vcc_lo
	v_cmp_eq_u32_e32 vcc_lo, 11, v101
	s_delay_alu instid0(VALU_DEP_3) | instskip(NEXT) | instid1(VALU_DEP_3)
	v_cndmask_b32_e64 v100, v100, v55, s0
	v_cndmask_b32_e64 v104, v102, v54, s0
	ds_load_b64 v[102:103], v65
	v_add_nc_u32_e32 v65, 8, v65
	v_cmp_eq_u32_e64 s0, 12, v101
	v_cndmask_b32_e32 v100, v100, v57, vcc_lo
	v_cndmask_b32_e32 v104, v104, v56, vcc_lo
	v_cmp_eq_u32_e32 vcc_lo, 13, v101
	s_delay_alu instid0(VALU_DEP_3) | instskip(NEXT) | instid1(VALU_DEP_3)
	v_cndmask_b32_e64 v100, v100, v59, s0
	v_cndmask_b32_e64 v104, v104, v58, s0
	v_cmp_eq_u32_e64 s0, 14, v101
	s_delay_alu instid0(VALU_DEP_3) | instskip(NEXT) | instid1(VALU_DEP_3)
	v_cndmask_b32_e32 v100, v100, v61, vcc_lo
	v_cndmask_b32_e32 v104, v104, v60, vcc_lo
	v_cmp_eq_u32_e32 vcc_lo, 0, v64
	s_delay_alu instid0(VALU_DEP_3) | instskip(NEXT) | instid1(VALU_DEP_3)
	v_cndmask_b32_e64 v105, v100, v63, s0
	v_cndmask_b32_e64 v104, v104, v62, s0
	v_add_co_u32 v101, s0, v101, 1
	s_delay_alu instid0(VALU_DEP_1) | instskip(SKIP_1) | instid1(VALU_DEP_3)
	v_add_co_ci_u32_e64 v99, s0, 0, v99, s0
	s_waitcnt lgkmcnt(0)
	v_fma_f64 v[96:97], v[104:105], v[102:103], v[96:97]
	s_or_b32 s3, vcc_lo, s3
	s_delay_alu instid0(SALU_CYCLE_1)
	s_and_not1_b32 exec_lo, exec_lo, s3
	s_cbranch_execnz .LBB78_175
; %bb.176:
	s_or_b32 exec_lo, exec_lo, s3
.LBB78_177:
	s_delay_alu instid0(SALU_CYCLE_1)
	s_or_b32 exec_lo, exec_lo, s2
.LBB78_178:
	s_delay_alu instid0(SALU_CYCLE_1)
	s_or_b32 exec_lo, exec_lo, s5
	v_mov_b32_e32 v38, 0
	ds_load_b64 v[38:39], v38 offset:16
	s_waitcnt lgkmcnt(0)
	v_mul_f64 v[38:39], v[96:97], v[38:39]
.LBB78_179:
	s_or_b32 exec_lo, exec_lo, s4
	v_cmp_lt_u32_e64 s0, 1, v0
	ds_store_b64 v98, v[36:37]
	s_waitcnt lgkmcnt(0)
	s_barrier
	buffer_gl0_inv
	s_and_saveexec_b32 s4, s0
	s_cbranch_execz .LBB78_195
; %bb.180:
	s_and_not1_b32 vcc_lo, exec_lo, s15
	s_cbranch_vccnz .LBB78_182
; %bb.181:
	v_cmp_eq_u32_e32 vcc_lo, 1, v0
	v_dual_cndmask_b32 v96, v35, v37 :: v_dual_cndmask_b32 v97, v34, v36
	v_cmp_eq_u32_e32 vcc_lo, 2, v0
	s_delay_alu instid0(VALU_DEP_2) | instskip(SKIP_1) | instid1(VALU_DEP_2)
	v_dual_cndmask_b32 v96, v96, v39 :: v_dual_cndmask_b32 v97, v97, v38
	v_cmp_eq_u32_e32 vcc_lo, 3, v0
	v_dual_cndmask_b32 v96, v96, v41 :: v_dual_cndmask_b32 v97, v97, v40
	v_cmp_eq_u32_e32 vcc_lo, 4, v0
	s_delay_alu instid0(VALU_DEP_2) | instskip(SKIP_1) | instid1(VALU_DEP_2)
	v_dual_cndmask_b32 v96, v96, v43 :: v_dual_cndmask_b32 v97, v97, v42
	;; [unrolled: 5-line block ×5, first 2 shown]
	v_cmp_eq_u32_e32 vcc_lo, 11, v0
	v_dual_cndmask_b32 v99, v96, v57 :: v_dual_cndmask_b32 v100, v97, v56
	v_cmp_eq_u32_e32 vcc_lo, 12, v0
	ds_load_b64 v[96:97], v98
	v_dual_cndmask_b32 v99, v99, v59 :: v_dual_cndmask_b32 v100, v100, v58
	v_cmp_eq_u32_e32 vcc_lo, 13, v0
	s_delay_alu instid0(VALU_DEP_2) | instskip(NEXT) | instid1(VALU_DEP_3)
	v_cndmask_b32_e32 v99, v99, v61, vcc_lo
	v_cndmask_b32_e32 v101, v100, v60, vcc_lo
	v_cmp_eq_u32_e32 vcc_lo, 14, v0
	s_delay_alu instid0(VALU_DEP_2) | instskip(SKIP_1) | instid1(VALU_DEP_1)
	v_dual_cndmask_b32 v100, v99, v63 :: v_dual_cndmask_b32 v99, v101, v62
	s_waitcnt lgkmcnt(0)
	v_mul_f64 v[96:97], v[99:100], v[96:97]
	s_cbranch_execz .LBB78_183
	s_branch .LBB78_184
.LBB78_182:
                                        ; implicit-def: $vgpr96_vgpr97
.LBB78_183:
	ds_load_b64 v[96:97], v98
.LBB78_184:
	s_and_saveexec_b32 s5, s1
	s_cbranch_execz .LBB78_194
; %bb.185:
	v_add_nc_u32_e32 v100, -3, v0
	v_add_nc_u32_e32 v99, -2, v0
	s_delay_alu instid0(VALU_DEP_2)
	v_cmp_lt_u32_e32 vcc_lo, 6, v100
	v_mov_b32_e32 v100, 2
	s_and_saveexec_b32 s1, vcc_lo
	s_cbranch_execz .LBB78_189
; %bb.186:
	v_and_b32_e32 v100, -8, v99
	s_mov_b32 s6, 0
	s_mov_b64 s[2:3], 9
	s_movk_i32 s7, 0x90
	s_delay_alu instid0(VALU_DEP_1)
	v_sub_nc_u32_e32 v101, 0, v100
.LBB78_187:                             ; =>This Inner Loop Header: Depth=1
	v_mov_b32_e32 v100, s7
	s_lshl_b32 s8, s2, 1
	s_delay_alu instid0(SALU_CYCLE_1)
	s_add_i32 m0, s8, -13
	v_movrels_b32_e32 v111, v34
	ds_load_b128 v[102:105], v100
	ds_load_b128 v[106:109], v100 offset:16
	s_add_i32 m0, s8, -14
	v_movrels_b32_e32 v110, v34
	s_add_i32 m0, s8, -11
	s_waitcnt lgkmcnt(1)
	s_delay_alu instid0(VALU_DEP_1) | instskip(SKIP_4) | instid1(VALU_DEP_1)
	v_fma_f64 v[96:97], v[110:111], v[102:103], v[96:97]
	v_movrels_b32_e32 v103, v34
	s_add_i32 m0, s8, -12
	v_movrels_b32_e32 v102, v34
	s_add_i32 m0, s8, -9
	v_fma_f64 v[96:97], v[102:103], v[104:105], v[96:97]
	v_movrels_b32_e32 v103, v34
	s_add_i32 m0, s8, -10
	v_movrels_b32_e32 v102, v34
	s_add_i32 m0, s8, -7
	s_waitcnt lgkmcnt(0)
	s_delay_alu instid0(VALU_DEP_1)
	v_fma_f64 v[96:97], v[102:103], v[106:107], v[96:97]
	v_movrels_b32_e32 v103, v34
	s_add_i32 m0, s8, -8
	v_movrels_b32_e32 v102, v34
	s_add_i32 m0, s8, -5
	v_movrels_b32_e32 v111, v34
	s_add_i32 m0, s8, -6
	v_movrels_b32_e32 v110, v34
	s_add_i32 m0, s8, -3
	v_fma_f64 v[96:97], v[102:103], v[108:109], v[96:97]
	ds_load_b128 v[102:105], v100 offset:32
	ds_load_b128 v[106:109], v100 offset:48
	s_waitcnt lgkmcnt(1)
	v_fma_f64 v[96:97], v[110:111], v[102:103], v[96:97]
	v_movrels_b32_e32 v103, v34
	s_add_i32 m0, s8, -4
	v_movrels_b32_e32 v102, v34
	s_add_i32 m0, s8, -1
	s_delay_alu instid0(VALU_DEP_1)
	v_fma_f64 v[96:97], v[102:103], v[104:105], v[96:97]
	v_movrels_b32_e32 v103, v34
	s_add_i32 m0, s8, -2
	s_add_u32 s2, s2, 8
	v_movrels_b32_e32 v102, v34
	s_mov_b32 m0, s8
	v_add_nc_u32_e32 v100, s2, v101
	s_addc_u32 s3, s3, 0
	s_add_i32 s8, s2, -7
	s_add_i32 s7, s7, 64
	s_delay_alu instid0(VALU_DEP_1)
	v_cmp_eq_u32_e32 vcc_lo, 9, v100
	v_mov_b32_e32 v100, s8
	s_or_b32 s6, vcc_lo, s6
	s_waitcnt lgkmcnt(0)
	v_fma_f64 v[96:97], v[102:103], v[106:107], v[96:97]
	v_movrels_b32_e32 v103, v35
	v_movrels_b32_e32 v102, v34
	s_delay_alu instid0(VALU_DEP_1)
	v_fma_f64 v[96:97], v[102:103], v[108:109], v[96:97]
	s_and_not1_b32 exec_lo, exec_lo, s6
	s_cbranch_execnz .LBB78_187
; %bb.188:
	s_or_b32 exec_lo, exec_lo, s6
.LBB78_189:
	s_delay_alu instid0(SALU_CYCLE_1) | instskip(SKIP_3) | instid1(VALU_DEP_1)
	s_or_b32 exec_lo, exec_lo, s1
	v_and_b32_e32 v64, 7, v99
	s_mov_b32 s3, 0
	s_mov_b32 s2, exec_lo
	v_cmpx_ne_u32_e32 0, v64
	s_cbranch_execz .LBB78_193
; %bb.190:
	v_lshl_add_u32 v65, v100, 3, 0x80
	v_mov_b32_e32 v99, 0
.LBB78_191:                             ; =>This Inner Loop Header: Depth=1
	v_cmp_eq_u32_e32 vcc_lo, 1, v100
	v_cmp_eq_u32_e64 s1, 2, v100
	v_dual_cndmask_b32 v101, v35, v37 :: v_dual_add_nc_u32 v64, -1, v64
	v_cndmask_b32_e32 v102, v34, v36, vcc_lo
	v_cmp_eq_u32_e32 vcc_lo, 3, v100
	s_delay_alu instid0(VALU_DEP_3) | instskip(NEXT) | instid1(VALU_DEP_3)
	v_cndmask_b32_e64 v101, v101, v39, s1
	v_cndmask_b32_e64 v102, v102, v38, s1
	v_cmp_eq_u32_e64 s1, 4, v100
	s_delay_alu instid0(VALU_DEP_2) | instskip(SKIP_1) | instid1(VALU_DEP_2)
	v_dual_cndmask_b32 v101, v101, v41 :: v_dual_cndmask_b32 v102, v102, v40
	v_cmp_eq_u32_e32 vcc_lo, 5, v100
	v_cndmask_b32_e64 v101, v101, v43, s1
	s_delay_alu instid0(VALU_DEP_3) | instskip(SKIP_1) | instid1(VALU_DEP_2)
	v_cndmask_b32_e64 v102, v102, v42, s1
	v_cmp_eq_u32_e64 s1, 6, v100
	v_dual_cndmask_b32 v101, v101, v45 :: v_dual_cndmask_b32 v102, v102, v44
	v_cmp_eq_u32_e32 vcc_lo, 7, v100
	s_delay_alu instid0(VALU_DEP_2) | instskip(NEXT) | instid1(VALU_DEP_3)
	v_cndmask_b32_e64 v101, v101, v47, s1
	v_cndmask_b32_e64 v102, v102, v46, s1
	v_cmp_eq_u32_e64 s1, 8, v100
	s_delay_alu instid0(VALU_DEP_2) | instskip(SKIP_1) | instid1(VALU_DEP_2)
	v_dual_cndmask_b32 v101, v101, v49 :: v_dual_cndmask_b32 v102, v102, v48
	v_cmp_eq_u32_e32 vcc_lo, 9, v100
	v_cndmask_b32_e64 v101, v101, v51, s1
	s_delay_alu instid0(VALU_DEP_3) | instskip(SKIP_1) | instid1(VALU_DEP_2)
	v_cndmask_b32_e64 v102, v102, v50, s1
	v_cmp_eq_u32_e64 s1, 10, v100
	v_dual_cndmask_b32 v101, v101, v53 :: v_dual_cndmask_b32 v102, v102, v52
	v_cmp_eq_u32_e32 vcc_lo, 11, v100
	s_delay_alu instid0(VALU_DEP_2) | instskip(NEXT) | instid1(VALU_DEP_3)
	v_cndmask_b32_e64 v103, v101, v55, s1
	v_cndmask_b32_e64 v104, v102, v54, s1
	ds_load_b64 v[101:102], v65
	v_cmp_eq_u32_e64 s1, 12, v100
	v_add_nc_u32_e32 v65, 8, v65
	v_dual_cndmask_b32 v103, v103, v57 :: v_dual_cndmask_b32 v104, v104, v56
	v_cmp_eq_u32_e32 vcc_lo, 13, v100
	s_delay_alu instid0(VALU_DEP_2) | instskip(NEXT) | instid1(VALU_DEP_3)
	v_cndmask_b32_e64 v103, v103, v59, s1
	v_cndmask_b32_e64 v104, v104, v58, s1
	v_cmp_eq_u32_e64 s1, 14, v100
	s_delay_alu instid0(VALU_DEP_3) | instskip(NEXT) | instid1(VALU_DEP_3)
	v_cndmask_b32_e32 v103, v103, v61, vcc_lo
	v_cndmask_b32_e32 v105, v104, v60, vcc_lo
	v_cmp_eq_u32_e32 vcc_lo, 0, v64
	s_delay_alu instid0(VALU_DEP_3) | instskip(NEXT) | instid1(VALU_DEP_3)
	v_cndmask_b32_e64 v104, v103, v63, s1
	v_cndmask_b32_e64 v103, v105, v62, s1
	v_add_co_u32 v100, s1, v100, 1
	s_delay_alu instid0(VALU_DEP_1) | instskip(SKIP_1) | instid1(VALU_DEP_3)
	v_add_co_ci_u32_e64 v99, s1, 0, v99, s1
	s_waitcnt lgkmcnt(0)
	v_fma_f64 v[96:97], v[103:104], v[101:102], v[96:97]
	s_or_b32 s3, vcc_lo, s3
	s_delay_alu instid0(SALU_CYCLE_1)
	s_and_not1_b32 exec_lo, exec_lo, s3
	s_cbranch_execnz .LBB78_191
; %bb.192:
	s_or_b32 exec_lo, exec_lo, s3
.LBB78_193:
	s_delay_alu instid0(SALU_CYCLE_1)
	s_or_b32 exec_lo, exec_lo, s2
.LBB78_194:
	s_delay_alu instid0(SALU_CYCLE_1)
	s_or_b32 exec_lo, exec_lo, s5
	v_mov_b32_e32 v36, 0
	ds_load_b64 v[36:37], v36 offset:8
	s_waitcnt lgkmcnt(0)
	v_mul_f64 v[36:37], v[96:97], v[36:37]
.LBB78_195:
	s_or_b32 exec_lo, exec_lo, s4
	s_mov_b32 s2, 0
	s_mov_b32 s3, exec_lo
	ds_store_b64 v98, v[34:35]
	s_waitcnt lgkmcnt(0)
	s_barrier
	buffer_gl0_inv
	v_cmpx_ne_u32_e32 0, v0
	s_cbranch_execz .LBB78_211
; %bb.196:
	s_and_not1_b32 vcc_lo, exec_lo, s15
	s_cbranch_vccnz .LBB78_198
; %bb.197:
	v_cmp_eq_u32_e32 vcc_lo, 1, v0
	v_dual_cndmask_b32 v96, v35, v37 :: v_dual_cndmask_b32 v97, v34, v36
	v_cmp_eq_u32_e32 vcc_lo, 2, v0
	s_delay_alu instid0(VALU_DEP_2) | instskip(SKIP_1) | instid1(VALU_DEP_2)
	v_dual_cndmask_b32 v96, v96, v39 :: v_dual_cndmask_b32 v97, v97, v38
	v_cmp_eq_u32_e32 vcc_lo, 3, v0
	v_dual_cndmask_b32 v96, v96, v41 :: v_dual_cndmask_b32 v97, v97, v40
	v_cmp_eq_u32_e32 vcc_lo, 4, v0
	s_delay_alu instid0(VALU_DEP_2) | instskip(SKIP_1) | instid1(VALU_DEP_2)
	v_dual_cndmask_b32 v96, v96, v43 :: v_dual_cndmask_b32 v97, v97, v42
	;; [unrolled: 5-line block ×5, first 2 shown]
	v_cmp_eq_u32_e32 vcc_lo, 11, v0
	v_dual_cndmask_b32 v99, v96, v57 :: v_dual_cndmask_b32 v100, v97, v56
	v_cmp_eq_u32_e32 vcc_lo, 12, v0
	ds_load_b64 v[96:97], v98
	v_dual_cndmask_b32 v99, v99, v59 :: v_dual_cndmask_b32 v100, v100, v58
	v_cmp_eq_u32_e32 vcc_lo, 13, v0
	s_delay_alu instid0(VALU_DEP_2) | instskip(NEXT) | instid1(VALU_DEP_3)
	v_cndmask_b32_e32 v99, v99, v61, vcc_lo
	v_cndmask_b32_e32 v101, v100, v60, vcc_lo
	v_cmp_eq_u32_e32 vcc_lo, 14, v0
	s_delay_alu instid0(VALU_DEP_2) | instskip(SKIP_1) | instid1(VALU_DEP_1)
	v_dual_cndmask_b32 v100, v99, v63 :: v_dual_cndmask_b32 v99, v101, v62
	s_waitcnt lgkmcnt(0)
	v_mul_f64 v[96:97], v[99:100], v[96:97]
	s_cbranch_execz .LBB78_199
	s_branch .LBB78_200
.LBB78_198:
                                        ; implicit-def: $vgpr96_vgpr97
.LBB78_199:
	ds_load_b64 v[96:97], v98
.LBB78_200:
	s_and_saveexec_b32 s4, s0
	s_cbranch_execz .LBB78_210
; %bb.201:
	v_dual_mov_b32 v101, 1 :: v_dual_add_nc_u32 v100, -2, v0
	v_add_nc_u32_e32 v99, -1, v0
	s_mov_b32 s5, exec_lo
	s_delay_alu instid0(VALU_DEP_2)
	v_cmpx_lt_u32_e32 6, v100
	s_cbranch_execz .LBB78_205
; %bb.202:
	s_delay_alu instid0(VALU_DEP_2) | instskip(SKIP_3) | instid1(VALU_DEP_1)
	v_and_b32_e32 v100, -8, v99
	s_mov_b32 s6, 0
	s_mov_b64 s[0:1], 8
	s_movk_i32 s7, 0x88
	v_sub_nc_u32_e32 v100, 0, v100
.LBB78_203:                             ; =>This Inner Loop Header: Depth=1
	v_mov_b32_e32 v111, s7
	s_lshl_b32 s8, s0, 1
	s_delay_alu instid0(SALU_CYCLE_1)
	s_add_i32 m0, s8, -13
	v_movrels_b32_e32 v110, v34
	ds_load_2addr_b64 v[101:104], v111 offset1:1
	ds_load_2addr_b64 v[105:108], v111 offset0:2 offset1:3
	s_add_i32 m0, s8, -14
	v_movrels_b32_e32 v109, v34
	s_add_i32 m0, s8, -11
	s_waitcnt lgkmcnt(1)
	s_delay_alu instid0(VALU_DEP_1) | instskip(SKIP_4) | instid1(VALU_DEP_1)
	v_fma_f64 v[96:97], v[109:110], v[101:102], v[96:97]
	v_movrels_b32_e32 v102, v34
	s_add_i32 m0, s8, -12
	v_movrels_b32_e32 v101, v34
	s_add_i32 m0, s8, -9
	v_fma_f64 v[96:97], v[101:102], v[103:104], v[96:97]
	v_movrels_b32_e32 v102, v34
	s_add_i32 m0, s8, -10
	v_movrels_b32_e32 v101, v34
	s_add_i32 m0, s8, -7
	s_waitcnt lgkmcnt(0)
	s_delay_alu instid0(VALU_DEP_1)
	v_fma_f64 v[96:97], v[101:102], v[105:106], v[96:97]
	v_movrels_b32_e32 v102, v34
	s_add_i32 m0, s8, -8
	v_movrels_b32_e32 v101, v34
	s_add_i32 m0, s8, -5
	;; [unrolled: 2-line block ×4, first 2 shown]
	v_fma_f64 v[96:97], v[101:102], v[107:108], v[96:97]
	ds_load_2addr_b64 v[101:104], v111 offset0:4 offset1:5
	ds_load_2addr_b64 v[105:108], v111 offset0:6 offset1:7
	s_waitcnt lgkmcnt(1)
	v_fma_f64 v[96:97], v[109:110], v[101:102], v[96:97]
	v_movrels_b32_e32 v102, v34
	s_add_i32 m0, s8, -4
	v_movrels_b32_e32 v101, v34
	s_add_i32 m0, s8, -1
	s_delay_alu instid0(VALU_DEP_1)
	v_fma_f64 v[96:97], v[101:102], v[103:104], v[96:97]
	v_movrels_b32_e32 v102, v34
	s_add_i32 m0, s8, -2
	s_add_u32 s0, s0, 8
	v_movrels_b32_e32 v101, v34
	s_mov_b32 m0, s8
	s_addc_u32 s1, s1, 0
	s_add_i32 s8, s0, -7
	s_add_i32 s7, s7, 64
	s_waitcnt lgkmcnt(0)
	s_delay_alu instid0(VALU_DEP_3) | instskip(SKIP_2) | instid1(VALU_DEP_1)
	v_fma_f64 v[96:97], v[101:102], v[105:106], v[96:97]
	v_movrels_b32_e32 v102, v35
	v_movrels_b32_e32 v101, v34
	v_fma_f64 v[96:97], v[101:102], v[107:108], v[96:97]
	v_add_nc_u32_e32 v101, s0, v100
	s_delay_alu instid0(VALU_DEP_1) | instskip(SKIP_2) | instid1(SALU_CYCLE_1)
	v_cmp_eq_u32_e32 vcc_lo, 8, v101
	v_mov_b32_e32 v101, s8
	s_or_b32 s6, vcc_lo, s6
	s_and_not1_b32 exec_lo, exec_lo, s6
	s_cbranch_execnz .LBB78_203
; %bb.204:
	s_or_b32 exec_lo, exec_lo, s6
.LBB78_205:
	s_delay_alu instid0(SALU_CYCLE_1) | instskip(SKIP_3) | instid1(VALU_DEP_1)
	s_or_b32 exec_lo, exec_lo, s5
	v_and_b32_e32 v64, 7, v99
	s_mov_b32 s5, 0
	s_mov_b32 s1, exec_lo
	v_cmpx_ne_u32_e32 0, v64
	s_cbranch_execz .LBB78_209
; %bb.206:
	v_lshl_add_u32 v65, v101, 3, 0x80
	v_mov_b32_e32 v99, 0
.LBB78_207:                             ; =>This Inner Loop Header: Depth=1
	v_cmp_eq_u32_e32 vcc_lo, 1, v101
	v_cmp_eq_u32_e64 s0, 2, v101
	v_add_nc_u32_e32 v64, -1, v64
	v_cndmask_b32_e32 v100, v35, v37, vcc_lo
	v_cndmask_b32_e32 v102, v34, v36, vcc_lo
	v_cmp_eq_u32_e32 vcc_lo, 3, v101
	s_delay_alu instid0(VALU_DEP_3) | instskip(NEXT) | instid1(VALU_DEP_3)
	v_cndmask_b32_e64 v100, v100, v39, s0
	v_cndmask_b32_e64 v102, v102, v38, s0
	v_cmp_eq_u32_e64 s0, 4, v101
	s_delay_alu instid0(VALU_DEP_3) | instskip(NEXT) | instid1(VALU_DEP_3)
	v_cndmask_b32_e32 v100, v100, v41, vcc_lo
	v_cndmask_b32_e32 v102, v102, v40, vcc_lo
	v_cmp_eq_u32_e32 vcc_lo, 5, v101
	s_delay_alu instid0(VALU_DEP_3) | instskip(NEXT) | instid1(VALU_DEP_3)
	v_cndmask_b32_e64 v100, v100, v43, s0
	v_cndmask_b32_e64 v102, v102, v42, s0
	v_cmp_eq_u32_e64 s0, 6, v101
	s_delay_alu instid0(VALU_DEP_3) | instskip(NEXT) | instid1(VALU_DEP_3)
	v_cndmask_b32_e32 v100, v100, v45, vcc_lo
	v_cndmask_b32_e32 v102, v102, v44, vcc_lo
	v_cmp_eq_u32_e32 vcc_lo, 7, v101
	s_delay_alu instid0(VALU_DEP_3) | instskip(NEXT) | instid1(VALU_DEP_3)
	v_cndmask_b32_e64 v100, v100, v47, s0
	v_cndmask_b32_e64 v102, v102, v46, s0
	v_cmp_eq_u32_e64 s0, 8, v101
	s_delay_alu instid0(VALU_DEP_3) | instskip(NEXT) | instid1(VALU_DEP_3)
	v_cndmask_b32_e32 v100, v100, v49, vcc_lo
	v_cndmask_b32_e32 v102, v102, v48, vcc_lo
	v_cmp_eq_u32_e32 vcc_lo, 9, v101
	s_delay_alu instid0(VALU_DEP_3) | instskip(NEXT) | instid1(VALU_DEP_3)
	v_cndmask_b32_e64 v100, v100, v51, s0
	v_cndmask_b32_e64 v102, v102, v50, s0
	v_cmp_eq_u32_e64 s0, 10, v101
	s_delay_alu instid0(VALU_DEP_3) | instskip(NEXT) | instid1(VALU_DEP_3)
	v_cndmask_b32_e32 v100, v100, v53, vcc_lo
	v_cndmask_b32_e32 v102, v102, v52, vcc_lo
	v_cmp_eq_u32_e32 vcc_lo, 11, v101
	s_delay_alu instid0(VALU_DEP_3) | instskip(NEXT) | instid1(VALU_DEP_3)
	v_cndmask_b32_e64 v100, v100, v55, s0
	v_cndmask_b32_e64 v104, v102, v54, s0
	ds_load_b64 v[102:103], v65
	v_add_nc_u32_e32 v65, 8, v65
	v_cmp_eq_u32_e64 s0, 12, v101
	v_cndmask_b32_e32 v100, v100, v57, vcc_lo
	v_cndmask_b32_e32 v104, v104, v56, vcc_lo
	v_cmp_eq_u32_e32 vcc_lo, 13, v101
	s_delay_alu instid0(VALU_DEP_3) | instskip(NEXT) | instid1(VALU_DEP_3)
	v_cndmask_b32_e64 v100, v100, v59, s0
	v_cndmask_b32_e64 v104, v104, v58, s0
	v_cmp_eq_u32_e64 s0, 14, v101
	s_delay_alu instid0(VALU_DEP_3) | instskip(NEXT) | instid1(VALU_DEP_3)
	v_cndmask_b32_e32 v100, v100, v61, vcc_lo
	v_cndmask_b32_e32 v104, v104, v60, vcc_lo
	v_cmp_eq_u32_e32 vcc_lo, 0, v64
	s_delay_alu instid0(VALU_DEP_3) | instskip(NEXT) | instid1(VALU_DEP_3)
	v_cndmask_b32_e64 v105, v100, v63, s0
	v_cndmask_b32_e64 v104, v104, v62, s0
	v_add_co_u32 v101, s0, v101, 1
	s_delay_alu instid0(VALU_DEP_1) | instskip(SKIP_1) | instid1(VALU_DEP_3)
	v_add_co_ci_u32_e64 v99, s0, 0, v99, s0
	s_waitcnt lgkmcnt(0)
	v_fma_f64 v[96:97], v[104:105], v[102:103], v[96:97]
	s_or_b32 s5, vcc_lo, s5
	s_delay_alu instid0(SALU_CYCLE_1)
	s_and_not1_b32 exec_lo, exec_lo, s5
	s_cbranch_execnz .LBB78_207
; %bb.208:
	s_or_b32 exec_lo, exec_lo, s5
.LBB78_209:
	s_delay_alu instid0(SALU_CYCLE_1)
	s_or_b32 exec_lo, exec_lo, s1
.LBB78_210:
	s_delay_alu instid0(SALU_CYCLE_1)
	s_or_b32 exec_lo, exec_lo, s4
	v_mov_b32_e32 v34, 0
	ds_load_b64 v[34:35], v34
	s_waitcnt lgkmcnt(0)
	v_mul_f64 v[34:35], v[96:97], v[34:35]
.LBB78_211:
	s_or_b32 exec_lo, exec_lo, s3
	s_delay_alu instid0(SALU_CYCLE_1)
	s_and_b32 vcc_lo, exec_lo, s2
	s_cbranch_vccz .LBB78_359
.LBB78_212:
	v_cmp_eq_u32_e64 s0, 0, v0
	s_waitcnt vmcnt(14)
	ds_store_b64 v98, v[4:5]
	s_waitcnt vmcnt(0) lgkmcnt(0)
	s_barrier
	buffer_gl0_inv
	s_and_saveexec_b32 s1, s0
	s_cbranch_execz .LBB78_218
; %bb.213:
	s_and_b32 vcc_lo, exec_lo, s15
	s_cbranch_vccz .LBB78_215
; %bb.214:
	v_cmp_eq_u32_e32 vcc_lo, 1, v0
	v_dual_cndmask_b32 v5, v3, v5 :: v_dual_cndmask_b32 v4, v2, v4
	v_cmp_eq_u32_e32 vcc_lo, 2, v0
	s_delay_alu instid0(VALU_DEP_2) | instskip(SKIP_1) | instid1(VALU_DEP_2)
	v_dual_cndmask_b32 v5, v5, v7 :: v_dual_cndmask_b32 v4, v4, v6
	v_cmp_eq_u32_e32 vcc_lo, 3, v0
	v_dual_cndmask_b32 v5, v5, v9 :: v_dual_cndmask_b32 v4, v4, v8
	v_cmp_eq_u32_e32 vcc_lo, 4, v0
	s_delay_alu instid0(VALU_DEP_2) | instskip(SKIP_1) | instid1(VALU_DEP_2)
	v_dual_cndmask_b32 v5, v5, v11 :: v_dual_cndmask_b32 v4, v4, v10
	;; [unrolled: 5-line block ×5, first 2 shown]
	v_cmp_eq_u32_e32 vcc_lo, 11, v0
	v_dual_cndmask_b32 v32, v5, v25 :: v_dual_cndmask_b32 v33, v4, v24
	v_cmp_eq_u32_e32 vcc_lo, 12, v0
	ds_load_b64 v[4:5], v98
	v_dual_cndmask_b32 v32, v32, v27 :: v_dual_cndmask_b32 v33, v33, v26
	v_cmp_eq_u32_e32 vcc_lo, 13, v0
	s_delay_alu instid0(VALU_DEP_2) | instskip(NEXT) | instid1(VALU_DEP_3)
	v_cndmask_b32_e32 v32, v32, v29, vcc_lo
	v_cndmask_b32_e32 v34, v33, v28, vcc_lo
	v_cmp_eq_u32_e32 vcc_lo, 14, v0
	s_delay_alu instid0(VALU_DEP_2) | instskip(SKIP_1) | instid1(VALU_DEP_1)
	v_dual_cndmask_b32 v33, v32, v31 :: v_dual_cndmask_b32 v32, v34, v30
	s_waitcnt lgkmcnt(0)
	v_mul_f64 v[4:5], v[32:33], v[4:5]
	s_cbranch_execz .LBB78_216
	s_branch .LBB78_217
.LBB78_215:
                                        ; implicit-def: $vgpr4_vgpr5
.LBB78_216:
	ds_load_b64 v[4:5], v98
.LBB78_217:
	v_mov_b32_e32 v32, 0
	ds_load_b64 v[32:33], v32 offset:8
	s_waitcnt lgkmcnt(0)
	v_mul_f64 v[4:5], v[4:5], v[32:33]
.LBB78_218:
	s_or_b32 exec_lo, exec_lo, s1
	v_add_nc_u32_e32 v37, 1, v0
	v_cndmask_b32_e64 v36, 0, 1, s15
	s_mov_b32 s1, exec_lo
	ds_store_b64 v98, v[6:7]
	s_waitcnt lgkmcnt(0)
	s_barrier
	buffer_gl0_inv
	v_cmpx_gt_u32_e32 2, v0
	s_cbranch_execz .LBB78_226
; %bb.219:
	s_and_not1_b32 vcc_lo, exec_lo, s15
	s_cbranch_vccnz .LBB78_221
; %bb.220:
	v_cmp_eq_u32_e32 vcc_lo, 1, v0
	v_dual_cndmask_b32 v32, v3, v5 :: v_dual_cndmask_b32 v33, v2, v4
	v_cmp_eq_u32_e32 vcc_lo, 2, v0
	s_delay_alu instid0(VALU_DEP_2) | instskip(SKIP_1) | instid1(VALU_DEP_2)
	v_dual_cndmask_b32 v32, v32, v7 :: v_dual_cndmask_b32 v33, v33, v6
	v_cmp_eq_u32_e32 vcc_lo, 3, v0
	v_dual_cndmask_b32 v32, v32, v9 :: v_dual_cndmask_b32 v33, v33, v8
	v_cmp_eq_u32_e32 vcc_lo, 4, v0
	s_delay_alu instid0(VALU_DEP_2) | instskip(SKIP_1) | instid1(VALU_DEP_2)
	v_dual_cndmask_b32 v32, v32, v11 :: v_dual_cndmask_b32 v33, v33, v10
	;; [unrolled: 5-line block ×5, first 2 shown]
	v_cmp_eq_u32_e32 vcc_lo, 11, v0
	v_dual_cndmask_b32 v34, v32, v25 :: v_dual_cndmask_b32 v35, v33, v24
	v_cmp_eq_u32_e32 vcc_lo, 12, v0
	ds_load_b64 v[32:33], v98
	v_dual_cndmask_b32 v34, v34, v27 :: v_dual_cndmask_b32 v35, v35, v26
	v_cmp_eq_u32_e32 vcc_lo, 13, v0
	s_delay_alu instid0(VALU_DEP_2) | instskip(NEXT) | instid1(VALU_DEP_3)
	v_cndmask_b32_e32 v34, v34, v29, vcc_lo
	v_cndmask_b32_e32 v38, v35, v28, vcc_lo
	v_cmp_eq_u32_e32 vcc_lo, 14, v0
	s_delay_alu instid0(VALU_DEP_3) | instskip(NEXT) | instid1(VALU_DEP_3)
	v_cndmask_b32_e32 v35, v34, v31, vcc_lo
	v_cndmask_b32_e32 v34, v38, v30, vcc_lo
	s_waitcnt lgkmcnt(0)
	s_delay_alu instid0(VALU_DEP_1)
	v_mul_f64 v[32:33], v[34:35], v[32:33]
	s_cbranch_execz .LBB78_222
	s_branch .LBB78_223
.LBB78_221:
                                        ; implicit-def: $vgpr32_vgpr33
.LBB78_222:
	ds_load_b64 v[32:33], v98
.LBB78_223:
	s_and_saveexec_b32 s2, s0
	s_cbranch_execz .LBB78_225
; %bb.224:
	v_cmp_eq_u32_e32 vcc_lo, 1, v37
	v_dual_cndmask_b32 v34, v3, v5 :: v_dual_cndmask_b32 v35, v2, v4
	v_cmp_eq_u32_e32 vcc_lo, 2, v37
	s_delay_alu instid0(VALU_DEP_2) | instskip(SKIP_1) | instid1(VALU_DEP_2)
	v_dual_cndmask_b32 v7, v34, v7 :: v_dual_cndmask_b32 v6, v35, v6
	v_cmp_eq_u32_e32 vcc_lo, 3, v37
	v_dual_cndmask_b32 v7, v7, v9 :: v_dual_cndmask_b32 v6, v6, v8
	v_cmp_eq_u32_e32 vcc_lo, 4, v37
	s_delay_alu instid0(VALU_DEP_2) | instskip(SKIP_1) | instid1(VALU_DEP_2)
	v_dual_cndmask_b32 v7, v7, v11 :: v_dual_cndmask_b32 v6, v6, v10
	;; [unrolled: 5-line block ×5, first 2 shown]
	v_cmp_eq_u32_e32 vcc_lo, 11, v37
	v_dual_cndmask_b32 v34, v7, v25 :: v_dual_cndmask_b32 v35, v6, v24
	v_cmp_eq_u32_e32 vcc_lo, 12, v37
	ds_load_b64 v[6:7], v98 offset:8
	v_dual_cndmask_b32 v34, v34, v27 :: v_dual_cndmask_b32 v35, v35, v26
	v_cmp_eq_u32_e32 vcc_lo, 13, v37
	s_delay_alu instid0(VALU_DEP_2) | instskip(NEXT) | instid1(VALU_DEP_3)
	v_cndmask_b32_e32 v34, v34, v29, vcc_lo
	v_cndmask_b32_e32 v38, v35, v28, vcc_lo
	v_cmp_eq_u32_e32 vcc_lo, 14, v37
	s_delay_alu instid0(VALU_DEP_3) | instskip(NEXT) | instid1(VALU_DEP_3)
	v_cndmask_b32_e32 v35, v34, v31, vcc_lo
	v_cndmask_b32_e32 v34, v38, v30, vcc_lo
	s_waitcnt lgkmcnt(0)
	s_delay_alu instid0(VALU_DEP_1)
	v_fma_f64 v[32:33], v[34:35], v[6:7], v[32:33]
.LBB78_225:
	s_or_b32 exec_lo, exec_lo, s2
	v_mov_b32_e32 v6, 0
	ds_load_b64 v[6:7], v6 offset:16
	s_waitcnt lgkmcnt(0)
	v_mul_f64 v[6:7], v[32:33], v[6:7]
.LBB78_226:
	s_or_b32 exec_lo, exec_lo, s1
	v_cmp_gt_u32_e64 s1, 3, v0
	ds_store_b64 v98, v[8:9]
	s_waitcnt lgkmcnt(0)
	s_barrier
	buffer_gl0_inv
	s_and_saveexec_b32 s2, s1
	s_cbranch_execz .LBB78_236
; %bb.227:
	v_cmp_ne_u32_e32 vcc_lo, 1, v36
	s_cbranch_vccnz .LBB78_229
; %bb.228:
	v_cmp_eq_u32_e32 vcc_lo, 1, v0
	v_dual_cndmask_b32 v32, v3, v5 :: v_dual_cndmask_b32 v33, v2, v4
	v_cmp_eq_u32_e32 vcc_lo, 2, v0
	s_delay_alu instid0(VALU_DEP_2) | instskip(SKIP_1) | instid1(VALU_DEP_2)
	v_dual_cndmask_b32 v32, v32, v7 :: v_dual_cndmask_b32 v33, v33, v6
	v_cmp_eq_u32_e32 vcc_lo, 3, v0
	v_dual_cndmask_b32 v32, v32, v9 :: v_dual_cndmask_b32 v33, v33, v8
	v_cmp_eq_u32_e32 vcc_lo, 4, v0
	s_delay_alu instid0(VALU_DEP_2) | instskip(SKIP_1) | instid1(VALU_DEP_2)
	v_dual_cndmask_b32 v32, v32, v11 :: v_dual_cndmask_b32 v33, v33, v10
	;; [unrolled: 5-line block ×5, first 2 shown]
	v_cmp_eq_u32_e32 vcc_lo, 11, v0
	v_dual_cndmask_b32 v34, v32, v25 :: v_dual_cndmask_b32 v35, v33, v24
	v_cmp_eq_u32_e32 vcc_lo, 12, v0
	ds_load_b64 v[32:33], v98
	v_dual_cndmask_b32 v34, v34, v27 :: v_dual_cndmask_b32 v35, v35, v26
	v_cmp_eq_u32_e32 vcc_lo, 13, v0
	s_delay_alu instid0(VALU_DEP_2) | instskip(NEXT) | instid1(VALU_DEP_3)
	v_cndmask_b32_e32 v34, v34, v29, vcc_lo
	v_cndmask_b32_e32 v38, v35, v28, vcc_lo
	v_cmp_eq_u32_e32 vcc_lo, 14, v0
	s_delay_alu instid0(VALU_DEP_3) | instskip(NEXT) | instid1(VALU_DEP_3)
	v_cndmask_b32_e32 v35, v34, v31, vcc_lo
	v_cndmask_b32_e32 v34, v38, v30, vcc_lo
	s_waitcnt lgkmcnt(0)
	s_delay_alu instid0(VALU_DEP_1)
	v_mul_f64 v[32:33], v[34:35], v[32:33]
	s_cbranch_execz .LBB78_230
	s_branch .LBB78_231
.LBB78_229:
                                        ; implicit-def: $vgpr32_vgpr33
.LBB78_230:
	ds_load_b64 v[32:33], v98
.LBB78_231:
	s_mov_b32 s3, exec_lo
	v_cmpx_ne_u32_e32 2, v0
	s_cbranch_execz .LBB78_235
; %bb.232:
	v_cmp_eq_u32_e32 vcc_lo, 1, v37
	v_dual_cndmask_b32 v34, v3, v5 :: v_dual_cndmask_b32 v35, v2, v4
	v_cmp_eq_u32_e32 vcc_lo, 2, v37
	s_delay_alu instid0(VALU_DEP_2) | instskip(SKIP_1) | instid1(VALU_DEP_2)
	v_dual_cndmask_b32 v34, v34, v7 :: v_dual_cndmask_b32 v35, v35, v6
	v_cmp_eq_u32_e32 vcc_lo, 3, v37
	v_dual_cndmask_b32 v9, v34, v9 :: v_dual_cndmask_b32 v8, v35, v8
	v_cmp_eq_u32_e32 vcc_lo, 4, v37
	s_delay_alu instid0(VALU_DEP_2) | instskip(SKIP_1) | instid1(VALU_DEP_2)
	v_dual_cndmask_b32 v9, v9, v11 :: v_dual_cndmask_b32 v8, v8, v10
	;; [unrolled: 5-line block ×5, first 2 shown]
	v_cmp_eq_u32_e32 vcc_lo, 11, v37
	v_dual_cndmask_b32 v34, v9, v25 :: v_dual_cndmask_b32 v35, v8, v24
	v_cmp_eq_u32_e32 vcc_lo, 12, v37
	ds_load_b64 v[8:9], v98 offset:8
	v_dual_cndmask_b32 v34, v34, v27 :: v_dual_cndmask_b32 v35, v35, v26
	v_cmp_eq_u32_e32 vcc_lo, 13, v37
	s_delay_alu instid0(VALU_DEP_2) | instskip(NEXT) | instid1(VALU_DEP_3)
	v_cndmask_b32_e32 v34, v34, v29, vcc_lo
	v_cndmask_b32_e32 v38, v35, v28, vcc_lo
	v_cmp_eq_u32_e32 vcc_lo, 14, v37
	s_delay_alu instid0(VALU_DEP_3) | instskip(NEXT) | instid1(VALU_DEP_3)
	v_cndmask_b32_e32 v35, v34, v31, vcc_lo
	v_cndmask_b32_e32 v34, v38, v30, vcc_lo
	s_waitcnt lgkmcnt(0)
	s_delay_alu instid0(VALU_DEP_1)
	v_fma_f64 v[32:33], v[34:35], v[8:9], v[32:33]
	s_and_saveexec_b32 s4, s0
	s_cbranch_execz .LBB78_234
; %bb.233:
	v_mov_b32_e32 v8, 0
	ds_load_b64 v[8:9], v8 offset:144
	s_waitcnt lgkmcnt(0)
	v_fma_f64 v[32:33], v[6:7], v[8:9], v[32:33]
.LBB78_234:
	s_or_b32 exec_lo, exec_lo, s4
.LBB78_235:
	s_delay_alu instid0(SALU_CYCLE_1)
	s_or_b32 exec_lo, exec_lo, s3
	v_mov_b32_e32 v8, 0
	ds_load_b64 v[8:9], v8 offset:24
	s_waitcnt lgkmcnt(0)
	v_mul_f64 v[8:9], v[32:33], v[8:9]
.LBB78_236:
	s_or_b32 exec_lo, exec_lo, s2
	s_delay_alu instid0(SALU_CYCLE_1)
	s_mov_b32 s3, exec_lo
	ds_store_b64 v98, v[10:11]
	s_waitcnt lgkmcnt(0)
	s_barrier
	buffer_gl0_inv
	v_cmpx_gt_u32_e32 4, v0
	s_cbranch_execz .LBB78_246
; %bb.237:
	v_cmp_ne_u32_e32 vcc_lo, 1, v36
	s_cbranch_vccnz .LBB78_239
; %bb.238:
	v_cmp_eq_u32_e32 vcc_lo, 1, v0
	v_dual_cndmask_b32 v32, v3, v5 :: v_dual_cndmask_b32 v33, v2, v4
	v_cmp_eq_u32_e32 vcc_lo, 2, v0
	s_delay_alu instid0(VALU_DEP_2) | instskip(SKIP_1) | instid1(VALU_DEP_2)
	v_dual_cndmask_b32 v32, v32, v7 :: v_dual_cndmask_b32 v33, v33, v6
	v_cmp_eq_u32_e32 vcc_lo, 3, v0
	v_dual_cndmask_b32 v32, v32, v9 :: v_dual_cndmask_b32 v33, v33, v8
	v_cmp_eq_u32_e32 vcc_lo, 4, v0
	s_delay_alu instid0(VALU_DEP_2) | instskip(SKIP_1) | instid1(VALU_DEP_2)
	v_dual_cndmask_b32 v32, v32, v11 :: v_dual_cndmask_b32 v33, v33, v10
	;; [unrolled: 5-line block ×5, first 2 shown]
	v_cmp_eq_u32_e32 vcc_lo, 11, v0
	v_dual_cndmask_b32 v34, v32, v25 :: v_dual_cndmask_b32 v35, v33, v24
	v_cmp_eq_u32_e32 vcc_lo, 12, v0
	ds_load_b64 v[32:33], v98
	v_dual_cndmask_b32 v34, v34, v27 :: v_dual_cndmask_b32 v35, v35, v26
	v_cmp_eq_u32_e32 vcc_lo, 13, v0
	s_delay_alu instid0(VALU_DEP_2) | instskip(NEXT) | instid1(VALU_DEP_3)
	v_cndmask_b32_e32 v34, v34, v29, vcc_lo
	v_cndmask_b32_e32 v38, v35, v28, vcc_lo
	v_cmp_eq_u32_e32 vcc_lo, 14, v0
	s_delay_alu instid0(VALU_DEP_3) | instskip(NEXT) | instid1(VALU_DEP_3)
	v_cndmask_b32_e32 v35, v34, v31, vcc_lo
	v_cndmask_b32_e32 v34, v38, v30, vcc_lo
	s_waitcnt lgkmcnt(0)
	s_delay_alu instid0(VALU_DEP_1)
	v_mul_f64 v[32:33], v[34:35], v[32:33]
	s_cbranch_execz .LBB78_240
	s_branch .LBB78_241
.LBB78_239:
                                        ; implicit-def: $vgpr32_vgpr33
.LBB78_240:
	ds_load_b64 v[32:33], v98
.LBB78_241:
	s_mov_b32 s4, exec_lo
	v_cmpx_ne_u32_e32 3, v0
	s_cbranch_execz .LBB78_245
; %bb.242:
	v_lshl_add_u32 v38, v0, 3, 0x88
	v_dual_mov_b32 v35, v1 :: v_dual_mov_b32 v34, v0
	s_mov_b32 s5, 0
.LBB78_243:                             ; =>This Inner Loop Header: Depth=1
	s_delay_alu instid0(VALU_DEP_1) | instskip(NEXT) | instid1(VALU_DEP_2)
	v_add_co_u32 v34, vcc_lo, v34, 1
	v_add_co_ci_u32_e32 v35, vcc_lo, 0, v35, vcc_lo
	s_delay_alu instid0(VALU_DEP_2) | instskip(SKIP_3) | instid1(VALU_DEP_2)
	v_cmp_eq_u32_e32 vcc_lo, 1, v34
	v_cmp_eq_u32_e64 s2, 2, v34
	v_dual_cndmask_b32 v39, v3, v5 :: v_dual_cndmask_b32 v40, v2, v4
	v_cmp_eq_u32_e32 vcc_lo, 3, v34
	v_cndmask_b32_e64 v39, v39, v7, s2
	s_delay_alu instid0(VALU_DEP_3) | instskip(SKIP_1) | instid1(VALU_DEP_2)
	v_cndmask_b32_e64 v40, v40, v6, s2
	v_cmp_eq_u32_e64 s2, 4, v34
	v_dual_cndmask_b32 v39, v39, v9 :: v_dual_cndmask_b32 v40, v40, v8
	v_cmp_eq_u32_e32 vcc_lo, 5, v34
	s_delay_alu instid0(VALU_DEP_2) | instskip(NEXT) | instid1(VALU_DEP_3)
	v_cndmask_b32_e64 v39, v39, v11, s2
	v_cndmask_b32_e64 v40, v40, v10, s2
	v_cmp_eq_u32_e64 s2, 6, v34
	s_delay_alu instid0(VALU_DEP_2) | instskip(SKIP_1) | instid1(VALU_DEP_2)
	v_dual_cndmask_b32 v39, v39, v13 :: v_dual_cndmask_b32 v40, v40, v12
	v_cmp_eq_u32_e32 vcc_lo, 7, v34
	v_cndmask_b32_e64 v39, v39, v15, s2
	s_delay_alu instid0(VALU_DEP_3) | instskip(SKIP_1) | instid1(VALU_DEP_2)
	v_cndmask_b32_e64 v40, v40, v14, s2
	v_cmp_eq_u32_e64 s2, 8, v34
	v_dual_cndmask_b32 v39, v39, v17 :: v_dual_cndmask_b32 v40, v40, v16
	v_cmp_eq_u32_e32 vcc_lo, 9, v34
	s_delay_alu instid0(VALU_DEP_2) | instskip(NEXT) | instid1(VALU_DEP_3)
	v_cndmask_b32_e64 v39, v39, v19, s2
	v_cndmask_b32_e64 v40, v40, v18, s2
	v_cmp_eq_u32_e64 s2, 10, v34
	s_delay_alu instid0(VALU_DEP_2) | instskip(SKIP_1) | instid1(VALU_DEP_2)
	v_dual_cndmask_b32 v39, v39, v21 :: v_dual_cndmask_b32 v40, v40, v20
	v_cmp_eq_u32_e32 vcc_lo, 11, v34
	v_cndmask_b32_e64 v41, v39, v23, s2
	s_delay_alu instid0(VALU_DEP_3)
	v_cndmask_b32_e64 v42, v40, v22, s2
	ds_load_b64 v[39:40], v38
	v_cmp_eq_u32_e64 s2, 12, v34
	v_dual_cndmask_b32 v41, v41, v25 :: v_dual_add_nc_u32 v38, 8, v38
	v_cndmask_b32_e32 v42, v42, v24, vcc_lo
	v_cmp_eq_u32_e32 vcc_lo, 13, v34
	s_delay_alu instid0(VALU_DEP_3) | instskip(NEXT) | instid1(VALU_DEP_3)
	v_cndmask_b32_e64 v41, v41, v27, s2
	v_cndmask_b32_e64 v42, v42, v26, s2
	v_cmp_eq_u32_e64 s2, 14, v34
	s_delay_alu instid0(VALU_DEP_3) | instskip(NEXT) | instid1(VALU_DEP_3)
	v_cndmask_b32_e32 v41, v41, v29, vcc_lo
	v_cndmask_b32_e32 v43, v42, v28, vcc_lo
	v_cmp_lt_u32_e32 vcc_lo, 2, v34
	s_delay_alu instid0(VALU_DEP_3) | instskip(NEXT) | instid1(VALU_DEP_3)
	v_cndmask_b32_e64 v42, v41, v31, s2
	v_cndmask_b32_e64 v41, v43, v30, s2
	s_or_b32 s5, vcc_lo, s5
	s_waitcnt lgkmcnt(0)
	s_delay_alu instid0(VALU_DEP_1)
	v_fma_f64 v[32:33], v[41:42], v[39:40], v[32:33]
	s_and_not1_b32 exec_lo, exec_lo, s5
	s_cbranch_execnz .LBB78_243
; %bb.244:
	s_or_b32 exec_lo, exec_lo, s5
.LBB78_245:
	s_delay_alu instid0(SALU_CYCLE_1)
	s_or_b32 exec_lo, exec_lo, s4
	v_mov_b32_e32 v10, 0
	ds_load_b64 v[10:11], v10 offset:32
	s_waitcnt lgkmcnt(0)
	v_mul_f64 v[10:11], v[32:33], v[10:11]
.LBB78_246:
	s_or_b32 exec_lo, exec_lo, s3
	v_cmp_gt_u32_e64 s2, 5, v0
	ds_store_b64 v98, v[12:13]
	s_waitcnt lgkmcnt(0)
	s_barrier
	buffer_gl0_inv
	s_and_saveexec_b32 s4, s2
	s_cbranch_execz .LBB78_256
; %bb.247:
	v_cmp_ne_u32_e32 vcc_lo, 1, v36
	s_cbranch_vccnz .LBB78_249
; %bb.248:
	v_cmp_eq_u32_e32 vcc_lo, 1, v0
	v_dual_cndmask_b32 v32, v3, v5 :: v_dual_cndmask_b32 v33, v2, v4
	v_cmp_eq_u32_e32 vcc_lo, 2, v0
	s_delay_alu instid0(VALU_DEP_2) | instskip(SKIP_1) | instid1(VALU_DEP_2)
	v_dual_cndmask_b32 v32, v32, v7 :: v_dual_cndmask_b32 v33, v33, v6
	v_cmp_eq_u32_e32 vcc_lo, 3, v0
	v_dual_cndmask_b32 v32, v32, v9 :: v_dual_cndmask_b32 v33, v33, v8
	v_cmp_eq_u32_e32 vcc_lo, 4, v0
	s_delay_alu instid0(VALU_DEP_2) | instskip(SKIP_1) | instid1(VALU_DEP_2)
	v_dual_cndmask_b32 v32, v32, v11 :: v_dual_cndmask_b32 v33, v33, v10
	;; [unrolled: 5-line block ×5, first 2 shown]
	v_cmp_eq_u32_e32 vcc_lo, 11, v0
	v_dual_cndmask_b32 v34, v32, v25 :: v_dual_cndmask_b32 v35, v33, v24
	v_cmp_eq_u32_e32 vcc_lo, 12, v0
	ds_load_b64 v[32:33], v98
	v_dual_cndmask_b32 v34, v34, v27 :: v_dual_cndmask_b32 v35, v35, v26
	v_cmp_eq_u32_e32 vcc_lo, 13, v0
	s_delay_alu instid0(VALU_DEP_2) | instskip(NEXT) | instid1(VALU_DEP_3)
	v_cndmask_b32_e32 v34, v34, v29, vcc_lo
	v_cndmask_b32_e32 v38, v35, v28, vcc_lo
	v_cmp_eq_u32_e32 vcc_lo, 14, v0
	s_delay_alu instid0(VALU_DEP_3) | instskip(NEXT) | instid1(VALU_DEP_3)
	v_cndmask_b32_e32 v35, v34, v31, vcc_lo
	v_cndmask_b32_e32 v34, v38, v30, vcc_lo
	s_waitcnt lgkmcnt(0)
	s_delay_alu instid0(VALU_DEP_1)
	v_mul_f64 v[32:33], v[34:35], v[32:33]
	s_cbranch_execz .LBB78_250
	s_branch .LBB78_251
.LBB78_249:
                                        ; implicit-def: $vgpr32_vgpr33
.LBB78_250:
	ds_load_b64 v[32:33], v98
.LBB78_251:
	s_mov_b32 s5, exec_lo
	v_cmpx_ne_u32_e32 4, v0
	s_cbranch_execz .LBB78_255
; %bb.252:
	v_lshl_add_u32 v38, v0, 3, 0x88
	v_dual_mov_b32 v35, v1 :: v_dual_mov_b32 v34, v0
	s_mov_b32 s6, 0
.LBB78_253:                             ; =>This Inner Loop Header: Depth=1
	s_delay_alu instid0(VALU_DEP_1) | instskip(NEXT) | instid1(VALU_DEP_2)
	v_add_co_u32 v34, vcc_lo, v34, 1
	v_add_co_ci_u32_e32 v35, vcc_lo, 0, v35, vcc_lo
	s_delay_alu instid0(VALU_DEP_2) | instskip(SKIP_3) | instid1(VALU_DEP_2)
	v_cmp_eq_u32_e32 vcc_lo, 1, v34
	v_cmp_eq_u32_e64 s3, 2, v34
	v_dual_cndmask_b32 v39, v3, v5 :: v_dual_cndmask_b32 v40, v2, v4
	v_cmp_eq_u32_e32 vcc_lo, 3, v34
	v_cndmask_b32_e64 v39, v39, v7, s3
	s_delay_alu instid0(VALU_DEP_3) | instskip(SKIP_1) | instid1(VALU_DEP_2)
	v_cndmask_b32_e64 v40, v40, v6, s3
	v_cmp_eq_u32_e64 s3, 4, v34
	v_dual_cndmask_b32 v39, v39, v9 :: v_dual_cndmask_b32 v40, v40, v8
	v_cmp_eq_u32_e32 vcc_lo, 5, v34
	s_delay_alu instid0(VALU_DEP_2) | instskip(NEXT) | instid1(VALU_DEP_3)
	v_cndmask_b32_e64 v39, v39, v11, s3
	v_cndmask_b32_e64 v40, v40, v10, s3
	v_cmp_eq_u32_e64 s3, 6, v34
	s_delay_alu instid0(VALU_DEP_2) | instskip(SKIP_1) | instid1(VALU_DEP_2)
	v_dual_cndmask_b32 v39, v39, v13 :: v_dual_cndmask_b32 v40, v40, v12
	v_cmp_eq_u32_e32 vcc_lo, 7, v34
	v_cndmask_b32_e64 v39, v39, v15, s3
	s_delay_alu instid0(VALU_DEP_3) | instskip(SKIP_1) | instid1(VALU_DEP_2)
	v_cndmask_b32_e64 v40, v40, v14, s3
	v_cmp_eq_u32_e64 s3, 8, v34
	v_dual_cndmask_b32 v39, v39, v17 :: v_dual_cndmask_b32 v40, v40, v16
	v_cmp_eq_u32_e32 vcc_lo, 9, v34
	s_delay_alu instid0(VALU_DEP_2) | instskip(NEXT) | instid1(VALU_DEP_3)
	v_cndmask_b32_e64 v39, v39, v19, s3
	v_cndmask_b32_e64 v40, v40, v18, s3
	v_cmp_eq_u32_e64 s3, 10, v34
	s_delay_alu instid0(VALU_DEP_2) | instskip(SKIP_1) | instid1(VALU_DEP_2)
	v_dual_cndmask_b32 v39, v39, v21 :: v_dual_cndmask_b32 v40, v40, v20
	v_cmp_eq_u32_e32 vcc_lo, 11, v34
	v_cndmask_b32_e64 v41, v39, v23, s3
	s_delay_alu instid0(VALU_DEP_3)
	v_cndmask_b32_e64 v42, v40, v22, s3
	ds_load_b64 v[39:40], v38
	v_cmp_eq_u32_e64 s3, 12, v34
	v_dual_cndmask_b32 v41, v41, v25 :: v_dual_add_nc_u32 v38, 8, v38
	v_cndmask_b32_e32 v42, v42, v24, vcc_lo
	v_cmp_eq_u32_e32 vcc_lo, 13, v34
	s_delay_alu instid0(VALU_DEP_3) | instskip(NEXT) | instid1(VALU_DEP_3)
	v_cndmask_b32_e64 v41, v41, v27, s3
	v_cndmask_b32_e64 v42, v42, v26, s3
	v_cmp_eq_u32_e64 s3, 14, v34
	s_delay_alu instid0(VALU_DEP_3) | instskip(NEXT) | instid1(VALU_DEP_3)
	v_cndmask_b32_e32 v41, v41, v29, vcc_lo
	v_cndmask_b32_e32 v43, v42, v28, vcc_lo
	v_cmp_lt_u32_e32 vcc_lo, 3, v34
	s_delay_alu instid0(VALU_DEP_3) | instskip(NEXT) | instid1(VALU_DEP_3)
	v_cndmask_b32_e64 v42, v41, v31, s3
	v_cndmask_b32_e64 v41, v43, v30, s3
	s_or_b32 s6, vcc_lo, s6
	s_waitcnt lgkmcnt(0)
	s_delay_alu instid0(VALU_DEP_1)
	v_fma_f64 v[32:33], v[41:42], v[39:40], v[32:33]
	s_and_not1_b32 exec_lo, exec_lo, s6
	s_cbranch_execnz .LBB78_253
; %bb.254:
	s_or_b32 exec_lo, exec_lo, s6
.LBB78_255:
	s_delay_alu instid0(SALU_CYCLE_1)
	s_or_b32 exec_lo, exec_lo, s5
	v_mov_b32_e32 v12, 0
	ds_load_b64 v[12:13], v12 offset:40
	s_waitcnt lgkmcnt(0)
	v_mul_f64 v[12:13], v[32:33], v[12:13]
.LBB78_256:
	s_or_b32 exec_lo, exec_lo, s4
	s_delay_alu instid0(SALU_CYCLE_1)
	s_mov_b32 s4, exec_lo
	ds_store_b64 v98, v[14:15]
	s_waitcnt lgkmcnt(0)
	s_barrier
	buffer_gl0_inv
	v_cmpx_gt_u32_e32 6, v0
	s_cbranch_execz .LBB78_266
; %bb.257:
	v_cmp_ne_u32_e32 vcc_lo, 1, v36
	s_cbranch_vccnz .LBB78_259
; %bb.258:
	v_cmp_eq_u32_e32 vcc_lo, 1, v0
	v_dual_cndmask_b32 v32, v3, v5 :: v_dual_cndmask_b32 v33, v2, v4
	v_cmp_eq_u32_e32 vcc_lo, 2, v0
	s_delay_alu instid0(VALU_DEP_2) | instskip(SKIP_1) | instid1(VALU_DEP_2)
	v_dual_cndmask_b32 v32, v32, v7 :: v_dual_cndmask_b32 v33, v33, v6
	v_cmp_eq_u32_e32 vcc_lo, 3, v0
	v_dual_cndmask_b32 v32, v32, v9 :: v_dual_cndmask_b32 v33, v33, v8
	v_cmp_eq_u32_e32 vcc_lo, 4, v0
	s_delay_alu instid0(VALU_DEP_2) | instskip(SKIP_1) | instid1(VALU_DEP_2)
	v_dual_cndmask_b32 v32, v32, v11 :: v_dual_cndmask_b32 v33, v33, v10
	v_cmp_eq_u32_e32 vcc_lo, 5, v0
	v_dual_cndmask_b32 v32, v32, v13 :: v_dual_cndmask_b32 v33, v33, v12
	v_cmp_eq_u32_e32 vcc_lo, 6, v0
	s_delay_alu instid0(VALU_DEP_2) | instskip(SKIP_1) | instid1(VALU_DEP_2)
	v_dual_cndmask_b32 v32, v32, v15 :: v_dual_cndmask_b32 v33, v33, v14
	v_cmp_eq_u32_e32 vcc_lo, 7, v0
	v_dual_cndmask_b32 v32, v32, v17 :: v_dual_cndmask_b32 v33, v33, v16
	v_cmp_eq_u32_e32 vcc_lo, 8, v0
	s_delay_alu instid0(VALU_DEP_2) | instskip(SKIP_1) | instid1(VALU_DEP_2)
	v_dual_cndmask_b32 v32, v32, v19 :: v_dual_cndmask_b32 v33, v33, v18
	v_cmp_eq_u32_e32 vcc_lo, 9, v0
	v_dual_cndmask_b32 v32, v32, v21 :: v_dual_cndmask_b32 v33, v33, v20
	v_cmp_eq_u32_e32 vcc_lo, 10, v0
	s_delay_alu instid0(VALU_DEP_2) | instskip(SKIP_1) | instid1(VALU_DEP_2)
	v_dual_cndmask_b32 v32, v32, v23 :: v_dual_cndmask_b32 v33, v33, v22
	v_cmp_eq_u32_e32 vcc_lo, 11, v0
	v_dual_cndmask_b32 v34, v32, v25 :: v_dual_cndmask_b32 v35, v33, v24
	v_cmp_eq_u32_e32 vcc_lo, 12, v0
	ds_load_b64 v[32:33], v98
	v_dual_cndmask_b32 v34, v34, v27 :: v_dual_cndmask_b32 v35, v35, v26
	v_cmp_eq_u32_e32 vcc_lo, 13, v0
	s_delay_alu instid0(VALU_DEP_2) | instskip(NEXT) | instid1(VALU_DEP_3)
	v_cndmask_b32_e32 v34, v34, v29, vcc_lo
	v_cndmask_b32_e32 v38, v35, v28, vcc_lo
	v_cmp_eq_u32_e32 vcc_lo, 14, v0
	s_delay_alu instid0(VALU_DEP_3) | instskip(NEXT) | instid1(VALU_DEP_3)
	v_cndmask_b32_e32 v35, v34, v31, vcc_lo
	v_cndmask_b32_e32 v34, v38, v30, vcc_lo
	s_waitcnt lgkmcnt(0)
	s_delay_alu instid0(VALU_DEP_1)
	v_mul_f64 v[32:33], v[34:35], v[32:33]
	s_cbranch_execz .LBB78_260
	s_branch .LBB78_261
.LBB78_259:
                                        ; implicit-def: $vgpr32_vgpr33
.LBB78_260:
	ds_load_b64 v[32:33], v98
.LBB78_261:
	s_mov_b32 s5, exec_lo
	v_cmpx_ne_u32_e32 5, v0
	s_cbranch_execz .LBB78_265
; %bb.262:
	v_lshl_add_u32 v38, v0, 3, 0x88
	v_dual_mov_b32 v35, v1 :: v_dual_mov_b32 v34, v0
	s_mov_b32 s6, 0
.LBB78_263:                             ; =>This Inner Loop Header: Depth=1
	s_delay_alu instid0(VALU_DEP_1) | instskip(NEXT) | instid1(VALU_DEP_2)
	v_add_co_u32 v34, vcc_lo, v34, 1
	v_add_co_ci_u32_e32 v35, vcc_lo, 0, v35, vcc_lo
	s_delay_alu instid0(VALU_DEP_2) | instskip(SKIP_3) | instid1(VALU_DEP_2)
	v_cmp_eq_u32_e32 vcc_lo, 1, v34
	v_cmp_eq_u32_e64 s3, 2, v34
	v_dual_cndmask_b32 v39, v3, v5 :: v_dual_cndmask_b32 v40, v2, v4
	v_cmp_eq_u32_e32 vcc_lo, 3, v34
	v_cndmask_b32_e64 v39, v39, v7, s3
	s_delay_alu instid0(VALU_DEP_3) | instskip(SKIP_1) | instid1(VALU_DEP_2)
	v_cndmask_b32_e64 v40, v40, v6, s3
	v_cmp_eq_u32_e64 s3, 4, v34
	v_dual_cndmask_b32 v39, v39, v9 :: v_dual_cndmask_b32 v40, v40, v8
	v_cmp_eq_u32_e32 vcc_lo, 5, v34
	s_delay_alu instid0(VALU_DEP_2) | instskip(NEXT) | instid1(VALU_DEP_3)
	v_cndmask_b32_e64 v39, v39, v11, s3
	v_cndmask_b32_e64 v40, v40, v10, s3
	v_cmp_eq_u32_e64 s3, 6, v34
	s_delay_alu instid0(VALU_DEP_2) | instskip(SKIP_1) | instid1(VALU_DEP_2)
	v_dual_cndmask_b32 v39, v39, v13 :: v_dual_cndmask_b32 v40, v40, v12
	v_cmp_eq_u32_e32 vcc_lo, 7, v34
	v_cndmask_b32_e64 v39, v39, v15, s3
	s_delay_alu instid0(VALU_DEP_3) | instskip(SKIP_1) | instid1(VALU_DEP_2)
	v_cndmask_b32_e64 v40, v40, v14, s3
	v_cmp_eq_u32_e64 s3, 8, v34
	v_dual_cndmask_b32 v39, v39, v17 :: v_dual_cndmask_b32 v40, v40, v16
	v_cmp_eq_u32_e32 vcc_lo, 9, v34
	s_delay_alu instid0(VALU_DEP_2) | instskip(NEXT) | instid1(VALU_DEP_3)
	v_cndmask_b32_e64 v39, v39, v19, s3
	v_cndmask_b32_e64 v40, v40, v18, s3
	v_cmp_eq_u32_e64 s3, 10, v34
	s_delay_alu instid0(VALU_DEP_2) | instskip(SKIP_1) | instid1(VALU_DEP_2)
	v_dual_cndmask_b32 v39, v39, v21 :: v_dual_cndmask_b32 v40, v40, v20
	v_cmp_eq_u32_e32 vcc_lo, 11, v34
	v_cndmask_b32_e64 v41, v39, v23, s3
	s_delay_alu instid0(VALU_DEP_3)
	v_cndmask_b32_e64 v42, v40, v22, s3
	ds_load_b64 v[39:40], v38
	v_cmp_eq_u32_e64 s3, 12, v34
	v_dual_cndmask_b32 v41, v41, v25 :: v_dual_add_nc_u32 v38, 8, v38
	v_cndmask_b32_e32 v42, v42, v24, vcc_lo
	v_cmp_eq_u32_e32 vcc_lo, 13, v34
	s_delay_alu instid0(VALU_DEP_3) | instskip(NEXT) | instid1(VALU_DEP_3)
	v_cndmask_b32_e64 v41, v41, v27, s3
	v_cndmask_b32_e64 v42, v42, v26, s3
	v_cmp_eq_u32_e64 s3, 14, v34
	s_delay_alu instid0(VALU_DEP_3) | instskip(NEXT) | instid1(VALU_DEP_3)
	v_cndmask_b32_e32 v41, v41, v29, vcc_lo
	v_cndmask_b32_e32 v43, v42, v28, vcc_lo
	v_cmp_lt_u32_e32 vcc_lo, 4, v34
	s_delay_alu instid0(VALU_DEP_3) | instskip(NEXT) | instid1(VALU_DEP_3)
	v_cndmask_b32_e64 v42, v41, v31, s3
	v_cndmask_b32_e64 v41, v43, v30, s3
	s_or_b32 s6, vcc_lo, s6
	s_waitcnt lgkmcnt(0)
	s_delay_alu instid0(VALU_DEP_1)
	v_fma_f64 v[32:33], v[41:42], v[39:40], v[32:33]
	s_and_not1_b32 exec_lo, exec_lo, s6
	s_cbranch_execnz .LBB78_263
; %bb.264:
	s_or_b32 exec_lo, exec_lo, s6
.LBB78_265:
	s_delay_alu instid0(SALU_CYCLE_1)
	s_or_b32 exec_lo, exec_lo, s5
	v_mov_b32_e32 v14, 0
	ds_load_b64 v[14:15], v14 offset:48
	s_waitcnt lgkmcnt(0)
	v_mul_f64 v[14:15], v[32:33], v[14:15]
.LBB78_266:
	s_or_b32 exec_lo, exec_lo, s4
	v_cmp_gt_u32_e64 s3, 7, v0
	ds_store_b64 v98, v[16:17]
	s_waitcnt lgkmcnt(0)
	s_barrier
	buffer_gl0_inv
	s_and_saveexec_b32 s5, s3
	s_cbranch_execz .LBB78_276
; %bb.267:
	v_cmp_ne_u32_e32 vcc_lo, 1, v36
	s_cbranch_vccnz .LBB78_269
; %bb.268:
	v_cmp_eq_u32_e32 vcc_lo, 1, v0
	v_dual_cndmask_b32 v32, v3, v5 :: v_dual_cndmask_b32 v33, v2, v4
	v_cmp_eq_u32_e32 vcc_lo, 2, v0
	s_delay_alu instid0(VALU_DEP_2) | instskip(SKIP_1) | instid1(VALU_DEP_2)
	v_dual_cndmask_b32 v32, v32, v7 :: v_dual_cndmask_b32 v33, v33, v6
	v_cmp_eq_u32_e32 vcc_lo, 3, v0
	v_dual_cndmask_b32 v32, v32, v9 :: v_dual_cndmask_b32 v33, v33, v8
	v_cmp_eq_u32_e32 vcc_lo, 4, v0
	s_delay_alu instid0(VALU_DEP_2) | instskip(SKIP_1) | instid1(VALU_DEP_2)
	v_dual_cndmask_b32 v32, v32, v11 :: v_dual_cndmask_b32 v33, v33, v10
	;; [unrolled: 5-line block ×5, first 2 shown]
	v_cmp_eq_u32_e32 vcc_lo, 11, v0
	v_dual_cndmask_b32 v34, v32, v25 :: v_dual_cndmask_b32 v35, v33, v24
	v_cmp_eq_u32_e32 vcc_lo, 12, v0
	ds_load_b64 v[32:33], v98
	v_dual_cndmask_b32 v34, v34, v27 :: v_dual_cndmask_b32 v35, v35, v26
	v_cmp_eq_u32_e32 vcc_lo, 13, v0
	s_delay_alu instid0(VALU_DEP_2) | instskip(NEXT) | instid1(VALU_DEP_3)
	v_cndmask_b32_e32 v34, v34, v29, vcc_lo
	v_cndmask_b32_e32 v38, v35, v28, vcc_lo
	v_cmp_eq_u32_e32 vcc_lo, 14, v0
	s_delay_alu instid0(VALU_DEP_3) | instskip(NEXT) | instid1(VALU_DEP_3)
	v_cndmask_b32_e32 v35, v34, v31, vcc_lo
	v_cndmask_b32_e32 v34, v38, v30, vcc_lo
	s_waitcnt lgkmcnt(0)
	s_delay_alu instid0(VALU_DEP_1)
	v_mul_f64 v[32:33], v[34:35], v[32:33]
	s_cbranch_execz .LBB78_270
	s_branch .LBB78_271
.LBB78_269:
                                        ; implicit-def: $vgpr32_vgpr33
.LBB78_270:
	ds_load_b64 v[32:33], v98
.LBB78_271:
	s_mov_b32 s6, exec_lo
	v_cmpx_ne_u32_e32 6, v0
	s_cbranch_execz .LBB78_275
; %bb.272:
	v_lshl_add_u32 v38, v0, 3, 0x88
	v_dual_mov_b32 v35, v1 :: v_dual_mov_b32 v34, v0
	s_mov_b32 s7, 0
.LBB78_273:                             ; =>This Inner Loop Header: Depth=1
	s_delay_alu instid0(VALU_DEP_1) | instskip(NEXT) | instid1(VALU_DEP_2)
	v_add_co_u32 v34, vcc_lo, v34, 1
	v_add_co_ci_u32_e32 v35, vcc_lo, 0, v35, vcc_lo
	s_delay_alu instid0(VALU_DEP_2) | instskip(SKIP_3) | instid1(VALU_DEP_2)
	v_cmp_eq_u32_e32 vcc_lo, 1, v34
	v_cmp_eq_u32_e64 s4, 2, v34
	v_dual_cndmask_b32 v39, v3, v5 :: v_dual_cndmask_b32 v40, v2, v4
	v_cmp_eq_u32_e32 vcc_lo, 3, v34
	v_cndmask_b32_e64 v39, v39, v7, s4
	s_delay_alu instid0(VALU_DEP_3) | instskip(SKIP_1) | instid1(VALU_DEP_2)
	v_cndmask_b32_e64 v40, v40, v6, s4
	v_cmp_eq_u32_e64 s4, 4, v34
	v_dual_cndmask_b32 v39, v39, v9 :: v_dual_cndmask_b32 v40, v40, v8
	v_cmp_eq_u32_e32 vcc_lo, 5, v34
	s_delay_alu instid0(VALU_DEP_2) | instskip(NEXT) | instid1(VALU_DEP_3)
	v_cndmask_b32_e64 v39, v39, v11, s4
	v_cndmask_b32_e64 v40, v40, v10, s4
	v_cmp_eq_u32_e64 s4, 6, v34
	s_delay_alu instid0(VALU_DEP_2) | instskip(SKIP_1) | instid1(VALU_DEP_2)
	v_dual_cndmask_b32 v39, v39, v13 :: v_dual_cndmask_b32 v40, v40, v12
	v_cmp_eq_u32_e32 vcc_lo, 7, v34
	v_cndmask_b32_e64 v39, v39, v15, s4
	s_delay_alu instid0(VALU_DEP_3) | instskip(SKIP_1) | instid1(VALU_DEP_2)
	v_cndmask_b32_e64 v40, v40, v14, s4
	v_cmp_eq_u32_e64 s4, 8, v34
	v_dual_cndmask_b32 v39, v39, v17 :: v_dual_cndmask_b32 v40, v40, v16
	v_cmp_eq_u32_e32 vcc_lo, 9, v34
	s_delay_alu instid0(VALU_DEP_2) | instskip(NEXT) | instid1(VALU_DEP_3)
	v_cndmask_b32_e64 v39, v39, v19, s4
	v_cndmask_b32_e64 v40, v40, v18, s4
	v_cmp_eq_u32_e64 s4, 10, v34
	s_delay_alu instid0(VALU_DEP_2) | instskip(SKIP_1) | instid1(VALU_DEP_2)
	v_dual_cndmask_b32 v39, v39, v21 :: v_dual_cndmask_b32 v40, v40, v20
	v_cmp_eq_u32_e32 vcc_lo, 11, v34
	v_cndmask_b32_e64 v41, v39, v23, s4
	s_delay_alu instid0(VALU_DEP_3)
	v_cndmask_b32_e64 v42, v40, v22, s4
	ds_load_b64 v[39:40], v38
	v_cmp_eq_u32_e64 s4, 12, v34
	v_dual_cndmask_b32 v41, v41, v25 :: v_dual_add_nc_u32 v38, 8, v38
	v_cndmask_b32_e32 v42, v42, v24, vcc_lo
	v_cmp_eq_u32_e32 vcc_lo, 13, v34
	s_delay_alu instid0(VALU_DEP_3) | instskip(NEXT) | instid1(VALU_DEP_3)
	v_cndmask_b32_e64 v41, v41, v27, s4
	v_cndmask_b32_e64 v42, v42, v26, s4
	v_cmp_eq_u32_e64 s4, 14, v34
	s_delay_alu instid0(VALU_DEP_3) | instskip(NEXT) | instid1(VALU_DEP_3)
	v_cndmask_b32_e32 v41, v41, v29, vcc_lo
	v_cndmask_b32_e32 v43, v42, v28, vcc_lo
	v_cmp_lt_u32_e32 vcc_lo, 5, v34
	s_delay_alu instid0(VALU_DEP_3) | instskip(NEXT) | instid1(VALU_DEP_3)
	v_cndmask_b32_e64 v42, v41, v31, s4
	v_cndmask_b32_e64 v41, v43, v30, s4
	s_or_b32 s7, vcc_lo, s7
	s_waitcnt lgkmcnt(0)
	s_delay_alu instid0(VALU_DEP_1)
	v_fma_f64 v[32:33], v[41:42], v[39:40], v[32:33]
	s_and_not1_b32 exec_lo, exec_lo, s7
	s_cbranch_execnz .LBB78_273
; %bb.274:
	s_or_b32 exec_lo, exec_lo, s7
.LBB78_275:
	s_delay_alu instid0(SALU_CYCLE_1)
	s_or_b32 exec_lo, exec_lo, s6
	v_mov_b32_e32 v16, 0
	ds_load_b64 v[16:17], v16 offset:56
	s_waitcnt lgkmcnt(0)
	v_mul_f64 v[16:17], v[32:33], v[16:17]
.LBB78_276:
	s_or_b32 exec_lo, exec_lo, s5
	s_delay_alu instid0(SALU_CYCLE_1)
	s_mov_b32 s5, exec_lo
	ds_store_b64 v98, v[18:19]
	s_waitcnt lgkmcnt(0)
	s_barrier
	buffer_gl0_inv
	v_cmpx_gt_u32_e32 8, v0
	s_cbranch_execz .LBB78_286
; %bb.277:
	v_cmp_ne_u32_e32 vcc_lo, 1, v36
	s_cbranch_vccnz .LBB78_279
; %bb.278:
	v_cmp_eq_u32_e32 vcc_lo, 1, v0
	v_dual_cndmask_b32 v32, v3, v5 :: v_dual_cndmask_b32 v33, v2, v4
	v_cmp_eq_u32_e32 vcc_lo, 2, v0
	s_delay_alu instid0(VALU_DEP_2) | instskip(SKIP_1) | instid1(VALU_DEP_2)
	v_dual_cndmask_b32 v32, v32, v7 :: v_dual_cndmask_b32 v33, v33, v6
	v_cmp_eq_u32_e32 vcc_lo, 3, v0
	v_dual_cndmask_b32 v32, v32, v9 :: v_dual_cndmask_b32 v33, v33, v8
	v_cmp_eq_u32_e32 vcc_lo, 4, v0
	s_delay_alu instid0(VALU_DEP_2) | instskip(SKIP_1) | instid1(VALU_DEP_2)
	v_dual_cndmask_b32 v32, v32, v11 :: v_dual_cndmask_b32 v33, v33, v10
	v_cmp_eq_u32_e32 vcc_lo, 5, v0
	v_dual_cndmask_b32 v32, v32, v13 :: v_dual_cndmask_b32 v33, v33, v12
	v_cmp_eq_u32_e32 vcc_lo, 6, v0
	s_delay_alu instid0(VALU_DEP_2) | instskip(SKIP_1) | instid1(VALU_DEP_2)
	v_dual_cndmask_b32 v32, v32, v15 :: v_dual_cndmask_b32 v33, v33, v14
	v_cmp_eq_u32_e32 vcc_lo, 7, v0
	v_dual_cndmask_b32 v32, v32, v17 :: v_dual_cndmask_b32 v33, v33, v16
	v_cmp_eq_u32_e32 vcc_lo, 8, v0
	s_delay_alu instid0(VALU_DEP_2) | instskip(SKIP_1) | instid1(VALU_DEP_2)
	v_dual_cndmask_b32 v32, v32, v19 :: v_dual_cndmask_b32 v33, v33, v18
	v_cmp_eq_u32_e32 vcc_lo, 9, v0
	v_dual_cndmask_b32 v32, v32, v21 :: v_dual_cndmask_b32 v33, v33, v20
	v_cmp_eq_u32_e32 vcc_lo, 10, v0
	s_delay_alu instid0(VALU_DEP_2) | instskip(SKIP_1) | instid1(VALU_DEP_2)
	v_dual_cndmask_b32 v32, v32, v23 :: v_dual_cndmask_b32 v33, v33, v22
	v_cmp_eq_u32_e32 vcc_lo, 11, v0
	v_dual_cndmask_b32 v34, v32, v25 :: v_dual_cndmask_b32 v35, v33, v24
	v_cmp_eq_u32_e32 vcc_lo, 12, v0
	ds_load_b64 v[32:33], v98
	v_dual_cndmask_b32 v34, v34, v27 :: v_dual_cndmask_b32 v35, v35, v26
	v_cmp_eq_u32_e32 vcc_lo, 13, v0
	s_delay_alu instid0(VALU_DEP_2) | instskip(NEXT) | instid1(VALU_DEP_3)
	v_cndmask_b32_e32 v34, v34, v29, vcc_lo
	v_cndmask_b32_e32 v38, v35, v28, vcc_lo
	v_cmp_eq_u32_e32 vcc_lo, 14, v0
	s_delay_alu instid0(VALU_DEP_3) | instskip(NEXT) | instid1(VALU_DEP_3)
	v_cndmask_b32_e32 v35, v34, v31, vcc_lo
	v_cndmask_b32_e32 v34, v38, v30, vcc_lo
	s_waitcnt lgkmcnt(0)
	s_delay_alu instid0(VALU_DEP_1)
	v_mul_f64 v[32:33], v[34:35], v[32:33]
	s_cbranch_execz .LBB78_280
	s_branch .LBB78_281
.LBB78_279:
                                        ; implicit-def: $vgpr32_vgpr33
.LBB78_280:
	ds_load_b64 v[32:33], v98
.LBB78_281:
	s_mov_b32 s6, exec_lo
	v_cmpx_ne_u32_e32 7, v0
	s_cbranch_execz .LBB78_285
; %bb.282:
	v_lshl_add_u32 v38, v0, 3, 0x88
	v_dual_mov_b32 v35, v1 :: v_dual_mov_b32 v34, v0
	s_mov_b32 s7, 0
.LBB78_283:                             ; =>This Inner Loop Header: Depth=1
	s_delay_alu instid0(VALU_DEP_1) | instskip(NEXT) | instid1(VALU_DEP_2)
	v_add_co_u32 v34, vcc_lo, v34, 1
	v_add_co_ci_u32_e32 v35, vcc_lo, 0, v35, vcc_lo
	s_delay_alu instid0(VALU_DEP_2) | instskip(SKIP_3) | instid1(VALU_DEP_2)
	v_cmp_eq_u32_e32 vcc_lo, 1, v34
	v_cmp_eq_u32_e64 s4, 2, v34
	v_dual_cndmask_b32 v39, v3, v5 :: v_dual_cndmask_b32 v40, v2, v4
	v_cmp_eq_u32_e32 vcc_lo, 3, v34
	v_cndmask_b32_e64 v39, v39, v7, s4
	s_delay_alu instid0(VALU_DEP_3) | instskip(SKIP_1) | instid1(VALU_DEP_2)
	v_cndmask_b32_e64 v40, v40, v6, s4
	v_cmp_eq_u32_e64 s4, 4, v34
	v_dual_cndmask_b32 v39, v39, v9 :: v_dual_cndmask_b32 v40, v40, v8
	v_cmp_eq_u32_e32 vcc_lo, 5, v34
	s_delay_alu instid0(VALU_DEP_2) | instskip(NEXT) | instid1(VALU_DEP_3)
	v_cndmask_b32_e64 v39, v39, v11, s4
	v_cndmask_b32_e64 v40, v40, v10, s4
	v_cmp_eq_u32_e64 s4, 6, v34
	s_delay_alu instid0(VALU_DEP_2) | instskip(SKIP_1) | instid1(VALU_DEP_2)
	v_dual_cndmask_b32 v39, v39, v13 :: v_dual_cndmask_b32 v40, v40, v12
	v_cmp_eq_u32_e32 vcc_lo, 7, v34
	v_cndmask_b32_e64 v39, v39, v15, s4
	s_delay_alu instid0(VALU_DEP_3) | instskip(SKIP_1) | instid1(VALU_DEP_2)
	v_cndmask_b32_e64 v40, v40, v14, s4
	v_cmp_eq_u32_e64 s4, 8, v34
	v_dual_cndmask_b32 v39, v39, v17 :: v_dual_cndmask_b32 v40, v40, v16
	v_cmp_eq_u32_e32 vcc_lo, 9, v34
	s_delay_alu instid0(VALU_DEP_2) | instskip(NEXT) | instid1(VALU_DEP_3)
	v_cndmask_b32_e64 v39, v39, v19, s4
	v_cndmask_b32_e64 v40, v40, v18, s4
	v_cmp_eq_u32_e64 s4, 10, v34
	s_delay_alu instid0(VALU_DEP_2) | instskip(SKIP_1) | instid1(VALU_DEP_2)
	v_dual_cndmask_b32 v39, v39, v21 :: v_dual_cndmask_b32 v40, v40, v20
	v_cmp_eq_u32_e32 vcc_lo, 11, v34
	v_cndmask_b32_e64 v41, v39, v23, s4
	s_delay_alu instid0(VALU_DEP_3)
	v_cndmask_b32_e64 v42, v40, v22, s4
	ds_load_b64 v[39:40], v38
	v_cmp_eq_u32_e64 s4, 12, v34
	v_dual_cndmask_b32 v41, v41, v25 :: v_dual_add_nc_u32 v38, 8, v38
	v_cndmask_b32_e32 v42, v42, v24, vcc_lo
	v_cmp_eq_u32_e32 vcc_lo, 13, v34
	s_delay_alu instid0(VALU_DEP_3) | instskip(NEXT) | instid1(VALU_DEP_3)
	v_cndmask_b32_e64 v41, v41, v27, s4
	v_cndmask_b32_e64 v42, v42, v26, s4
	v_cmp_eq_u32_e64 s4, 14, v34
	s_delay_alu instid0(VALU_DEP_3) | instskip(NEXT) | instid1(VALU_DEP_3)
	v_cndmask_b32_e32 v41, v41, v29, vcc_lo
	v_cndmask_b32_e32 v43, v42, v28, vcc_lo
	v_cmp_lt_u32_e32 vcc_lo, 6, v34
	s_delay_alu instid0(VALU_DEP_3) | instskip(NEXT) | instid1(VALU_DEP_3)
	v_cndmask_b32_e64 v42, v41, v31, s4
	v_cndmask_b32_e64 v41, v43, v30, s4
	s_or_b32 s7, vcc_lo, s7
	s_waitcnt lgkmcnt(0)
	s_delay_alu instid0(VALU_DEP_1)
	v_fma_f64 v[32:33], v[41:42], v[39:40], v[32:33]
	s_and_not1_b32 exec_lo, exec_lo, s7
	s_cbranch_execnz .LBB78_283
; %bb.284:
	s_or_b32 exec_lo, exec_lo, s7
.LBB78_285:
	s_delay_alu instid0(SALU_CYCLE_1)
	s_or_b32 exec_lo, exec_lo, s6
	v_mov_b32_e32 v18, 0
	ds_load_b64 v[18:19], v18 offset:64
	s_waitcnt lgkmcnt(0)
	v_mul_f64 v[18:19], v[32:33], v[18:19]
.LBB78_286:
	s_or_b32 exec_lo, exec_lo, s5
	s_delay_alu instid0(SALU_CYCLE_1)
	s_mov_b32 s4, exec_lo
	ds_store_b64 v98, v[20:21]
	s_waitcnt lgkmcnt(0)
	s_barrier
	buffer_gl0_inv
	v_cmpx_gt_u32_e32 9, v0
	s_cbranch_execz .LBB78_308
; %bb.287:
	v_cmp_ne_u32_e32 vcc_lo, 1, v36
	s_cbranch_vccnz .LBB78_289
; %bb.288:
	v_cmp_eq_u32_e32 vcc_lo, 1, v0
	v_dual_cndmask_b32 v32, v3, v5 :: v_dual_cndmask_b32 v33, v2, v4
	v_cmp_eq_u32_e32 vcc_lo, 2, v0
	s_delay_alu instid0(VALU_DEP_2) | instskip(SKIP_1) | instid1(VALU_DEP_2)
	v_dual_cndmask_b32 v32, v32, v7 :: v_dual_cndmask_b32 v33, v33, v6
	v_cmp_eq_u32_e32 vcc_lo, 3, v0
	v_dual_cndmask_b32 v32, v32, v9 :: v_dual_cndmask_b32 v33, v33, v8
	v_cmp_eq_u32_e32 vcc_lo, 4, v0
	s_delay_alu instid0(VALU_DEP_2) | instskip(SKIP_1) | instid1(VALU_DEP_2)
	v_dual_cndmask_b32 v32, v32, v11 :: v_dual_cndmask_b32 v33, v33, v10
	;; [unrolled: 5-line block ×5, first 2 shown]
	v_cmp_eq_u32_e32 vcc_lo, 11, v0
	v_dual_cndmask_b32 v34, v32, v25 :: v_dual_cndmask_b32 v35, v33, v24
	v_cmp_eq_u32_e32 vcc_lo, 12, v0
	ds_load_b64 v[32:33], v98
	v_dual_cndmask_b32 v34, v34, v27 :: v_dual_cndmask_b32 v35, v35, v26
	v_cmp_eq_u32_e32 vcc_lo, 13, v0
	s_delay_alu instid0(VALU_DEP_2) | instskip(NEXT) | instid1(VALU_DEP_3)
	v_cndmask_b32_e32 v34, v34, v29, vcc_lo
	v_cndmask_b32_e32 v38, v35, v28, vcc_lo
	v_cmp_eq_u32_e32 vcc_lo, 14, v0
	s_delay_alu instid0(VALU_DEP_3) | instskip(NEXT) | instid1(VALU_DEP_3)
	v_cndmask_b32_e32 v35, v34, v31, vcc_lo
	v_cndmask_b32_e32 v34, v38, v30, vcc_lo
	s_waitcnt lgkmcnt(0)
	s_delay_alu instid0(VALU_DEP_1)
	v_mul_f64 v[32:33], v[34:35], v[32:33]
	s_cbranch_execz .LBB78_290
	s_branch .LBB78_291
.LBB78_289:
                                        ; implicit-def: $vgpr32_vgpr33
.LBB78_290:
	ds_load_b64 v[32:33], v98
.LBB78_291:
	s_mov_b32 s5, exec_lo
	v_cmpx_ne_u32_e32 8, v0
	s_cbranch_execz .LBB78_307
; %bb.292:
	v_cmp_eq_u32_e32 vcc_lo, 1, v37
	v_dual_cndmask_b32 v34, v3, v5 :: v_dual_cndmask_b32 v35, v2, v4
	v_cmp_eq_u32_e32 vcc_lo, 2, v37
	s_delay_alu instid0(VALU_DEP_2) | instskip(SKIP_1) | instid1(VALU_DEP_2)
	v_dual_cndmask_b32 v34, v34, v7 :: v_dual_cndmask_b32 v35, v35, v6
	v_cmp_eq_u32_e32 vcc_lo, 3, v37
	v_dual_cndmask_b32 v34, v34, v9 :: v_dual_cndmask_b32 v35, v35, v8
	v_cmp_eq_u32_e32 vcc_lo, 4, v37
	s_delay_alu instid0(VALU_DEP_2) | instskip(SKIP_1) | instid1(VALU_DEP_2)
	v_dual_cndmask_b32 v34, v34, v11 :: v_dual_cndmask_b32 v35, v35, v10
	;; [unrolled: 5-line block ×5, first 2 shown]
	v_cmp_eq_u32_e32 vcc_lo, 11, v37
	v_dual_cndmask_b32 v38, v34, v25 :: v_dual_cndmask_b32 v39, v35, v24
	v_cmp_eq_u32_e32 vcc_lo, 12, v37
	ds_load_b64 v[34:35], v98 offset:8
	v_dual_cndmask_b32 v38, v38, v27 :: v_dual_cndmask_b32 v39, v39, v26
	v_cmp_eq_u32_e32 vcc_lo, 13, v37
	s_delay_alu instid0(VALU_DEP_2) | instskip(SKIP_1) | instid1(VALU_DEP_2)
	v_dual_cndmask_b32 v38, v38, v29 :: v_dual_cndmask_b32 v39, v39, v28
	v_cmp_eq_u32_e32 vcc_lo, 14, v37
	v_dual_cndmask_b32 v38, v38, v31 :: v_dual_cndmask_b32 v37, v39, v30
	s_waitcnt lgkmcnt(0)
	s_delay_alu instid0(VALU_DEP_1)
	v_fma_f64 v[32:33], v[37:38], v[34:35], v[32:33]
	s_and_saveexec_b32 s6, s3
	s_cbranch_execz .LBB78_306
; %bb.293:
	v_add_nc_u32_e32 v37, 2, v0
	s_mov_b32 s3, exec_lo
	s_delay_alu instid0(VALU_DEP_1) | instskip(SKIP_2) | instid1(VALU_DEP_2)
	v_cmp_eq_u32_e32 vcc_lo, 1, v37
	v_dual_cndmask_b32 v34, v3, v5 :: v_dual_cndmask_b32 v35, v2, v4
	v_cmp_eq_u32_e32 vcc_lo, 2, v37
	v_dual_cndmask_b32 v34, v34, v7 :: v_dual_cndmask_b32 v35, v35, v6
	v_cmp_eq_u32_e32 vcc_lo, 3, v37
	s_delay_alu instid0(VALU_DEP_2) | instskip(SKIP_1) | instid1(VALU_DEP_2)
	v_dual_cndmask_b32 v34, v34, v9 :: v_dual_cndmask_b32 v35, v35, v8
	v_cmp_eq_u32_e32 vcc_lo, 4, v37
	v_dual_cndmask_b32 v34, v34, v11 :: v_dual_cndmask_b32 v35, v35, v10
	v_cmp_eq_u32_e32 vcc_lo, 5, v37
	s_delay_alu instid0(VALU_DEP_2) | instskip(SKIP_1) | instid1(VALU_DEP_2)
	;; [unrolled: 5-line block ×4, first 2 shown]
	v_dual_cndmask_b32 v34, v34, v21 :: v_dual_cndmask_b32 v35, v35, v20
	v_cmp_eq_u32_e32 vcc_lo, 10, v37
	v_dual_cndmask_b32 v34, v34, v23 :: v_dual_cndmask_b32 v35, v35, v22
	v_cmp_eq_u32_e32 vcc_lo, 11, v37
	s_delay_alu instid0(VALU_DEP_2) | instskip(SKIP_4) | instid1(VALU_DEP_2)
	v_dual_cndmask_b32 v38, v34, v25 :: v_dual_cndmask_b32 v39, v35, v24
	v_cmp_eq_u32_e32 vcc_lo, 12, v37
	ds_load_b64 v[34:35], v98 offset:16
	v_dual_cndmask_b32 v38, v38, v27 :: v_dual_cndmask_b32 v39, v39, v26
	v_cmp_eq_u32_e32 vcc_lo, 13, v37
	v_dual_cndmask_b32 v38, v38, v29 :: v_dual_cndmask_b32 v39, v39, v28
	v_cmp_eq_u32_e32 vcc_lo, 14, v37
	s_delay_alu instid0(VALU_DEP_2) | instskip(SKIP_1) | instid1(VALU_DEP_1)
	v_dual_cndmask_b32 v38, v38, v31 :: v_dual_cndmask_b32 v37, v39, v30
	s_waitcnt lgkmcnt(0)
	v_fma_f64 v[32:33], v[37:38], v[34:35], v[32:33]
	v_cmpx_ne_u32_e32 6, v0
	s_cbranch_execz .LBB78_305
; %bb.294:
	v_add_nc_u32_e32 v37, 3, v0
	s_delay_alu instid0(VALU_DEP_1) | instskip(SKIP_2) | instid1(VALU_DEP_2)
	v_cmp_eq_u32_e32 vcc_lo, 1, v37
	v_dual_cndmask_b32 v34, v3, v5 :: v_dual_cndmask_b32 v35, v2, v4
	v_cmp_eq_u32_e32 vcc_lo, 2, v37
	v_dual_cndmask_b32 v34, v34, v7 :: v_dual_cndmask_b32 v35, v35, v6
	v_cmp_eq_u32_e32 vcc_lo, 3, v37
	s_delay_alu instid0(VALU_DEP_2) | instskip(SKIP_1) | instid1(VALU_DEP_2)
	v_dual_cndmask_b32 v34, v34, v9 :: v_dual_cndmask_b32 v35, v35, v8
	v_cmp_eq_u32_e32 vcc_lo, 4, v37
	v_dual_cndmask_b32 v34, v34, v11 :: v_dual_cndmask_b32 v35, v35, v10
	v_cmp_eq_u32_e32 vcc_lo, 5, v37
	s_delay_alu instid0(VALU_DEP_2) | instskip(SKIP_1) | instid1(VALU_DEP_2)
	;; [unrolled: 5-line block ×4, first 2 shown]
	v_dual_cndmask_b32 v34, v34, v21 :: v_dual_cndmask_b32 v35, v35, v20
	v_cmp_eq_u32_e32 vcc_lo, 10, v37
	v_dual_cndmask_b32 v34, v34, v23 :: v_dual_cndmask_b32 v35, v35, v22
	v_cmp_eq_u32_e32 vcc_lo, 11, v37
	s_delay_alu instid0(VALU_DEP_2) | instskip(SKIP_4) | instid1(VALU_DEP_2)
	v_dual_cndmask_b32 v38, v34, v25 :: v_dual_cndmask_b32 v39, v35, v24
	v_cmp_eq_u32_e32 vcc_lo, 12, v37
	ds_load_b64 v[34:35], v98 offset:24
	v_dual_cndmask_b32 v38, v38, v27 :: v_dual_cndmask_b32 v39, v39, v26
	v_cmp_eq_u32_e32 vcc_lo, 13, v37
	v_dual_cndmask_b32 v38, v38, v29 :: v_dual_cndmask_b32 v39, v39, v28
	v_cmp_eq_u32_e32 vcc_lo, 14, v37
	s_delay_alu instid0(VALU_DEP_2) | instskip(SKIP_1) | instid1(VALU_DEP_1)
	v_dual_cndmask_b32 v38, v38, v31 :: v_dual_cndmask_b32 v37, v39, v30
	s_waitcnt lgkmcnt(0)
	v_fma_f64 v[32:33], v[37:38], v[34:35], v[32:33]
	s_and_saveexec_b32 s7, s2
	s_cbranch_execz .LBB78_304
; %bb.295:
	v_add_nc_u32_e32 v37, 4, v0
	s_mov_b32 s2, exec_lo
	s_delay_alu instid0(VALU_DEP_1) | instskip(SKIP_2) | instid1(VALU_DEP_2)
	v_cmp_eq_u32_e32 vcc_lo, 1, v37
	v_dual_cndmask_b32 v34, v3, v5 :: v_dual_cndmask_b32 v35, v2, v4
	v_cmp_eq_u32_e32 vcc_lo, 2, v37
	v_dual_cndmask_b32 v34, v34, v7 :: v_dual_cndmask_b32 v35, v35, v6
	v_cmp_eq_u32_e32 vcc_lo, 3, v37
	s_delay_alu instid0(VALU_DEP_2) | instskip(SKIP_1) | instid1(VALU_DEP_2)
	v_dual_cndmask_b32 v34, v34, v9 :: v_dual_cndmask_b32 v35, v35, v8
	v_cmp_eq_u32_e32 vcc_lo, 4, v37
	v_dual_cndmask_b32 v34, v34, v11 :: v_dual_cndmask_b32 v35, v35, v10
	v_cmp_eq_u32_e32 vcc_lo, 5, v37
	s_delay_alu instid0(VALU_DEP_2) | instskip(SKIP_1) | instid1(VALU_DEP_2)
	;; [unrolled: 5-line block ×4, first 2 shown]
	v_dual_cndmask_b32 v34, v34, v21 :: v_dual_cndmask_b32 v35, v35, v20
	v_cmp_eq_u32_e32 vcc_lo, 10, v37
	v_dual_cndmask_b32 v34, v34, v23 :: v_dual_cndmask_b32 v35, v35, v22
	v_cmp_eq_u32_e32 vcc_lo, 11, v37
	s_delay_alu instid0(VALU_DEP_2) | instskip(SKIP_4) | instid1(VALU_DEP_2)
	v_dual_cndmask_b32 v38, v34, v25 :: v_dual_cndmask_b32 v39, v35, v24
	v_cmp_eq_u32_e32 vcc_lo, 12, v37
	ds_load_b64 v[34:35], v98 offset:32
	v_dual_cndmask_b32 v38, v38, v27 :: v_dual_cndmask_b32 v39, v39, v26
	v_cmp_eq_u32_e32 vcc_lo, 13, v37
	v_dual_cndmask_b32 v38, v38, v29 :: v_dual_cndmask_b32 v39, v39, v28
	v_cmp_eq_u32_e32 vcc_lo, 14, v37
	s_delay_alu instid0(VALU_DEP_2) | instskip(SKIP_1) | instid1(VALU_DEP_1)
	v_dual_cndmask_b32 v38, v38, v31 :: v_dual_cndmask_b32 v37, v39, v30
	s_waitcnt lgkmcnt(0)
	v_fma_f64 v[32:33], v[37:38], v[34:35], v[32:33]
	v_cmpx_ne_u32_e32 4, v0
	s_cbranch_execz .LBB78_303
; %bb.296:
	v_add_nc_u32_e32 v37, 5, v0
	s_delay_alu instid0(VALU_DEP_1) | instskip(SKIP_2) | instid1(VALU_DEP_2)
	v_cmp_eq_u32_e32 vcc_lo, 1, v37
	v_dual_cndmask_b32 v34, v3, v5 :: v_dual_cndmask_b32 v35, v2, v4
	v_cmp_eq_u32_e32 vcc_lo, 2, v37
	v_dual_cndmask_b32 v34, v34, v7 :: v_dual_cndmask_b32 v35, v35, v6
	v_cmp_eq_u32_e32 vcc_lo, 3, v37
	s_delay_alu instid0(VALU_DEP_2) | instskip(SKIP_1) | instid1(VALU_DEP_2)
	v_dual_cndmask_b32 v34, v34, v9 :: v_dual_cndmask_b32 v35, v35, v8
	v_cmp_eq_u32_e32 vcc_lo, 4, v37
	v_dual_cndmask_b32 v34, v34, v11 :: v_dual_cndmask_b32 v35, v35, v10
	v_cmp_eq_u32_e32 vcc_lo, 5, v37
	s_delay_alu instid0(VALU_DEP_2) | instskip(SKIP_1) | instid1(VALU_DEP_2)
	;; [unrolled: 5-line block ×4, first 2 shown]
	v_dual_cndmask_b32 v34, v34, v21 :: v_dual_cndmask_b32 v35, v35, v20
	v_cmp_eq_u32_e32 vcc_lo, 10, v37
	v_dual_cndmask_b32 v34, v34, v23 :: v_dual_cndmask_b32 v35, v35, v22
	v_cmp_eq_u32_e32 vcc_lo, 11, v37
	s_delay_alu instid0(VALU_DEP_2) | instskip(SKIP_4) | instid1(VALU_DEP_2)
	v_dual_cndmask_b32 v38, v34, v25 :: v_dual_cndmask_b32 v39, v35, v24
	v_cmp_eq_u32_e32 vcc_lo, 12, v37
	ds_load_b64 v[34:35], v98 offset:40
	v_dual_cndmask_b32 v38, v38, v27 :: v_dual_cndmask_b32 v39, v39, v26
	v_cmp_eq_u32_e32 vcc_lo, 13, v37
	v_dual_cndmask_b32 v38, v38, v29 :: v_dual_cndmask_b32 v39, v39, v28
	v_cmp_eq_u32_e32 vcc_lo, 14, v37
	s_delay_alu instid0(VALU_DEP_2) | instskip(SKIP_1) | instid1(VALU_DEP_1)
	v_dual_cndmask_b32 v38, v38, v31 :: v_dual_cndmask_b32 v37, v39, v30
	s_waitcnt lgkmcnt(0)
	v_fma_f64 v[32:33], v[37:38], v[34:35], v[32:33]
	s_and_saveexec_b32 s8, s1
	s_cbranch_execz .LBB78_302
; %bb.297:
	v_add_nc_u32_e32 v37, 6, v0
	s_mov_b32 s1, exec_lo
	s_delay_alu instid0(VALU_DEP_1) | instskip(SKIP_2) | instid1(VALU_DEP_2)
	v_cmp_eq_u32_e32 vcc_lo, 1, v37
	v_dual_cndmask_b32 v34, v3, v5 :: v_dual_cndmask_b32 v35, v2, v4
	v_cmp_eq_u32_e32 vcc_lo, 2, v37
	v_dual_cndmask_b32 v34, v34, v7 :: v_dual_cndmask_b32 v35, v35, v6
	v_cmp_eq_u32_e32 vcc_lo, 3, v37
	s_delay_alu instid0(VALU_DEP_2) | instskip(SKIP_1) | instid1(VALU_DEP_2)
	v_dual_cndmask_b32 v34, v34, v9 :: v_dual_cndmask_b32 v35, v35, v8
	v_cmp_eq_u32_e32 vcc_lo, 4, v37
	v_dual_cndmask_b32 v34, v34, v11 :: v_dual_cndmask_b32 v35, v35, v10
	v_cmp_eq_u32_e32 vcc_lo, 5, v37
	s_delay_alu instid0(VALU_DEP_2) | instskip(SKIP_1) | instid1(VALU_DEP_2)
	;; [unrolled: 5-line block ×4, first 2 shown]
	v_dual_cndmask_b32 v34, v34, v21 :: v_dual_cndmask_b32 v35, v35, v20
	v_cmp_eq_u32_e32 vcc_lo, 10, v37
	v_dual_cndmask_b32 v34, v34, v23 :: v_dual_cndmask_b32 v35, v35, v22
	v_cmp_eq_u32_e32 vcc_lo, 11, v37
	s_delay_alu instid0(VALU_DEP_2) | instskip(SKIP_4) | instid1(VALU_DEP_2)
	v_dual_cndmask_b32 v38, v34, v25 :: v_dual_cndmask_b32 v39, v35, v24
	v_cmp_eq_u32_e32 vcc_lo, 12, v37
	ds_load_b64 v[34:35], v98 offset:48
	v_dual_cndmask_b32 v38, v38, v27 :: v_dual_cndmask_b32 v39, v39, v26
	v_cmp_eq_u32_e32 vcc_lo, 13, v37
	v_dual_cndmask_b32 v38, v38, v29 :: v_dual_cndmask_b32 v39, v39, v28
	v_cmp_eq_u32_e32 vcc_lo, 14, v37
	s_delay_alu instid0(VALU_DEP_2) | instskip(SKIP_1) | instid1(VALU_DEP_1)
	v_dual_cndmask_b32 v38, v38, v31 :: v_dual_cndmask_b32 v37, v39, v30
	s_waitcnt lgkmcnt(0)
	v_fma_f64 v[32:33], v[37:38], v[34:35], v[32:33]
	v_cmpx_ne_u32_e32 2, v0
	s_cbranch_execz .LBB78_301
; %bb.298:
	v_add_nc_u32_e32 v34, 7, v0
	s_delay_alu instid0(VALU_DEP_1) | instskip(SKIP_3) | instid1(VALU_DEP_3)
	v_cmp_eq_u32_e32 vcc_lo, 1, v34
	v_cndmask_b32_e32 v35, v3, v5, vcc_lo
	v_cndmask_b32_e32 v37, v2, v4, vcc_lo
	v_cmp_eq_u32_e32 vcc_lo, 2, v34
	v_cndmask_b32_e32 v35, v35, v7, vcc_lo
	s_delay_alu instid0(VALU_DEP_3) | instskip(SKIP_1) | instid1(VALU_DEP_3)
	v_cndmask_b32_e32 v37, v37, v6, vcc_lo
	v_cmp_eq_u32_e32 vcc_lo, 3, v34
	v_cndmask_b32_e32 v35, v35, v9, vcc_lo
	s_delay_alu instid0(VALU_DEP_3) | instskip(SKIP_1) | instid1(VALU_DEP_3)
	;; [unrolled: 4-line block ×6, first 2 shown]
	v_cndmask_b32_e32 v37, v37, v16, vcc_lo
	v_cmp_eq_u32_e32 vcc_lo, 8, v34
	v_cndmask_b32_e32 v35, v35, v19, vcc_lo
	s_delay_alu instid0(VALU_DEP_3) | instskip(SKIP_1) | instid1(VALU_DEP_2)
	v_cndmask_b32_e32 v37, v37, v18, vcc_lo
	v_cmp_eq_u32_e32 vcc_lo, 9, v34
	v_dual_cndmask_b32 v21, v35, v21 :: v_dual_cndmask_b32 v20, v37, v20
	v_cmp_eq_u32_e32 vcc_lo, 10, v34
	s_delay_alu instid0(VALU_DEP_2) | instskip(SKIP_1) | instid1(VALU_DEP_2)
	v_dual_cndmask_b32 v21, v21, v23 :: v_dual_cndmask_b32 v20, v20, v22
	v_cmp_eq_u32_e32 vcc_lo, 11, v34
	v_cndmask_b32_e32 v35, v21, v25, vcc_lo
	s_delay_alu instid0(VALU_DEP_3)
	v_cndmask_b32_e32 v37, v20, v24, vcc_lo
	v_cmp_eq_u32_e32 vcc_lo, 12, v34
	ds_load_b64 v[20:21], v98 offset:56
	v_cndmask_b32_e32 v35, v35, v27, vcc_lo
	v_cndmask_b32_e32 v37, v37, v26, vcc_lo
	v_cmp_eq_u32_e32 vcc_lo, 13, v34
	s_delay_alu instid0(VALU_DEP_3) | instskip(NEXT) | instid1(VALU_DEP_3)
	v_cndmask_b32_e32 v35, v35, v29, vcc_lo
	v_cndmask_b32_e32 v37, v37, v28, vcc_lo
	v_cmp_eq_u32_e32 vcc_lo, 14, v34
	s_delay_alu instid0(VALU_DEP_2) | instskip(SKIP_1) | instid1(VALU_DEP_1)
	v_dual_cndmask_b32 v34, v37, v30 :: v_dual_cndmask_b32 v35, v35, v31
	s_waitcnt lgkmcnt(0)
	v_fma_f64 v[32:33], v[34:35], v[20:21], v[32:33]
	s_and_saveexec_b32 s9, s0
	s_cbranch_execz .LBB78_300
; %bb.299:
	ds_load_b64 v[20:21], v98 offset:64
	s_waitcnt lgkmcnt(0)
	v_fma_f64 v[32:33], v[18:19], v[20:21], v[32:33]
.LBB78_300:
	s_or_b32 exec_lo, exec_lo, s9
.LBB78_301:
	s_delay_alu instid0(SALU_CYCLE_1)
	s_or_b32 exec_lo, exec_lo, s1
.LBB78_302:
	s_delay_alu instid0(SALU_CYCLE_1)
	s_or_b32 exec_lo, exec_lo, s8
.LBB78_303:
	s_delay_alu instid0(SALU_CYCLE_1)
	s_or_b32 exec_lo, exec_lo, s2
.LBB78_304:
	s_delay_alu instid0(SALU_CYCLE_1)
	s_or_b32 exec_lo, exec_lo, s7
.LBB78_305:
	s_delay_alu instid0(SALU_CYCLE_1)
	s_or_b32 exec_lo, exec_lo, s3
.LBB78_306:
	s_delay_alu instid0(SALU_CYCLE_1)
	s_or_b32 exec_lo, exec_lo, s6
.LBB78_307:
	s_delay_alu instid0(SALU_CYCLE_1)
	s_or_b32 exec_lo, exec_lo, s5
	v_mov_b32_e32 v20, 0
	ds_load_b64 v[20:21], v20 offset:72
	s_waitcnt lgkmcnt(0)
	v_mul_f64 v[20:21], v[32:33], v[20:21]
.LBB78_308:
	s_or_b32 exec_lo, exec_lo, s4
	s_delay_alu instid0(SALU_CYCLE_1)
	s_mov_b32 s1, exec_lo
	ds_store_b64 v98, v[22:23]
	s_waitcnt lgkmcnt(0)
	s_barrier
	buffer_gl0_inv
	v_cmpx_gt_u32_e32 10, v0
	s_cbranch_execz .LBB78_318
; %bb.309:
	v_cmp_ne_u32_e32 vcc_lo, 1, v36
	s_cbranch_vccnz .LBB78_311
; %bb.310:
	v_cmp_eq_u32_e32 vcc_lo, 1, v0
	v_dual_cndmask_b32 v32, v3, v5 :: v_dual_cndmask_b32 v33, v2, v4
	v_cmp_eq_u32_e32 vcc_lo, 2, v0
	s_delay_alu instid0(VALU_DEP_2) | instskip(SKIP_1) | instid1(VALU_DEP_2)
	v_dual_cndmask_b32 v32, v32, v7 :: v_dual_cndmask_b32 v33, v33, v6
	v_cmp_eq_u32_e32 vcc_lo, 3, v0
	v_dual_cndmask_b32 v32, v32, v9 :: v_dual_cndmask_b32 v33, v33, v8
	v_cmp_eq_u32_e32 vcc_lo, 4, v0
	s_delay_alu instid0(VALU_DEP_2) | instskip(SKIP_1) | instid1(VALU_DEP_2)
	v_dual_cndmask_b32 v32, v32, v11 :: v_dual_cndmask_b32 v33, v33, v10
	;; [unrolled: 5-line block ×5, first 2 shown]
	v_cmp_eq_u32_e32 vcc_lo, 11, v0
	v_dual_cndmask_b32 v34, v32, v25 :: v_dual_cndmask_b32 v35, v33, v24
	v_cmp_eq_u32_e32 vcc_lo, 12, v0
	ds_load_b64 v[32:33], v98
	v_dual_cndmask_b32 v34, v34, v27 :: v_dual_cndmask_b32 v35, v35, v26
	v_cmp_eq_u32_e32 vcc_lo, 13, v0
	s_delay_alu instid0(VALU_DEP_2) | instskip(SKIP_1) | instid1(VALU_DEP_2)
	v_dual_cndmask_b32 v34, v34, v29 :: v_dual_cndmask_b32 v37, v35, v28
	v_cmp_eq_u32_e32 vcc_lo, 14, v0
	v_dual_cndmask_b32 v35, v34, v31 :: v_dual_cndmask_b32 v34, v37, v30
	s_waitcnt lgkmcnt(0)
	s_delay_alu instid0(VALU_DEP_1)
	v_mul_f64 v[32:33], v[34:35], v[32:33]
	s_cbranch_execz .LBB78_312
	s_branch .LBB78_313
.LBB78_311:
                                        ; implicit-def: $vgpr32_vgpr33
.LBB78_312:
	ds_load_b64 v[32:33], v98
.LBB78_313:
	s_mov_b32 s2, exec_lo
	v_cmpx_ne_u32_e32 9, v0
	s_cbranch_execz .LBB78_317
; %bb.314:
	v_lshl_add_u32 v37, v0, 3, 0x88
	v_dual_mov_b32 v35, v1 :: v_dual_mov_b32 v34, v0
	s_mov_b32 s3, 0
.LBB78_315:                             ; =>This Inner Loop Header: Depth=1
	s_delay_alu instid0(VALU_DEP_1) | instskip(NEXT) | instid1(VALU_DEP_2)
	v_add_co_u32 v34, vcc_lo, v34, 1
	v_add_co_ci_u32_e32 v35, vcc_lo, 0, v35, vcc_lo
	s_delay_alu instid0(VALU_DEP_2) | instskip(SKIP_3) | instid1(VALU_DEP_2)
	v_cmp_eq_u32_e32 vcc_lo, 1, v34
	v_cmp_eq_u32_e64 s0, 2, v34
	v_dual_cndmask_b32 v38, v3, v5 :: v_dual_cndmask_b32 v39, v2, v4
	v_cmp_eq_u32_e32 vcc_lo, 3, v34
	v_cndmask_b32_e64 v38, v38, v7, s0
	s_delay_alu instid0(VALU_DEP_3) | instskip(SKIP_1) | instid1(VALU_DEP_2)
	v_cndmask_b32_e64 v39, v39, v6, s0
	v_cmp_eq_u32_e64 s0, 4, v34
	v_dual_cndmask_b32 v38, v38, v9 :: v_dual_cndmask_b32 v39, v39, v8
	v_cmp_eq_u32_e32 vcc_lo, 5, v34
	s_delay_alu instid0(VALU_DEP_2) | instskip(NEXT) | instid1(VALU_DEP_3)
	v_cndmask_b32_e64 v38, v38, v11, s0
	v_cndmask_b32_e64 v39, v39, v10, s0
	v_cmp_eq_u32_e64 s0, 6, v34
	s_delay_alu instid0(VALU_DEP_2) | instskip(SKIP_1) | instid1(VALU_DEP_2)
	v_dual_cndmask_b32 v38, v38, v13 :: v_dual_cndmask_b32 v39, v39, v12
	v_cmp_eq_u32_e32 vcc_lo, 7, v34
	v_cndmask_b32_e64 v38, v38, v15, s0
	s_delay_alu instid0(VALU_DEP_3) | instskip(SKIP_1) | instid1(VALU_DEP_2)
	v_cndmask_b32_e64 v39, v39, v14, s0
	v_cmp_eq_u32_e64 s0, 8, v34
	v_dual_cndmask_b32 v38, v38, v17 :: v_dual_cndmask_b32 v39, v39, v16
	v_cmp_eq_u32_e32 vcc_lo, 9, v34
	s_delay_alu instid0(VALU_DEP_2) | instskip(NEXT) | instid1(VALU_DEP_3)
	v_cndmask_b32_e64 v38, v38, v19, s0
	v_cndmask_b32_e64 v39, v39, v18, s0
	v_cmp_eq_u32_e64 s0, 10, v34
	s_delay_alu instid0(VALU_DEP_2) | instskip(SKIP_1) | instid1(VALU_DEP_2)
	v_dual_cndmask_b32 v38, v38, v21 :: v_dual_cndmask_b32 v39, v39, v20
	v_cmp_eq_u32_e32 vcc_lo, 11, v34
	v_cndmask_b32_e64 v40, v38, v23, s0
	s_delay_alu instid0(VALU_DEP_3)
	v_cndmask_b32_e64 v41, v39, v22, s0
	ds_load_b64 v[38:39], v37
	v_cmp_eq_u32_e64 s0, 12, v34
	v_add_nc_u32_e32 v37, 8, v37
	v_dual_cndmask_b32 v40, v40, v25 :: v_dual_cndmask_b32 v41, v41, v24
	v_cmp_eq_u32_e32 vcc_lo, 13, v34
	s_delay_alu instid0(VALU_DEP_2) | instskip(NEXT) | instid1(VALU_DEP_3)
	v_cndmask_b32_e64 v40, v40, v27, s0
	v_cndmask_b32_e64 v41, v41, v26, s0
	v_cmp_eq_u32_e64 s0, 14, v34
	s_delay_alu instid0(VALU_DEP_3) | instskip(NEXT) | instid1(VALU_DEP_3)
	v_cndmask_b32_e32 v40, v40, v29, vcc_lo
	v_cndmask_b32_e32 v42, v41, v28, vcc_lo
	v_cmp_lt_u32_e32 vcc_lo, 8, v34
	s_delay_alu instid0(VALU_DEP_3) | instskip(NEXT) | instid1(VALU_DEP_3)
	v_cndmask_b32_e64 v41, v40, v31, s0
	v_cndmask_b32_e64 v40, v42, v30, s0
	s_or_b32 s3, vcc_lo, s3
	s_waitcnt lgkmcnt(0)
	s_delay_alu instid0(VALU_DEP_1)
	v_fma_f64 v[32:33], v[40:41], v[38:39], v[32:33]
	s_and_not1_b32 exec_lo, exec_lo, s3
	s_cbranch_execnz .LBB78_315
; %bb.316:
	s_or_b32 exec_lo, exec_lo, s3
.LBB78_317:
	s_delay_alu instid0(SALU_CYCLE_1)
	s_or_b32 exec_lo, exec_lo, s2
	v_mov_b32_e32 v22, 0
	ds_load_b64 v[22:23], v22 offset:80
	s_waitcnt lgkmcnt(0)
	v_mul_f64 v[22:23], v[32:33], v[22:23]
.LBB78_318:
	s_or_b32 exec_lo, exec_lo, s1
	s_delay_alu instid0(SALU_CYCLE_1)
	s_mov_b32 s1, exec_lo
	ds_store_b64 v98, v[24:25]
	s_waitcnt lgkmcnt(0)
	s_barrier
	buffer_gl0_inv
	v_cmpx_gt_u32_e32 11, v0
	s_cbranch_execz .LBB78_328
; %bb.319:
	v_cmp_ne_u32_e32 vcc_lo, 1, v36
	s_cbranch_vccnz .LBB78_321
; %bb.320:
	v_cmp_eq_u32_e32 vcc_lo, 1, v0
	v_dual_cndmask_b32 v32, v3, v5 :: v_dual_cndmask_b32 v33, v2, v4
	v_cmp_eq_u32_e32 vcc_lo, 2, v0
	s_delay_alu instid0(VALU_DEP_2) | instskip(SKIP_1) | instid1(VALU_DEP_2)
	v_dual_cndmask_b32 v32, v32, v7 :: v_dual_cndmask_b32 v33, v33, v6
	v_cmp_eq_u32_e32 vcc_lo, 3, v0
	v_dual_cndmask_b32 v32, v32, v9 :: v_dual_cndmask_b32 v33, v33, v8
	v_cmp_eq_u32_e32 vcc_lo, 4, v0
	s_delay_alu instid0(VALU_DEP_2) | instskip(SKIP_1) | instid1(VALU_DEP_2)
	v_dual_cndmask_b32 v32, v32, v11 :: v_dual_cndmask_b32 v33, v33, v10
	;; [unrolled: 5-line block ×5, first 2 shown]
	v_cmp_eq_u32_e32 vcc_lo, 11, v0
	v_dual_cndmask_b32 v34, v32, v25 :: v_dual_cndmask_b32 v35, v33, v24
	v_cmp_eq_u32_e32 vcc_lo, 12, v0
	ds_load_b64 v[32:33], v98
	v_dual_cndmask_b32 v34, v34, v27 :: v_dual_cndmask_b32 v35, v35, v26
	v_cmp_eq_u32_e32 vcc_lo, 13, v0
	s_delay_alu instid0(VALU_DEP_2) | instskip(SKIP_1) | instid1(VALU_DEP_2)
	v_dual_cndmask_b32 v34, v34, v29 :: v_dual_cndmask_b32 v37, v35, v28
	v_cmp_eq_u32_e32 vcc_lo, 14, v0
	v_dual_cndmask_b32 v35, v34, v31 :: v_dual_cndmask_b32 v34, v37, v30
	s_waitcnt lgkmcnt(0)
	s_delay_alu instid0(VALU_DEP_1)
	v_mul_f64 v[32:33], v[34:35], v[32:33]
	s_cbranch_execz .LBB78_322
	s_branch .LBB78_323
.LBB78_321:
                                        ; implicit-def: $vgpr32_vgpr33
.LBB78_322:
	ds_load_b64 v[32:33], v98
.LBB78_323:
	s_mov_b32 s2, exec_lo
	v_cmpx_ne_u32_e32 10, v0
	s_cbranch_execz .LBB78_327
; %bb.324:
	v_lshl_add_u32 v37, v0, 3, 0x88
	v_dual_mov_b32 v35, v1 :: v_dual_mov_b32 v34, v0
	s_mov_b32 s3, 0
.LBB78_325:                             ; =>This Inner Loop Header: Depth=1
	s_delay_alu instid0(VALU_DEP_1) | instskip(NEXT) | instid1(VALU_DEP_2)
	v_add_co_u32 v34, vcc_lo, v34, 1
	v_add_co_ci_u32_e32 v35, vcc_lo, 0, v35, vcc_lo
	s_delay_alu instid0(VALU_DEP_2) | instskip(SKIP_3) | instid1(VALU_DEP_2)
	v_cmp_eq_u32_e32 vcc_lo, 1, v34
	v_cmp_eq_u32_e64 s0, 2, v34
	v_dual_cndmask_b32 v38, v3, v5 :: v_dual_cndmask_b32 v39, v2, v4
	v_cmp_eq_u32_e32 vcc_lo, 3, v34
	v_cndmask_b32_e64 v38, v38, v7, s0
	s_delay_alu instid0(VALU_DEP_3) | instskip(SKIP_1) | instid1(VALU_DEP_2)
	v_cndmask_b32_e64 v39, v39, v6, s0
	v_cmp_eq_u32_e64 s0, 4, v34
	v_dual_cndmask_b32 v38, v38, v9 :: v_dual_cndmask_b32 v39, v39, v8
	v_cmp_eq_u32_e32 vcc_lo, 5, v34
	s_delay_alu instid0(VALU_DEP_2) | instskip(NEXT) | instid1(VALU_DEP_3)
	v_cndmask_b32_e64 v38, v38, v11, s0
	v_cndmask_b32_e64 v39, v39, v10, s0
	v_cmp_eq_u32_e64 s0, 6, v34
	s_delay_alu instid0(VALU_DEP_2) | instskip(SKIP_1) | instid1(VALU_DEP_2)
	v_dual_cndmask_b32 v38, v38, v13 :: v_dual_cndmask_b32 v39, v39, v12
	v_cmp_eq_u32_e32 vcc_lo, 7, v34
	v_cndmask_b32_e64 v38, v38, v15, s0
	s_delay_alu instid0(VALU_DEP_3) | instskip(SKIP_1) | instid1(VALU_DEP_2)
	v_cndmask_b32_e64 v39, v39, v14, s0
	v_cmp_eq_u32_e64 s0, 8, v34
	v_dual_cndmask_b32 v38, v38, v17 :: v_dual_cndmask_b32 v39, v39, v16
	v_cmp_eq_u32_e32 vcc_lo, 9, v34
	s_delay_alu instid0(VALU_DEP_2) | instskip(NEXT) | instid1(VALU_DEP_3)
	v_cndmask_b32_e64 v38, v38, v19, s0
	v_cndmask_b32_e64 v39, v39, v18, s0
	v_cmp_eq_u32_e64 s0, 10, v34
	s_delay_alu instid0(VALU_DEP_2) | instskip(SKIP_1) | instid1(VALU_DEP_2)
	v_dual_cndmask_b32 v38, v38, v21 :: v_dual_cndmask_b32 v39, v39, v20
	v_cmp_eq_u32_e32 vcc_lo, 11, v34
	v_cndmask_b32_e64 v40, v38, v23, s0
	s_delay_alu instid0(VALU_DEP_3)
	v_cndmask_b32_e64 v41, v39, v22, s0
	ds_load_b64 v[38:39], v37
	v_cmp_eq_u32_e64 s0, 12, v34
	v_add_nc_u32_e32 v37, 8, v37
	v_dual_cndmask_b32 v40, v40, v25 :: v_dual_cndmask_b32 v41, v41, v24
	v_cmp_eq_u32_e32 vcc_lo, 13, v34
	s_delay_alu instid0(VALU_DEP_2) | instskip(NEXT) | instid1(VALU_DEP_3)
	v_cndmask_b32_e64 v40, v40, v27, s0
	v_cndmask_b32_e64 v41, v41, v26, s0
	v_cmp_eq_u32_e64 s0, 14, v34
	s_delay_alu instid0(VALU_DEP_3) | instskip(NEXT) | instid1(VALU_DEP_3)
	v_cndmask_b32_e32 v40, v40, v29, vcc_lo
	v_cndmask_b32_e32 v42, v41, v28, vcc_lo
	v_cmp_lt_u32_e32 vcc_lo, 9, v34
	s_delay_alu instid0(VALU_DEP_3) | instskip(NEXT) | instid1(VALU_DEP_3)
	v_cndmask_b32_e64 v41, v40, v31, s0
	v_cndmask_b32_e64 v40, v42, v30, s0
	s_or_b32 s3, vcc_lo, s3
	s_waitcnt lgkmcnt(0)
	s_delay_alu instid0(VALU_DEP_1)
	v_fma_f64 v[32:33], v[40:41], v[38:39], v[32:33]
	s_and_not1_b32 exec_lo, exec_lo, s3
	s_cbranch_execnz .LBB78_325
; %bb.326:
	s_or_b32 exec_lo, exec_lo, s3
.LBB78_327:
	s_delay_alu instid0(SALU_CYCLE_1)
	s_or_b32 exec_lo, exec_lo, s2
	v_mov_b32_e32 v24, 0
	ds_load_b64 v[24:25], v24 offset:88
	s_waitcnt lgkmcnt(0)
	v_mul_f64 v[24:25], v[32:33], v[24:25]
.LBB78_328:
	s_or_b32 exec_lo, exec_lo, s1
	s_delay_alu instid0(SALU_CYCLE_1)
	s_mov_b32 s1, exec_lo
	ds_store_b64 v98, v[26:27]
	s_waitcnt lgkmcnt(0)
	s_barrier
	buffer_gl0_inv
	v_cmpx_gt_u32_e32 12, v0
	s_cbranch_execz .LBB78_338
; %bb.329:
	v_cmp_ne_u32_e32 vcc_lo, 1, v36
	s_cbranch_vccnz .LBB78_331
; %bb.330:
	v_cmp_eq_u32_e32 vcc_lo, 1, v0
	v_dual_cndmask_b32 v32, v3, v5 :: v_dual_cndmask_b32 v33, v2, v4
	v_cmp_eq_u32_e32 vcc_lo, 2, v0
	s_delay_alu instid0(VALU_DEP_2) | instskip(SKIP_1) | instid1(VALU_DEP_2)
	v_dual_cndmask_b32 v32, v32, v7 :: v_dual_cndmask_b32 v33, v33, v6
	v_cmp_eq_u32_e32 vcc_lo, 3, v0
	v_dual_cndmask_b32 v32, v32, v9 :: v_dual_cndmask_b32 v33, v33, v8
	v_cmp_eq_u32_e32 vcc_lo, 4, v0
	s_delay_alu instid0(VALU_DEP_2) | instskip(SKIP_1) | instid1(VALU_DEP_2)
	v_dual_cndmask_b32 v32, v32, v11 :: v_dual_cndmask_b32 v33, v33, v10
	v_cmp_eq_u32_e32 vcc_lo, 5, v0
	v_dual_cndmask_b32 v32, v32, v13 :: v_dual_cndmask_b32 v33, v33, v12
	v_cmp_eq_u32_e32 vcc_lo, 6, v0
	s_delay_alu instid0(VALU_DEP_2) | instskip(SKIP_1) | instid1(VALU_DEP_2)
	v_dual_cndmask_b32 v32, v32, v15 :: v_dual_cndmask_b32 v33, v33, v14
	v_cmp_eq_u32_e32 vcc_lo, 7, v0
	v_dual_cndmask_b32 v32, v32, v17 :: v_dual_cndmask_b32 v33, v33, v16
	v_cmp_eq_u32_e32 vcc_lo, 8, v0
	s_delay_alu instid0(VALU_DEP_2) | instskip(SKIP_1) | instid1(VALU_DEP_2)
	v_dual_cndmask_b32 v32, v32, v19 :: v_dual_cndmask_b32 v33, v33, v18
	v_cmp_eq_u32_e32 vcc_lo, 9, v0
	v_dual_cndmask_b32 v32, v32, v21 :: v_dual_cndmask_b32 v33, v33, v20
	v_cmp_eq_u32_e32 vcc_lo, 10, v0
	s_delay_alu instid0(VALU_DEP_2) | instskip(SKIP_1) | instid1(VALU_DEP_2)
	v_dual_cndmask_b32 v32, v32, v23 :: v_dual_cndmask_b32 v33, v33, v22
	v_cmp_eq_u32_e32 vcc_lo, 11, v0
	v_dual_cndmask_b32 v34, v32, v25 :: v_dual_cndmask_b32 v35, v33, v24
	v_cmp_eq_u32_e32 vcc_lo, 12, v0
	ds_load_b64 v[32:33], v98
	v_dual_cndmask_b32 v34, v34, v27 :: v_dual_cndmask_b32 v35, v35, v26
	v_cmp_eq_u32_e32 vcc_lo, 13, v0
	s_delay_alu instid0(VALU_DEP_2) | instskip(SKIP_1) | instid1(VALU_DEP_2)
	v_dual_cndmask_b32 v34, v34, v29 :: v_dual_cndmask_b32 v37, v35, v28
	v_cmp_eq_u32_e32 vcc_lo, 14, v0
	v_dual_cndmask_b32 v35, v34, v31 :: v_dual_cndmask_b32 v34, v37, v30
	s_waitcnt lgkmcnt(0)
	s_delay_alu instid0(VALU_DEP_1)
	v_mul_f64 v[32:33], v[34:35], v[32:33]
	s_cbranch_execz .LBB78_332
	s_branch .LBB78_333
.LBB78_331:
                                        ; implicit-def: $vgpr32_vgpr33
.LBB78_332:
	ds_load_b64 v[32:33], v98
.LBB78_333:
	s_mov_b32 s2, exec_lo
	v_cmpx_ne_u32_e32 11, v0
	s_cbranch_execz .LBB78_337
; %bb.334:
	v_lshl_add_u32 v37, v0, 3, 0x88
	v_dual_mov_b32 v35, v1 :: v_dual_mov_b32 v34, v0
	s_mov_b32 s3, 0
.LBB78_335:                             ; =>This Inner Loop Header: Depth=1
	s_delay_alu instid0(VALU_DEP_1) | instskip(NEXT) | instid1(VALU_DEP_2)
	v_add_co_u32 v34, vcc_lo, v34, 1
	v_add_co_ci_u32_e32 v35, vcc_lo, 0, v35, vcc_lo
	s_delay_alu instid0(VALU_DEP_2) | instskip(SKIP_3) | instid1(VALU_DEP_2)
	v_cmp_eq_u32_e32 vcc_lo, 1, v34
	v_cmp_eq_u32_e64 s0, 2, v34
	v_dual_cndmask_b32 v38, v3, v5 :: v_dual_cndmask_b32 v39, v2, v4
	v_cmp_eq_u32_e32 vcc_lo, 3, v34
	v_cndmask_b32_e64 v38, v38, v7, s0
	s_delay_alu instid0(VALU_DEP_3) | instskip(SKIP_1) | instid1(VALU_DEP_2)
	v_cndmask_b32_e64 v39, v39, v6, s0
	v_cmp_eq_u32_e64 s0, 4, v34
	v_dual_cndmask_b32 v38, v38, v9 :: v_dual_cndmask_b32 v39, v39, v8
	v_cmp_eq_u32_e32 vcc_lo, 5, v34
	s_delay_alu instid0(VALU_DEP_2) | instskip(NEXT) | instid1(VALU_DEP_3)
	v_cndmask_b32_e64 v38, v38, v11, s0
	v_cndmask_b32_e64 v39, v39, v10, s0
	v_cmp_eq_u32_e64 s0, 6, v34
	s_delay_alu instid0(VALU_DEP_2) | instskip(SKIP_1) | instid1(VALU_DEP_2)
	v_dual_cndmask_b32 v38, v38, v13 :: v_dual_cndmask_b32 v39, v39, v12
	v_cmp_eq_u32_e32 vcc_lo, 7, v34
	v_cndmask_b32_e64 v38, v38, v15, s0
	s_delay_alu instid0(VALU_DEP_3) | instskip(SKIP_1) | instid1(VALU_DEP_2)
	v_cndmask_b32_e64 v39, v39, v14, s0
	v_cmp_eq_u32_e64 s0, 8, v34
	v_dual_cndmask_b32 v38, v38, v17 :: v_dual_cndmask_b32 v39, v39, v16
	v_cmp_eq_u32_e32 vcc_lo, 9, v34
	s_delay_alu instid0(VALU_DEP_2) | instskip(NEXT) | instid1(VALU_DEP_3)
	v_cndmask_b32_e64 v38, v38, v19, s0
	v_cndmask_b32_e64 v39, v39, v18, s0
	v_cmp_eq_u32_e64 s0, 10, v34
	s_delay_alu instid0(VALU_DEP_2) | instskip(SKIP_1) | instid1(VALU_DEP_2)
	v_dual_cndmask_b32 v38, v38, v21 :: v_dual_cndmask_b32 v39, v39, v20
	v_cmp_eq_u32_e32 vcc_lo, 11, v34
	v_cndmask_b32_e64 v40, v38, v23, s0
	s_delay_alu instid0(VALU_DEP_3)
	v_cndmask_b32_e64 v41, v39, v22, s0
	ds_load_b64 v[38:39], v37
	v_cmp_eq_u32_e64 s0, 12, v34
	v_add_nc_u32_e32 v37, 8, v37
	v_dual_cndmask_b32 v40, v40, v25 :: v_dual_cndmask_b32 v41, v41, v24
	v_cmp_eq_u32_e32 vcc_lo, 13, v34
	s_delay_alu instid0(VALU_DEP_2) | instskip(NEXT) | instid1(VALU_DEP_3)
	v_cndmask_b32_e64 v40, v40, v27, s0
	v_cndmask_b32_e64 v41, v41, v26, s0
	v_cmp_eq_u32_e64 s0, 14, v34
	s_delay_alu instid0(VALU_DEP_3) | instskip(NEXT) | instid1(VALU_DEP_3)
	v_cndmask_b32_e32 v40, v40, v29, vcc_lo
	v_cndmask_b32_e32 v42, v41, v28, vcc_lo
	v_cmp_lt_u32_e32 vcc_lo, 10, v34
	s_delay_alu instid0(VALU_DEP_3) | instskip(NEXT) | instid1(VALU_DEP_3)
	v_cndmask_b32_e64 v41, v40, v31, s0
	v_cndmask_b32_e64 v40, v42, v30, s0
	s_or_b32 s3, vcc_lo, s3
	s_waitcnt lgkmcnt(0)
	s_delay_alu instid0(VALU_DEP_1)
	v_fma_f64 v[32:33], v[40:41], v[38:39], v[32:33]
	s_and_not1_b32 exec_lo, exec_lo, s3
	s_cbranch_execnz .LBB78_335
; %bb.336:
	s_or_b32 exec_lo, exec_lo, s3
.LBB78_337:
	s_delay_alu instid0(SALU_CYCLE_1)
	s_or_b32 exec_lo, exec_lo, s2
	v_mov_b32_e32 v26, 0
	ds_load_b64 v[26:27], v26 offset:96
	s_waitcnt lgkmcnt(0)
	v_mul_f64 v[26:27], v[32:33], v[26:27]
.LBB78_338:
	s_or_b32 exec_lo, exec_lo, s1
	v_cmp_gt_u32_e64 s0, 13, v0
	ds_store_b64 v98, v[28:29]
	s_waitcnt lgkmcnt(0)
	s_barrier
	buffer_gl0_inv
	s_and_saveexec_b32 s2, s0
	s_cbranch_execz .LBB78_348
; %bb.339:
	v_cmp_ne_u32_e32 vcc_lo, 1, v36
	s_cbranch_vccnz .LBB78_341
; %bb.340:
	v_cmp_eq_u32_e32 vcc_lo, 1, v0
	v_dual_cndmask_b32 v32, v3, v5 :: v_dual_cndmask_b32 v33, v2, v4
	v_cmp_eq_u32_e32 vcc_lo, 2, v0
	s_delay_alu instid0(VALU_DEP_2) | instskip(SKIP_1) | instid1(VALU_DEP_2)
	v_dual_cndmask_b32 v32, v32, v7 :: v_dual_cndmask_b32 v33, v33, v6
	v_cmp_eq_u32_e32 vcc_lo, 3, v0
	v_dual_cndmask_b32 v32, v32, v9 :: v_dual_cndmask_b32 v33, v33, v8
	v_cmp_eq_u32_e32 vcc_lo, 4, v0
	s_delay_alu instid0(VALU_DEP_2) | instskip(SKIP_1) | instid1(VALU_DEP_2)
	v_dual_cndmask_b32 v32, v32, v11 :: v_dual_cndmask_b32 v33, v33, v10
	;; [unrolled: 5-line block ×5, first 2 shown]
	v_cmp_eq_u32_e32 vcc_lo, 11, v0
	v_dual_cndmask_b32 v34, v32, v25 :: v_dual_cndmask_b32 v35, v33, v24
	v_cmp_eq_u32_e32 vcc_lo, 12, v0
	ds_load_b64 v[32:33], v98
	v_dual_cndmask_b32 v34, v34, v27 :: v_dual_cndmask_b32 v35, v35, v26
	v_cmp_eq_u32_e32 vcc_lo, 13, v0
	s_delay_alu instid0(VALU_DEP_2) | instskip(SKIP_1) | instid1(VALU_DEP_2)
	v_dual_cndmask_b32 v34, v34, v29 :: v_dual_cndmask_b32 v37, v35, v28
	v_cmp_eq_u32_e32 vcc_lo, 14, v0
	v_dual_cndmask_b32 v35, v34, v31 :: v_dual_cndmask_b32 v34, v37, v30
	s_waitcnt lgkmcnt(0)
	s_delay_alu instid0(VALU_DEP_1)
	v_mul_f64 v[32:33], v[34:35], v[32:33]
	s_cbranch_execz .LBB78_342
	s_branch .LBB78_343
.LBB78_341:
                                        ; implicit-def: $vgpr32_vgpr33
.LBB78_342:
	ds_load_b64 v[32:33], v98
.LBB78_343:
	s_mov_b32 s3, exec_lo
	v_cmpx_ne_u32_e32 12, v0
	s_cbranch_execz .LBB78_347
; %bb.344:
	v_lshl_add_u32 v37, v0, 3, 0x88
	v_dual_mov_b32 v35, v1 :: v_dual_mov_b32 v34, v0
	s_mov_b32 s4, 0
.LBB78_345:                             ; =>This Inner Loop Header: Depth=1
	s_delay_alu instid0(VALU_DEP_1) | instskip(NEXT) | instid1(VALU_DEP_2)
	v_add_co_u32 v34, vcc_lo, v34, 1
	v_add_co_ci_u32_e32 v35, vcc_lo, 0, v35, vcc_lo
	s_delay_alu instid0(VALU_DEP_2) | instskip(SKIP_3) | instid1(VALU_DEP_2)
	v_cmp_eq_u32_e32 vcc_lo, 1, v34
	v_cmp_eq_u32_e64 s1, 2, v34
	v_dual_cndmask_b32 v38, v3, v5 :: v_dual_cndmask_b32 v39, v2, v4
	v_cmp_eq_u32_e32 vcc_lo, 3, v34
	v_cndmask_b32_e64 v38, v38, v7, s1
	s_delay_alu instid0(VALU_DEP_3) | instskip(SKIP_1) | instid1(VALU_DEP_2)
	v_cndmask_b32_e64 v39, v39, v6, s1
	v_cmp_eq_u32_e64 s1, 4, v34
	v_dual_cndmask_b32 v38, v38, v9 :: v_dual_cndmask_b32 v39, v39, v8
	v_cmp_eq_u32_e32 vcc_lo, 5, v34
	s_delay_alu instid0(VALU_DEP_2) | instskip(NEXT) | instid1(VALU_DEP_3)
	v_cndmask_b32_e64 v38, v38, v11, s1
	v_cndmask_b32_e64 v39, v39, v10, s1
	v_cmp_eq_u32_e64 s1, 6, v34
	s_delay_alu instid0(VALU_DEP_2) | instskip(SKIP_1) | instid1(VALU_DEP_2)
	v_dual_cndmask_b32 v38, v38, v13 :: v_dual_cndmask_b32 v39, v39, v12
	v_cmp_eq_u32_e32 vcc_lo, 7, v34
	v_cndmask_b32_e64 v38, v38, v15, s1
	s_delay_alu instid0(VALU_DEP_3) | instskip(SKIP_1) | instid1(VALU_DEP_2)
	v_cndmask_b32_e64 v39, v39, v14, s1
	v_cmp_eq_u32_e64 s1, 8, v34
	v_dual_cndmask_b32 v38, v38, v17 :: v_dual_cndmask_b32 v39, v39, v16
	v_cmp_eq_u32_e32 vcc_lo, 9, v34
	s_delay_alu instid0(VALU_DEP_2) | instskip(NEXT) | instid1(VALU_DEP_3)
	v_cndmask_b32_e64 v38, v38, v19, s1
	v_cndmask_b32_e64 v39, v39, v18, s1
	v_cmp_eq_u32_e64 s1, 10, v34
	s_delay_alu instid0(VALU_DEP_2) | instskip(SKIP_1) | instid1(VALU_DEP_2)
	v_dual_cndmask_b32 v38, v38, v21 :: v_dual_cndmask_b32 v39, v39, v20
	v_cmp_eq_u32_e32 vcc_lo, 11, v34
	v_cndmask_b32_e64 v40, v38, v23, s1
	s_delay_alu instid0(VALU_DEP_3)
	v_cndmask_b32_e64 v41, v39, v22, s1
	ds_load_b64 v[38:39], v37
	v_cmp_eq_u32_e64 s1, 12, v34
	v_add_nc_u32_e32 v37, 8, v37
	v_dual_cndmask_b32 v40, v40, v25 :: v_dual_cndmask_b32 v41, v41, v24
	v_cmp_eq_u32_e32 vcc_lo, 13, v34
	s_delay_alu instid0(VALU_DEP_2) | instskip(NEXT) | instid1(VALU_DEP_3)
	v_cndmask_b32_e64 v40, v40, v27, s1
	v_cndmask_b32_e64 v41, v41, v26, s1
	v_cmp_eq_u32_e64 s1, 14, v34
	s_delay_alu instid0(VALU_DEP_3) | instskip(NEXT) | instid1(VALU_DEP_3)
	v_cndmask_b32_e32 v40, v40, v29, vcc_lo
	v_cndmask_b32_e32 v42, v41, v28, vcc_lo
	v_cmp_lt_u32_e32 vcc_lo, 11, v34
	s_delay_alu instid0(VALU_DEP_3) | instskip(NEXT) | instid1(VALU_DEP_3)
	v_cndmask_b32_e64 v41, v40, v31, s1
	v_cndmask_b32_e64 v40, v42, v30, s1
	s_or_b32 s4, vcc_lo, s4
	s_waitcnt lgkmcnt(0)
	s_delay_alu instid0(VALU_DEP_1)
	v_fma_f64 v[32:33], v[40:41], v[38:39], v[32:33]
	s_and_not1_b32 exec_lo, exec_lo, s4
	s_cbranch_execnz .LBB78_345
; %bb.346:
	s_or_b32 exec_lo, exec_lo, s4
.LBB78_347:
	s_delay_alu instid0(SALU_CYCLE_1)
	s_or_b32 exec_lo, exec_lo, s3
	v_mov_b32_e32 v28, 0
	ds_load_b64 v[28:29], v28 offset:104
	s_waitcnt lgkmcnt(0)
	v_mul_f64 v[28:29], v[32:33], v[28:29]
.LBB78_348:
	s_or_b32 exec_lo, exec_lo, s2
	s_delay_alu instid0(SALU_CYCLE_1)
	s_mov_b32 s1, exec_lo
	ds_store_b64 v98, v[30:31]
	s_waitcnt lgkmcnt(0)
	s_barrier
	buffer_gl0_inv
	v_cmpx_ne_u32_e32 14, v0
	s_cbranch_execz .LBB78_358
; %bb.349:
	v_cmp_ne_u32_e32 vcc_lo, 1, v36
	s_cbranch_vccnz .LBB78_351
; %bb.350:
	v_cmp_eq_u32_e32 vcc_lo, 1, v0
	v_dual_cndmask_b32 v32, v3, v5 :: v_dual_cndmask_b32 v33, v2, v4
	v_cmp_eq_u32_e32 vcc_lo, 2, v0
	s_delay_alu instid0(VALU_DEP_2) | instskip(SKIP_1) | instid1(VALU_DEP_2)
	v_dual_cndmask_b32 v32, v32, v7 :: v_dual_cndmask_b32 v33, v33, v6
	v_cmp_eq_u32_e32 vcc_lo, 3, v0
	v_dual_cndmask_b32 v32, v32, v9 :: v_dual_cndmask_b32 v33, v33, v8
	v_cmp_eq_u32_e32 vcc_lo, 4, v0
	s_delay_alu instid0(VALU_DEP_2) | instskip(SKIP_1) | instid1(VALU_DEP_2)
	v_dual_cndmask_b32 v32, v32, v11 :: v_dual_cndmask_b32 v33, v33, v10
	;; [unrolled: 5-line block ×5, first 2 shown]
	v_cmp_eq_u32_e32 vcc_lo, 11, v0
	v_dual_cndmask_b32 v34, v32, v25 :: v_dual_cndmask_b32 v35, v33, v24
	v_cmp_eq_u32_e32 vcc_lo, 12, v0
	ds_load_b64 v[32:33], v98
	v_dual_cndmask_b32 v34, v34, v27 :: v_dual_cndmask_b32 v35, v35, v26
	v_cmp_eq_u32_e32 vcc_lo, 13, v0
	s_delay_alu instid0(VALU_DEP_2) | instskip(NEXT) | instid1(VALU_DEP_3)
	v_cndmask_b32_e32 v34, v34, v29, vcc_lo
	v_cndmask_b32_e32 v36, v35, v28, vcc_lo
	v_cmp_eq_u32_e32 vcc_lo, 14, v0
	s_delay_alu instid0(VALU_DEP_2) | instskip(SKIP_1) | instid1(VALU_DEP_1)
	v_dual_cndmask_b32 v35, v34, v31 :: v_dual_cndmask_b32 v34, v36, v30
	s_waitcnt lgkmcnt(0)
	v_mul_f64 v[32:33], v[34:35], v[32:33]
	s_cbranch_execz .LBB78_352
	s_branch .LBB78_353
.LBB78_351:
                                        ; implicit-def: $vgpr32_vgpr33
.LBB78_352:
	ds_load_b64 v[32:33], v98
.LBB78_353:
	s_and_saveexec_b32 s2, s0
	s_cbranch_execz .LBB78_357
; %bb.354:
	v_lshl_add_u32 v34, v0, 3, 0x88
	s_mov_b32 s3, 0
.LBB78_355:                             ; =>This Inner Loop Header: Depth=1
	v_add_co_u32 v0, vcc_lo, v0, 1
	v_add_co_ci_u32_e32 v1, vcc_lo, 0, v1, vcc_lo
	s_delay_alu instid0(VALU_DEP_2) | instskip(SKIP_3) | instid1(VALU_DEP_2)
	v_cmp_eq_u32_e32 vcc_lo, 1, v0
	v_cmp_eq_u32_e64 s0, 2, v0
	v_dual_cndmask_b32 v35, v3, v5 :: v_dual_cndmask_b32 v36, v2, v4
	v_cmp_eq_u32_e32 vcc_lo, 3, v0
	v_cndmask_b32_e64 v35, v35, v7, s0
	s_delay_alu instid0(VALU_DEP_3) | instskip(SKIP_1) | instid1(VALU_DEP_2)
	v_cndmask_b32_e64 v36, v36, v6, s0
	v_cmp_eq_u32_e64 s0, 4, v0
	v_dual_cndmask_b32 v35, v35, v9 :: v_dual_cndmask_b32 v36, v36, v8
	v_cmp_eq_u32_e32 vcc_lo, 5, v0
	s_delay_alu instid0(VALU_DEP_2) | instskip(NEXT) | instid1(VALU_DEP_3)
	v_cndmask_b32_e64 v35, v35, v11, s0
	v_cndmask_b32_e64 v36, v36, v10, s0
	v_cmp_eq_u32_e64 s0, 6, v0
	s_delay_alu instid0(VALU_DEP_2) | instskip(SKIP_1) | instid1(VALU_DEP_2)
	v_dual_cndmask_b32 v35, v35, v13 :: v_dual_cndmask_b32 v36, v36, v12
	v_cmp_eq_u32_e32 vcc_lo, 7, v0
	v_cndmask_b32_e64 v35, v35, v15, s0
	s_delay_alu instid0(VALU_DEP_3) | instskip(SKIP_1) | instid1(VALU_DEP_2)
	v_cndmask_b32_e64 v36, v36, v14, s0
	v_cmp_eq_u32_e64 s0, 8, v0
	v_dual_cndmask_b32 v35, v35, v17 :: v_dual_cndmask_b32 v36, v36, v16
	v_cmp_eq_u32_e32 vcc_lo, 9, v0
	s_delay_alu instid0(VALU_DEP_2) | instskip(NEXT) | instid1(VALU_DEP_3)
	v_cndmask_b32_e64 v35, v35, v19, s0
	v_cndmask_b32_e64 v36, v36, v18, s0
	v_cmp_eq_u32_e64 s0, 10, v0
	s_delay_alu instid0(VALU_DEP_2) | instskip(SKIP_1) | instid1(VALU_DEP_2)
	v_dual_cndmask_b32 v35, v35, v21 :: v_dual_cndmask_b32 v36, v36, v20
	v_cmp_eq_u32_e32 vcc_lo, 11, v0
	v_cndmask_b32_e64 v37, v35, v23, s0
	s_delay_alu instid0(VALU_DEP_3)
	v_cndmask_b32_e64 v38, v36, v22, s0
	ds_load_b64 v[35:36], v34
	v_cmp_eq_u32_e64 s0, 12, v0
	v_dual_cndmask_b32 v37, v37, v25 :: v_dual_add_nc_u32 v34, 8, v34
	v_cndmask_b32_e32 v38, v38, v24, vcc_lo
	v_cmp_eq_u32_e32 vcc_lo, 13, v0
	s_delay_alu instid0(VALU_DEP_3) | instskip(NEXT) | instid1(VALU_DEP_3)
	v_cndmask_b32_e64 v37, v37, v27, s0
	v_cndmask_b32_e64 v38, v38, v26, s0
	v_cmp_eq_u32_e64 s0, 14, v0
	s_delay_alu instid0(VALU_DEP_3) | instskip(NEXT) | instid1(VALU_DEP_3)
	v_cndmask_b32_e32 v37, v37, v29, vcc_lo
	v_cndmask_b32_e32 v39, v38, v28, vcc_lo
	v_cmp_lt_u32_e32 vcc_lo, 12, v0
	s_delay_alu instid0(VALU_DEP_3) | instskip(NEXT) | instid1(VALU_DEP_3)
	v_cndmask_b32_e64 v38, v37, v31, s0
	v_cndmask_b32_e64 v37, v39, v30, s0
	s_or_b32 s3, vcc_lo, s3
	s_waitcnt lgkmcnt(0)
	s_delay_alu instid0(VALU_DEP_1)
	v_fma_f64 v[32:33], v[37:38], v[35:36], v[32:33]
	s_and_not1_b32 exec_lo, exec_lo, s3
	s_cbranch_execnz .LBB78_355
; %bb.356:
	s_or_b32 exec_lo, exec_lo, s3
.LBB78_357:
	s_delay_alu instid0(SALU_CYCLE_1)
	s_or_b32 exec_lo, exec_lo, s2
	v_mov_b32_e32 v0, 0
	ds_load_b64 v[0:1], v0 offset:112
	s_waitcnt lgkmcnt(0)
	v_mul_f64 v[30:31], v[32:33], v[0:1]
.LBB78_358:
	s_or_b32 exec_lo, exec_lo, s1
	v_dual_mov_b32 v65, v33 :: v_dual_mov_b32 v64, v32
	s_delay_alu instid0(VALU_DEP_2)
	v_dual_mov_b32 v63, v31 :: v_dual_mov_b32 v62, v30
	v_dual_mov_b32 v61, v29 :: v_dual_mov_b32 v60, v28
	;; [unrolled: 1-line block ×15, first 2 shown]
.LBB78_359:
	s_clause 0xe
	global_store_b64 v[72:73], v[34:35], off
	global_store_b64 v[74:75], v[36:37], off
	;; [unrolled: 1-line block ×15, first 2 shown]
.LBB78_360:
	s_nop 0
	s_sendmsg sendmsg(MSG_DEALLOC_VGPRS)
	s_endpgm
	.section	.rodata,"a",@progbits
	.p2align	6, 0x0
	.amdhsa_kernel _ZN9rocsolver6v33100L18trti2_kernel_smallILi15EdPKPdEEv13rocblas_fill_17rocblas_diagonal_T1_iil
		.amdhsa_group_segment_fixed_size 248
		.amdhsa_private_segment_fixed_size 0
		.amdhsa_kernarg_size 32
		.amdhsa_user_sgpr_count 15
		.amdhsa_user_sgpr_dispatch_ptr 0
		.amdhsa_user_sgpr_queue_ptr 0
		.amdhsa_user_sgpr_kernarg_segment_ptr 1
		.amdhsa_user_sgpr_dispatch_id 0
		.amdhsa_user_sgpr_private_segment_size 0
		.amdhsa_wavefront_size32 1
		.amdhsa_uses_dynamic_stack 0
		.amdhsa_enable_private_segment 0
		.amdhsa_system_sgpr_workgroup_id_x 1
		.amdhsa_system_sgpr_workgroup_id_y 0
		.amdhsa_system_sgpr_workgroup_id_z 0
		.amdhsa_system_sgpr_workgroup_info 0
		.amdhsa_system_vgpr_workitem_id 0
		.amdhsa_next_free_vgpr 112
		.amdhsa_next_free_sgpr 20
		.amdhsa_reserve_vcc 1
		.amdhsa_float_round_mode_32 0
		.amdhsa_float_round_mode_16_64 0
		.amdhsa_float_denorm_mode_32 3
		.amdhsa_float_denorm_mode_16_64 3
		.amdhsa_dx10_clamp 1
		.amdhsa_ieee_mode 1
		.amdhsa_fp16_overflow 0
		.amdhsa_workgroup_processor_mode 1
		.amdhsa_memory_ordered 1
		.amdhsa_forward_progress 0
		.amdhsa_shared_vgpr_count 0
		.amdhsa_exception_fp_ieee_invalid_op 0
		.amdhsa_exception_fp_denorm_src 0
		.amdhsa_exception_fp_ieee_div_zero 0
		.amdhsa_exception_fp_ieee_overflow 0
		.amdhsa_exception_fp_ieee_underflow 0
		.amdhsa_exception_fp_ieee_inexact 0
		.amdhsa_exception_int_div_zero 0
	.end_amdhsa_kernel
	.section	.text._ZN9rocsolver6v33100L18trti2_kernel_smallILi15EdPKPdEEv13rocblas_fill_17rocblas_diagonal_T1_iil,"axG",@progbits,_ZN9rocsolver6v33100L18trti2_kernel_smallILi15EdPKPdEEv13rocblas_fill_17rocblas_diagonal_T1_iil,comdat
.Lfunc_end78:
	.size	_ZN9rocsolver6v33100L18trti2_kernel_smallILi15EdPKPdEEv13rocblas_fill_17rocblas_diagonal_T1_iil, .Lfunc_end78-_ZN9rocsolver6v33100L18trti2_kernel_smallILi15EdPKPdEEv13rocblas_fill_17rocblas_diagonal_T1_iil
                                        ; -- End function
	.section	.AMDGPU.csdata,"",@progbits
; Kernel info:
; codeLenInByte = 26608
; NumSgprs: 22
; NumVgprs: 112
; ScratchSize: 0
; MemoryBound: 0
; FloatMode: 240
; IeeeMode: 1
; LDSByteSize: 248 bytes/workgroup (compile time only)
; SGPRBlocks: 2
; VGPRBlocks: 13
; NumSGPRsForWavesPerEU: 22
; NumVGPRsForWavesPerEU: 112
; Occupancy: 12
; WaveLimiterHint : 1
; COMPUTE_PGM_RSRC2:SCRATCH_EN: 0
; COMPUTE_PGM_RSRC2:USER_SGPR: 15
; COMPUTE_PGM_RSRC2:TRAP_HANDLER: 0
; COMPUTE_PGM_RSRC2:TGID_X_EN: 1
; COMPUTE_PGM_RSRC2:TGID_Y_EN: 0
; COMPUTE_PGM_RSRC2:TGID_Z_EN: 0
; COMPUTE_PGM_RSRC2:TIDIG_COMP_CNT: 0
	.section	.text._ZN9rocsolver6v33100L18trti2_kernel_smallILi16EdPKPdEEv13rocblas_fill_17rocblas_diagonal_T1_iil,"axG",@progbits,_ZN9rocsolver6v33100L18trti2_kernel_smallILi16EdPKPdEEv13rocblas_fill_17rocblas_diagonal_T1_iil,comdat
	.globl	_ZN9rocsolver6v33100L18trti2_kernel_smallILi16EdPKPdEEv13rocblas_fill_17rocblas_diagonal_T1_iil ; -- Begin function _ZN9rocsolver6v33100L18trti2_kernel_smallILi16EdPKPdEEv13rocblas_fill_17rocblas_diagonal_T1_iil
	.p2align	8
	.type	_ZN9rocsolver6v33100L18trti2_kernel_smallILi16EdPKPdEEv13rocblas_fill_17rocblas_diagonal_T1_iil,@function
_ZN9rocsolver6v33100L18trti2_kernel_smallILi16EdPKPdEEv13rocblas_fill_17rocblas_diagonal_T1_iil: ; @_ZN9rocsolver6v33100L18trti2_kernel_smallILi16EdPKPdEEv13rocblas_fill_17rocblas_diagonal_T1_iil
; %bb.0:
	s_mov_b32 s2, exec_lo
	v_cmpx_gt_u32_e32 16, v0
	s_cbranch_execz .LBB79_386
; %bb.1:
	s_clause 0x1
	s_load_b64 s[2:3], s[0:1], 0x10
	s_load_b128 s[16:19], s[0:1], 0x0
	s_mov_b32 s4, s15
	s_ashr_i32 s5, s15, 31
	v_lshlrev_b32_e32 v36, 3, v0
	s_lshl_b64 s[0:1], s[4:5], 3
	v_mov_b32_e32 v34, 0
	v_mov_b32_e32 v35, 0xbff00000
	s_waitcnt lgkmcnt(0)
	s_ashr_i32 s5, s2, 31
	s_add_u32 s0, s18, s0
	s_addc_u32 s1, s19, s1
	v_add3_u32 v1, s3, s3, v0
	s_load_b64 s[0:1], s[0:1], 0x0
	s_mov_b32 s4, s2
	s_mov_b32 s6, s3
	s_lshl_b64 s[4:5], s[4:5], 3
	v_add_nc_u32_e32 v3, s3, v1
	v_ashrrev_i32_e32 v2, 31, v1
	s_delay_alu instid0(VALU_DEP_2) | instskip(SKIP_1) | instid1(VALU_DEP_3)
	v_add_nc_u32_e32 v5, s3, v3
	v_ashrrev_i32_e32 v4, 31, v3
	v_lshlrev_b64 v[1:2], 3, v[1:2]
	s_delay_alu instid0(VALU_DEP_3) | instskip(NEXT) | instid1(VALU_DEP_3)
	v_add_nc_u32_e32 v7, s3, v5
	v_lshlrev_b64 v[3:4], 3, v[3:4]
	v_ashrrev_i32_e32 v6, 31, v5
	s_delay_alu instid0(VALU_DEP_3)
	v_add_nc_u32_e32 v9, s3, v7
	s_waitcnt lgkmcnt(0)
	s_add_u32 s0, s0, s4
	s_addc_u32 s1, s1, s5
	v_add_co_u32 v70, vcc_lo, s0, v1
	v_ashrrev_i32_e32 v8, 31, v7
	v_add_co_u32 v72, s2, s0, v36
	s_ashr_i32 s7, s3, 31
	v_add_co_ci_u32_e32 v71, vcc_lo, s1, v2, vcc_lo
	v_lshlrev_b64 v[5:6], 3, v[5:6]
	v_add_nc_u32_e32 v14, s3, v9
	v_add_co_ci_u32_e64 v73, null, s1, 0, s2
	v_add_co_u32 v68, vcc_lo, s0, v3
	s_lshl_b64 s[4:5], s[6:7], 3
	v_ashrrev_i32_e32 v10, 31, v9
	v_add_co_ci_u32_e32 v69, vcc_lo, s1, v4, vcc_lo
	v_lshlrev_b64 v[12:13], 3, v[7:8]
	v_add_co_u32 v74, vcc_lo, v72, s4
	v_add_co_ci_u32_e32 v75, vcc_lo, s5, v73, vcc_lo
	v_add_nc_u32_e32 v16, s3, v14
	v_add_co_u32 v66, vcc_lo, s0, v5
	v_ashrrev_i32_e32 v15, 31, v14
	v_lshlrev_b64 v[1:2], 3, v[9:10]
	v_add_co_ci_u32_e32 v67, vcc_lo, s1, v6, vcc_lo
	v_add_co_u32 v78, vcc_lo, s0, v12
	v_ashrrev_i32_e32 v17, 31, v16
	v_add_co_ci_u32_e32 v79, vcc_lo, s1, v13, vcc_lo
	v_lshlrev_b64 v[12:13], 3, v[14:15]
	v_add_nc_u32_e32 v14, s3, v16
	v_add_co_u32 v76, vcc_lo, s0, v1
	v_add_co_ci_u32_e32 v77, vcc_lo, s1, v2, vcc_lo
	v_lshlrev_b64 v[1:2], 3, v[16:17]
	s_delay_alu instid0(VALU_DEP_4)
	v_add_nc_u32_e32 v20, s3, v14
	v_add_co_u32 v80, vcc_lo, s0, v12
	v_ashrrev_i32_e32 v15, 31, v14
	v_add_co_ci_u32_e32 v81, vcc_lo, s1, v13, vcc_lo
	v_add_co_u32 v82, vcc_lo, s0, v1
	v_add_nc_u32_e32 v22, s3, v20
	v_add_co_ci_u32_e32 v83, vcc_lo, s1, v2, vcc_lo
	v_lshlrev_b64 v[1:2], 3, v[14:15]
	v_ashrrev_i32_e32 v21, 31, v20
	s_delay_alu instid0(VALU_DEP_4)
	v_ashrrev_i32_e32 v23, 31, v22
	v_add_nc_u32_e32 v24, s3, v22
	s_clause 0x7
	global_load_b64 v[4:5], v[74:75], off
	global_load_b64 v[6:7], v[70:71], off
	;; [unrolled: 1-line block ×8, first 2 shown]
	v_lshlrev_b64 v[20:21], 3, v[20:21]
	v_add_co_u32 v84, vcc_lo, s0, v1
	v_add_co_ci_u32_e32 v85, vcc_lo, s1, v2, vcc_lo
	v_lshlrev_b64 v[1:2], 3, v[22:23]
	v_ashrrev_i32_e32 v25, 31, v24
	v_add_nc_u32_e32 v22, s3, v24
	v_add_co_u32 v86, vcc_lo, s0, v20
	v_add_co_ci_u32_e32 v87, vcc_lo, s1, v21, vcc_lo
	s_delay_alu instid0(VALU_DEP_4) | instskip(NEXT) | instid1(VALU_DEP_4)
	v_lshlrev_b64 v[20:21], 3, v[24:25]
	v_ashrrev_i32_e32 v23, 31, v22
	v_add_nc_u32_e32 v24, s3, v22
	v_add_co_u32 v88, vcc_lo, s0, v1
	v_add_co_ci_u32_e32 v89, vcc_lo, s1, v2, vcc_lo
	s_delay_alu instid0(VALU_DEP_4) | instskip(NEXT) | instid1(VALU_DEP_4)
	v_lshlrev_b64 v[1:2], 3, v[22:23]
	v_add_nc_u32_e32 v22, s3, v24
	v_ashrrev_i32_e32 v25, 31, v24
	v_add_co_u32 v96, vcc_lo, s0, v20
	v_add_co_ci_u32_e32 v97, vcc_lo, s1, v21, vcc_lo
	s_delay_alu instid0(VALU_DEP_4) | instskip(NEXT) | instid1(VALU_DEP_4)
	v_ashrrev_i32_e32 v23, 31, v22
	v_lshlrev_b64 v[20:21], 3, v[24:25]
	v_add_co_u32 v92, vcc_lo, s0, v1
	v_add_co_ci_u32_e32 v93, vcc_lo, s1, v2, vcc_lo
	s_delay_alu instid0(VALU_DEP_4) | instskip(NEXT) | instid1(VALU_DEP_4)
	v_lshlrev_b64 v[1:2], 3, v[22:23]
	v_add_co_u32 v94, vcc_lo, s0, v20
	v_add_co_ci_u32_e32 v95, vcc_lo, s1, v21, vcc_lo
	s_cmpk_lg_i32 s17, 0x84
	s_delay_alu instid0(VALU_DEP_3) | instskip(NEXT) | instid1(VALU_DEP_4)
	v_add_co_u32 v90, vcc_lo, s0, v1
	v_add_co_ci_u32_e32 v91, vcc_lo, s1, v2, vcc_lo
	v_mov_b32_e32 v1, 0
	s_clause 0x7
	global_load_b64 v[20:21], v[84:85], off
	global_load_b64 v[22:23], v[86:87], off
	;; [unrolled: 1-line block ×6, first 2 shown]
	global_load_b64 v[2:3], v36, s[0:1]
	global_load_b64 v[32:33], v[90:91], off
	v_cmp_eq_u32_e64 s0, 0, v0
	s_cselect_b32 s18, -1, 0
	s_cmpk_eq_i32 s17, 0x84
	s_cbranch_scc1 .LBB79_3
; %bb.2:
	v_cmp_eq_u32_e64 s1, 1, v0
	v_cmp_eq_u32_e64 s2, 2, v0
	;; [unrolled: 1-line block ×5, first 2 shown]
	s_waitcnt vmcnt(1)
	v_cndmask_b32_e64 v34, v3, v5, s1
	v_cndmask_b32_e64 v35, v2, v4, s1
	v_cmp_eq_u32_e64 s6, 6, v0
	v_cmp_eq_u32_e64 s7, 7, v0
	v_cmp_eq_u32_e64 s8, 8, v0
	v_cndmask_b32_e64 v34, v34, v7, s2
	v_cndmask_b32_e64 v35, v35, v6, s2
	v_cmp_eq_u32_e64 s9, 9, v0
	v_cmp_eq_u32_e64 s10, 10, v0
	v_cmp_eq_u32_e64 s11, 11, v0
	;; [unrolled: 5-line block ×3, first 2 shown]
	v_cndmask_b32_e64 v34, v34, v11, s4
	v_cndmask_b32_e64 v35, v35, v10, s4
	v_cmp_eq_u32_e64 s15, 15, v0
	s_delay_alu instid0(VALU_DEP_3) | instskip(NEXT) | instid1(VALU_DEP_3)
	v_cndmask_b32_e64 v34, v34, v13, s5
	v_cndmask_b32_e64 v35, v35, v12, s5
	s_delay_alu instid0(VALU_DEP_2) | instskip(NEXT) | instid1(VALU_DEP_2)
	v_cndmask_b32_e64 v34, v34, v15, s6
	v_cndmask_b32_e64 v35, v35, v14, s6
	s_delay_alu instid0(VALU_DEP_2) | instskip(NEXT) | instid1(VALU_DEP_2)
	;; [unrolled: 3-line block ×9, first 2 shown]
	v_cndmask_b32_e64 v34, v34, v31, s14
	v_cndmask_b32_e64 v37, v35, v30, s14
	s_waitcnt vmcnt(0)
	s_delay_alu instid0(VALU_DEP_2) | instskip(NEXT) | instid1(VALU_DEP_2)
	v_cndmask_b32_e64 v35, v34, v33, s15
	v_cndmask_b32_e64 v34, v37, v32, s15
	s_delay_alu instid0(VALU_DEP_1) | instskip(SKIP_1) | instid1(VALU_DEP_2)
	v_div_scale_f64 v[37:38], null, v[34:35], v[34:35], 1.0
	v_div_scale_f64 v[43:44], vcc_lo, 1.0, v[34:35], 1.0
	v_rcp_f64_e32 v[39:40], v[37:38]
	s_waitcnt_depctr 0xfff
	v_fma_f64 v[41:42], -v[37:38], v[39:40], 1.0
	s_delay_alu instid0(VALU_DEP_1) | instskip(NEXT) | instid1(VALU_DEP_1)
	v_fma_f64 v[39:40], v[39:40], v[41:42], v[39:40]
	v_fma_f64 v[41:42], -v[37:38], v[39:40], 1.0
	s_delay_alu instid0(VALU_DEP_1) | instskip(NEXT) | instid1(VALU_DEP_1)
	v_fma_f64 v[39:40], v[39:40], v[41:42], v[39:40]
	v_mul_f64 v[41:42], v[43:44], v[39:40]
	s_delay_alu instid0(VALU_DEP_1) | instskip(NEXT) | instid1(VALU_DEP_1)
	v_fma_f64 v[37:38], -v[37:38], v[41:42], v[43:44]
	v_div_fmas_f64 v[37:38], v[37:38], v[39:40], v[41:42]
	s_delay_alu instid0(VALU_DEP_1) | instskip(NEXT) | instid1(VALU_DEP_1)
	v_div_fixup_f64 v[34:35], v[37:38], v[34:35], 1.0
	v_cndmask_b32_e64 v33, v33, v35, s15
	s_delay_alu instid0(VALU_DEP_2)
	v_cndmask_b32_e64 v32, v32, v34, s15
	v_cndmask_b32_e64 v31, v31, v35, s14
	;; [unrolled: 1-line block ×31, first 2 shown]
	v_xor_b32_e32 v35, 0x80000000, v35
.LBB79_3:
	v_add_nc_u32_e32 v100, 0x80, v36
	s_cmpk_eq_i32 s16, 0x79
	ds_store_b64 v36, v[34:35]
	s_cbranch_scc1 .LBB79_7
; %bb.4:
	s_waitcnt vmcnt(0)
	v_dual_mov_b32 v65, v33 :: v_dual_mov_b32 v64, v32
	v_dual_mov_b32 v63, v31 :: v_dual_mov_b32 v62, v30
	;; [unrolled: 1-line block ×16, first 2 shown]
	v_cmp_eq_u32_e64 s0, 15, v0
	ds_store_b64 v100, v[30:31]
	s_waitcnt lgkmcnt(0)
	s_barrier
	buffer_gl0_inv
	s_and_saveexec_b32 s1, s0
	s_cbranch_execz .LBB79_11
; %bb.5:
	s_and_b32 vcc_lo, exec_lo, s18
	s_cbranch_vccz .LBB79_8
; %bb.6:
	v_cmp_eq_u32_e32 vcc_lo, 1, v0
	v_dual_cndmask_b32 v34, v3, v5 :: v_dual_cndmask_b32 v35, v2, v4
	v_cmp_eq_u32_e32 vcc_lo, 2, v0
	s_delay_alu instid0(VALU_DEP_2) | instskip(SKIP_1) | instid1(VALU_DEP_2)
	v_dual_cndmask_b32 v34, v34, v7 :: v_dual_cndmask_b32 v35, v35, v6
	v_cmp_eq_u32_e32 vcc_lo, 3, v0
	v_dual_cndmask_b32 v34, v34, v9 :: v_dual_cndmask_b32 v35, v35, v8
	v_cmp_eq_u32_e32 vcc_lo, 4, v0
	s_delay_alu instid0(VALU_DEP_2) | instskip(SKIP_1) | instid1(VALU_DEP_2)
	v_dual_cndmask_b32 v34, v34, v11 :: v_dual_cndmask_b32 v35, v35, v10
	v_cmp_eq_u32_e32 vcc_lo, 5, v0
	v_dual_cndmask_b32 v34, v34, v13 :: v_dual_cndmask_b32 v35, v35, v12
	v_cmp_eq_u32_e32 vcc_lo, 6, v0
	s_delay_alu instid0(VALU_DEP_2) | instskip(SKIP_1) | instid1(VALU_DEP_2)
	v_dual_cndmask_b32 v34, v34, v15 :: v_dual_cndmask_b32 v35, v35, v14
	v_cmp_eq_u32_e32 vcc_lo, 7, v0
	v_dual_cndmask_b32 v34, v34, v17 :: v_dual_cndmask_b32 v35, v35, v16
	v_cmp_eq_u32_e32 vcc_lo, 8, v0
	s_delay_alu instid0(VALU_DEP_2) | instskip(SKIP_1) | instid1(VALU_DEP_2)
	v_dual_cndmask_b32 v34, v34, v19 :: v_dual_cndmask_b32 v35, v35, v18
	v_cmp_eq_u32_e32 vcc_lo, 9, v0
	v_dual_cndmask_b32 v34, v34, v21 :: v_dual_cndmask_b32 v35, v35, v20
	v_cmp_eq_u32_e32 vcc_lo, 10, v0
	s_delay_alu instid0(VALU_DEP_2) | instskip(SKIP_1) | instid1(VALU_DEP_2)
	v_dual_cndmask_b32 v34, v34, v23 :: v_dual_cndmask_b32 v35, v35, v22
	v_cmp_eq_u32_e32 vcc_lo, 11, v0
	v_dual_cndmask_b32 v34, v34, v25 :: v_dual_cndmask_b32 v35, v35, v24
	v_cmp_eq_u32_e32 vcc_lo, 12, v0
	s_delay_alu instid0(VALU_DEP_2) | instskip(SKIP_4) | instid1(VALU_DEP_2)
	v_dual_cndmask_b32 v36, v34, v27 :: v_dual_cndmask_b32 v37, v35, v26
	v_cmp_eq_u32_e32 vcc_lo, 13, v0
	ds_load_b64 v[34:35], v100
	v_dual_cndmask_b32 v36, v36, v29 :: v_dual_cndmask_b32 v37, v37, v28
	v_cmp_eq_u32_e32 vcc_lo, 14, v0
	v_cndmask_b32_e32 v36, v36, v31, vcc_lo
	s_delay_alu instid0(VALU_DEP_3) | instskip(SKIP_1) | instid1(VALU_DEP_2)
	v_cndmask_b32_e32 v38, v37, v30, vcc_lo
	v_cmp_eq_u32_e32 vcc_lo, 15, v0
	v_dual_cndmask_b32 v37, v36, v33 :: v_dual_cndmask_b32 v36, v38, v32
	s_waitcnt lgkmcnt(0)
	s_delay_alu instid0(VALU_DEP_1)
	v_mul_f64 v[34:35], v[36:37], v[34:35]
	s_cbranch_execz .LBB79_9
	s_branch .LBB79_10
.LBB79_7:
                                        ; implicit-def: $vgpr34_vgpr35_vgpr36_vgpr37_vgpr38_vgpr39_vgpr40_vgpr41_vgpr42_vgpr43_vgpr44_vgpr45_vgpr46_vgpr47_vgpr48_vgpr49_vgpr50_vgpr51_vgpr52_vgpr53_vgpr54_vgpr55_vgpr56_vgpr57_vgpr58_vgpr59_vgpr60_vgpr61_vgpr62_vgpr63_vgpr64_vgpr65
	s_cbranch_execnz .LBB79_228
	s_branch .LBB79_385
.LBB79_8:
                                        ; implicit-def: $vgpr34_vgpr35
.LBB79_9:
	ds_load_b64 v[34:35], v100
.LBB79_10:
	v_mov_b32_e32 v36, 0
	ds_load_b64 v[36:37], v36 offset:112
	s_waitcnt lgkmcnt(0)
	v_mul_f64 v[98:99], v[34:35], v[36:37]
	v_dual_mov_b32 v65, v33 :: v_dual_mov_b32 v64, v32
	v_dual_mov_b32 v63, v31 :: v_dual_mov_b32 v62, v30
	;; [unrolled: 1-line block ×17, first 2 shown]
.LBB79_11:
	s_or_b32 exec_lo, exec_lo, s1
	v_cmp_lt_u32_e64 s1, 13, v0
	ds_store_b64 v100, v[60:61]
	s_waitcnt lgkmcnt(0)
	s_barrier
	buffer_gl0_inv
	s_and_saveexec_b32 s2, s1
	s_cbranch_execz .LBB79_19
; %bb.12:
	s_and_not1_b32 vcc_lo, exec_lo, s18
	s_cbranch_vccnz .LBB79_14
; %bb.13:
	v_cmp_eq_u32_e32 vcc_lo, 1, v0
	v_dual_cndmask_b32 v98, v35, v37 :: v_dual_cndmask_b32 v99, v34, v36
	v_cmp_eq_u32_e32 vcc_lo, 2, v0
	s_delay_alu instid0(VALU_DEP_2) | instskip(SKIP_1) | instid1(VALU_DEP_2)
	v_dual_cndmask_b32 v98, v98, v39 :: v_dual_cndmask_b32 v99, v99, v38
	v_cmp_eq_u32_e32 vcc_lo, 3, v0
	v_dual_cndmask_b32 v98, v98, v41 :: v_dual_cndmask_b32 v99, v99, v40
	v_cmp_eq_u32_e32 vcc_lo, 4, v0
	s_delay_alu instid0(VALU_DEP_2) | instskip(SKIP_1) | instid1(VALU_DEP_2)
	v_dual_cndmask_b32 v98, v98, v43 :: v_dual_cndmask_b32 v99, v99, v42
	;; [unrolled: 5-line block ×5, first 2 shown]
	v_cmp_eq_u32_e32 vcc_lo, 11, v0
	v_dual_cndmask_b32 v98, v98, v57 :: v_dual_cndmask_b32 v99, v99, v56
	v_cmp_eq_u32_e32 vcc_lo, 12, v0
	s_delay_alu instid0(VALU_DEP_2) | instskip(SKIP_4) | instid1(VALU_DEP_2)
	v_dual_cndmask_b32 v101, v98, v59 :: v_dual_cndmask_b32 v102, v99, v58
	v_cmp_eq_u32_e32 vcc_lo, 13, v0
	ds_load_b64 v[98:99], v100
	v_dual_cndmask_b32 v61, v101, v61 :: v_dual_cndmask_b32 v60, v102, v60
	v_cmp_eq_u32_e32 vcc_lo, 14, v0
	v_dual_cndmask_b32 v61, v61, v63 :: v_dual_cndmask_b32 v60, v60, v62
	v_cmp_eq_u32_e32 vcc_lo, 15, v0
	s_delay_alu instid0(VALU_DEP_2) | instskip(SKIP_1) | instid1(VALU_DEP_1)
	v_dual_cndmask_b32 v61, v61, v65 :: v_dual_cndmask_b32 v60, v60, v64
	s_waitcnt lgkmcnt(0)
	v_mul_f64 v[60:61], v[60:61], v[98:99]
	s_cbranch_execz .LBB79_15
	s_branch .LBB79_16
.LBB79_14:
                                        ; implicit-def: $vgpr60_vgpr61
.LBB79_15:
	ds_load_b64 v[60:61], v100
.LBB79_16:
	s_and_saveexec_b32 s3, s0
	s_cbranch_execz .LBB79_18
; %bb.17:
	v_mov_b32_e32 v98, 0
	ds_load_b64 v[98:99], v98 offset:240
	s_waitcnt lgkmcnt(0)
	v_fma_f64 v[60:61], v[62:63], v[98:99], v[60:61]
.LBB79_18:
	s_or_b32 exec_lo, exec_lo, s3
	v_mov_b32_e32 v98, 0
	ds_load_b64 v[98:99], v98 offset:104
	s_waitcnt lgkmcnt(0)
	v_mul_f64 v[60:61], v[60:61], v[98:99]
.LBB79_19:
	s_or_b32 exec_lo, exec_lo, s2
	v_cmp_lt_u32_e64 s0, 12, v0
	ds_store_b64 v100, v[58:59]
	s_waitcnt lgkmcnt(0)
	s_barrier
	buffer_gl0_inv
	s_and_saveexec_b32 s4, s0
	s_cbranch_execz .LBB79_35
; %bb.20:
	s_and_not1_b32 vcc_lo, exec_lo, s18
	s_cbranch_vccnz .LBB79_22
; %bb.21:
	v_cmp_eq_u32_e32 vcc_lo, 1, v0
	v_dual_cndmask_b32 v98, v35, v37 :: v_dual_cndmask_b32 v99, v34, v36
	v_cmp_eq_u32_e32 vcc_lo, 2, v0
	s_delay_alu instid0(VALU_DEP_2) | instskip(SKIP_1) | instid1(VALU_DEP_2)
	v_dual_cndmask_b32 v98, v98, v39 :: v_dual_cndmask_b32 v99, v99, v38
	v_cmp_eq_u32_e32 vcc_lo, 3, v0
	v_dual_cndmask_b32 v98, v98, v41 :: v_dual_cndmask_b32 v99, v99, v40
	v_cmp_eq_u32_e32 vcc_lo, 4, v0
	s_delay_alu instid0(VALU_DEP_2) | instskip(SKIP_1) | instid1(VALU_DEP_2)
	v_dual_cndmask_b32 v98, v98, v43 :: v_dual_cndmask_b32 v99, v99, v42
	;; [unrolled: 5-line block ×5, first 2 shown]
	v_cmp_eq_u32_e32 vcc_lo, 11, v0
	v_dual_cndmask_b32 v98, v98, v57 :: v_dual_cndmask_b32 v99, v99, v56
	v_cmp_eq_u32_e32 vcc_lo, 12, v0
	s_delay_alu instid0(VALU_DEP_2) | instskip(SKIP_4) | instid1(VALU_DEP_2)
	v_dual_cndmask_b32 v101, v98, v59 :: v_dual_cndmask_b32 v102, v99, v58
	v_cmp_eq_u32_e32 vcc_lo, 13, v0
	ds_load_b64 v[98:99], v100
	v_dual_cndmask_b32 v101, v101, v61 :: v_dual_cndmask_b32 v102, v102, v60
	v_cmp_eq_u32_e32 vcc_lo, 14, v0
	v_cndmask_b32_e32 v101, v101, v63, vcc_lo
	s_delay_alu instid0(VALU_DEP_3) | instskip(SKIP_1) | instid1(VALU_DEP_2)
	v_cndmask_b32_e32 v103, v102, v62, vcc_lo
	v_cmp_eq_u32_e32 vcc_lo, 15, v0
	v_dual_cndmask_b32 v102, v101, v65 :: v_dual_cndmask_b32 v101, v103, v64
	s_waitcnt lgkmcnt(0)
	s_delay_alu instid0(VALU_DEP_1)
	v_mul_f64 v[98:99], v[101:102], v[98:99]
	s_cbranch_execz .LBB79_23
	s_branch .LBB79_24
.LBB79_22:
                                        ; implicit-def: $vgpr98_vgpr99
.LBB79_23:
	ds_load_b64 v[98:99], v100
.LBB79_24:
	s_and_saveexec_b32 s5, s1
	s_cbranch_execz .LBB79_34
; %bb.25:
	v_add_nc_u32_e32 v102, -14, v0
	v_add_nc_u32_e32 v101, -13, v0
	s_delay_alu instid0(VALU_DEP_2)
	v_cmp_lt_u32_e32 vcc_lo, 6, v102
	v_mov_b32_e32 v102, 13
	s_and_saveexec_b32 s1, vcc_lo
	s_cbranch_execz .LBB79_29
; %bb.26:
	v_and_b32_e32 v102, -8, v101
	s_mov_b32 s6, 0
	s_mov_b64 s[2:3], 20
	s_movk_i32 s7, 0xe8
	s_delay_alu instid0(VALU_DEP_1)
	v_sub_nc_u32_e32 v103, 0, v102
.LBB79_27:                              ; =>This Inner Loop Header: Depth=1
	v_mov_b32_e32 v102, s7
	s_lshl_b32 s8, s2, 1
	s_delay_alu instid0(SALU_CYCLE_1)
	s_add_i32 m0, s8, -13
	v_movrels_b32_e32 v113, v34
	ds_load_2addr_b64 v[104:107], v102 offset1:1
	ds_load_2addr_b64 v[108:111], v102 offset0:2 offset1:3
	s_add_i32 m0, s8, -14
	v_movrels_b32_e32 v112, v34
	s_add_i32 m0, s8, -11
	s_waitcnt lgkmcnt(1)
	s_delay_alu instid0(VALU_DEP_1) | instskip(SKIP_4) | instid1(VALU_DEP_1)
	v_fma_f64 v[98:99], v[112:113], v[104:105], v[98:99]
	v_movrels_b32_e32 v105, v34
	s_add_i32 m0, s8, -12
	v_movrels_b32_e32 v104, v34
	s_add_i32 m0, s8, -9
	v_fma_f64 v[98:99], v[104:105], v[106:107], v[98:99]
	v_movrels_b32_e32 v105, v34
	s_add_i32 m0, s8, -10
	v_movrels_b32_e32 v104, v34
	s_add_i32 m0, s8, -7
	s_waitcnt lgkmcnt(0)
	s_delay_alu instid0(VALU_DEP_1)
	v_fma_f64 v[98:99], v[104:105], v[108:109], v[98:99]
	v_movrels_b32_e32 v105, v34
	s_add_i32 m0, s8, -8
	v_movrels_b32_e32 v104, v34
	s_add_i32 m0, s8, -5
	;; [unrolled: 2-line block ×4, first 2 shown]
	v_fma_f64 v[98:99], v[104:105], v[110:111], v[98:99]
	ds_load_2addr_b64 v[104:107], v102 offset0:4 offset1:5
	ds_load_2addr_b64 v[108:111], v102 offset0:6 offset1:7
	s_waitcnt lgkmcnt(1)
	v_fma_f64 v[98:99], v[112:113], v[104:105], v[98:99]
	v_movrels_b32_e32 v105, v34
	s_add_i32 m0, s8, -4
	v_movrels_b32_e32 v104, v34
	s_add_i32 m0, s8, -1
	s_delay_alu instid0(VALU_DEP_1)
	v_fma_f64 v[98:99], v[104:105], v[106:107], v[98:99]
	v_movrels_b32_e32 v105, v34
	s_add_i32 m0, s8, -2
	s_add_u32 s2, s2, 8
	v_movrels_b32_e32 v104, v34
	s_mov_b32 m0, s8
	v_add_nc_u32_e32 v102, s2, v103
	s_addc_u32 s3, s3, 0
	s_add_i32 s8, s2, -7
	s_add_i32 s7, s7, 64
	s_delay_alu instid0(VALU_DEP_1)
	v_cmp_eq_u32_e32 vcc_lo, 20, v102
	v_mov_b32_e32 v102, s8
	s_or_b32 s6, vcc_lo, s6
	s_waitcnt lgkmcnt(0)
	v_fma_f64 v[98:99], v[104:105], v[108:109], v[98:99]
	v_movrels_b32_e32 v105, v35
	v_movrels_b32_e32 v104, v34
	s_delay_alu instid0(VALU_DEP_1)
	v_fma_f64 v[98:99], v[104:105], v[110:111], v[98:99]
	s_and_not1_b32 exec_lo, exec_lo, s6
	s_cbranch_execnz .LBB79_27
; %bb.28:
	s_or_b32 exec_lo, exec_lo, s6
.LBB79_29:
	s_delay_alu instid0(SALU_CYCLE_1) | instskip(SKIP_3) | instid1(VALU_DEP_1)
	s_or_b32 exec_lo, exec_lo, s1
	v_and_b32_e32 v101, 7, v101
	s_mov_b32 s3, 0
	s_mov_b32 s2, exec_lo
	v_cmpx_ne_u32_e32 0, v101
	s_cbranch_execz .LBB79_33
; %bb.30:
	v_lshl_add_u32 v103, v102, 3, 0x80
	v_mov_b32_e32 v104, 0
.LBB79_31:                              ; =>This Inner Loop Header: Depth=1
	v_cmp_eq_u32_e32 vcc_lo, 1, v102
	v_cmp_eq_u32_e64 s1, 2, v102
	v_add_nc_u32_e32 v101, -1, v101
	v_dual_cndmask_b32 v105, v35, v37 :: v_dual_cndmask_b32 v106, v34, v36
	v_cmp_eq_u32_e32 vcc_lo, 3, v102
	s_delay_alu instid0(VALU_DEP_2) | instskip(NEXT) | instid1(VALU_DEP_3)
	v_cndmask_b32_e64 v105, v105, v39, s1
	v_cndmask_b32_e64 v106, v106, v38, s1
	v_cmp_eq_u32_e64 s1, 4, v102
	s_delay_alu instid0(VALU_DEP_2) | instskip(SKIP_1) | instid1(VALU_DEP_2)
	v_dual_cndmask_b32 v105, v105, v41 :: v_dual_cndmask_b32 v106, v106, v40
	v_cmp_eq_u32_e32 vcc_lo, 5, v102
	v_cndmask_b32_e64 v105, v105, v43, s1
	s_delay_alu instid0(VALU_DEP_3) | instskip(SKIP_1) | instid1(VALU_DEP_2)
	v_cndmask_b32_e64 v106, v106, v42, s1
	v_cmp_eq_u32_e64 s1, 6, v102
	v_dual_cndmask_b32 v105, v105, v45 :: v_dual_cndmask_b32 v106, v106, v44
	v_cmp_eq_u32_e32 vcc_lo, 7, v102
	s_delay_alu instid0(VALU_DEP_2) | instskip(NEXT) | instid1(VALU_DEP_3)
	v_cndmask_b32_e64 v105, v105, v47, s1
	v_cndmask_b32_e64 v106, v106, v46, s1
	v_cmp_eq_u32_e64 s1, 8, v102
	s_delay_alu instid0(VALU_DEP_2) | instskip(SKIP_1) | instid1(VALU_DEP_2)
	v_dual_cndmask_b32 v105, v105, v49 :: v_dual_cndmask_b32 v106, v106, v48
	v_cmp_eq_u32_e32 vcc_lo, 9, v102
	v_cndmask_b32_e64 v105, v105, v51, s1
	s_delay_alu instid0(VALU_DEP_3) | instskip(SKIP_1) | instid1(VALU_DEP_2)
	v_cndmask_b32_e64 v106, v106, v50, s1
	v_cmp_eq_u32_e64 s1, 10, v102
	v_dual_cndmask_b32 v105, v105, v53 :: v_dual_cndmask_b32 v106, v106, v52
	v_cmp_eq_u32_e32 vcc_lo, 11, v102
	s_delay_alu instid0(VALU_DEP_2) | instskip(NEXT) | instid1(VALU_DEP_3)
	v_cndmask_b32_e64 v105, v105, v55, s1
	v_cndmask_b32_e64 v106, v106, v54, s1
	v_cmp_eq_u32_e64 s1, 12, v102
	s_delay_alu instid0(VALU_DEP_2)
	v_dual_cndmask_b32 v107, v105, v57 :: v_dual_cndmask_b32 v108, v106, v56
	ds_load_b64 v[105:106], v103
	v_cmp_eq_u32_e32 vcc_lo, 13, v102
	v_add_nc_u32_e32 v103, 8, v103
	v_cndmask_b32_e64 v107, v107, v59, s1
	v_cndmask_b32_e64 v108, v108, v58, s1
	v_cmp_eq_u32_e64 s1, 14, v102
	s_delay_alu instid0(VALU_DEP_2) | instskip(SKIP_1) | instid1(VALU_DEP_2)
	v_dual_cndmask_b32 v107, v107, v61 :: v_dual_cndmask_b32 v108, v108, v60
	v_cmp_eq_u32_e32 vcc_lo, 15, v102
	v_cndmask_b32_e64 v107, v107, v63, s1
	s_delay_alu instid0(VALU_DEP_3) | instskip(SKIP_1) | instid1(VALU_DEP_1)
	v_cndmask_b32_e64 v109, v108, v62, s1
	v_add_co_u32 v102, s1, v102, 1
	v_add_co_ci_u32_e64 v104, s1, 0, v104, s1
	s_delay_alu instid0(VALU_DEP_3) | instskip(SKIP_2) | instid1(VALU_DEP_2)
	v_dual_cndmask_b32 v108, v107, v65 :: v_dual_cndmask_b32 v107, v109, v64
	v_cmp_eq_u32_e32 vcc_lo, 0, v101
	s_waitcnt lgkmcnt(0)
	v_fma_f64 v[98:99], v[107:108], v[105:106], v[98:99]
	s_or_b32 s3, vcc_lo, s3
	s_delay_alu instid0(SALU_CYCLE_1)
	s_and_not1_b32 exec_lo, exec_lo, s3
	s_cbranch_execnz .LBB79_31
; %bb.32:
	s_or_b32 exec_lo, exec_lo, s3
.LBB79_33:
	s_delay_alu instid0(SALU_CYCLE_1)
	s_or_b32 exec_lo, exec_lo, s2
.LBB79_34:
	s_delay_alu instid0(SALU_CYCLE_1)
	s_or_b32 exec_lo, exec_lo, s5
	v_mov_b32_e32 v58, 0
	ds_load_b64 v[58:59], v58 offset:96
	s_waitcnt lgkmcnt(0)
	v_mul_f64 v[58:59], v[98:99], v[58:59]
.LBB79_35:
	s_or_b32 exec_lo, exec_lo, s4
	v_cmp_lt_u32_e64 s1, 11, v0
	ds_store_b64 v100, v[56:57]
	s_waitcnt lgkmcnt(0)
	s_barrier
	buffer_gl0_inv
	s_and_saveexec_b32 s4, s1
	s_cbranch_execz .LBB79_51
; %bb.36:
	s_and_not1_b32 vcc_lo, exec_lo, s18
	s_cbranch_vccnz .LBB79_38
; %bb.37:
	v_cmp_eq_u32_e32 vcc_lo, 1, v0
	v_dual_cndmask_b32 v98, v35, v37 :: v_dual_cndmask_b32 v99, v34, v36
	v_cmp_eq_u32_e32 vcc_lo, 2, v0
	s_delay_alu instid0(VALU_DEP_2) | instskip(SKIP_1) | instid1(VALU_DEP_2)
	v_dual_cndmask_b32 v98, v98, v39 :: v_dual_cndmask_b32 v99, v99, v38
	v_cmp_eq_u32_e32 vcc_lo, 3, v0
	v_dual_cndmask_b32 v98, v98, v41 :: v_dual_cndmask_b32 v99, v99, v40
	v_cmp_eq_u32_e32 vcc_lo, 4, v0
	s_delay_alu instid0(VALU_DEP_2) | instskip(SKIP_1) | instid1(VALU_DEP_2)
	v_dual_cndmask_b32 v98, v98, v43 :: v_dual_cndmask_b32 v99, v99, v42
	;; [unrolled: 5-line block ×5, first 2 shown]
	v_cmp_eq_u32_e32 vcc_lo, 11, v0
	v_dual_cndmask_b32 v98, v98, v57 :: v_dual_cndmask_b32 v99, v99, v56
	v_cmp_eq_u32_e32 vcc_lo, 12, v0
	s_delay_alu instid0(VALU_DEP_2) | instskip(SKIP_4) | instid1(VALU_DEP_2)
	v_dual_cndmask_b32 v101, v98, v59 :: v_dual_cndmask_b32 v102, v99, v58
	v_cmp_eq_u32_e32 vcc_lo, 13, v0
	ds_load_b64 v[98:99], v100
	v_dual_cndmask_b32 v101, v101, v61 :: v_dual_cndmask_b32 v102, v102, v60
	v_cmp_eq_u32_e32 vcc_lo, 14, v0
	v_cndmask_b32_e32 v101, v101, v63, vcc_lo
	s_delay_alu instid0(VALU_DEP_3) | instskip(SKIP_1) | instid1(VALU_DEP_2)
	v_cndmask_b32_e32 v103, v102, v62, vcc_lo
	v_cmp_eq_u32_e32 vcc_lo, 15, v0
	v_dual_cndmask_b32 v102, v101, v65 :: v_dual_cndmask_b32 v101, v103, v64
	s_waitcnt lgkmcnt(0)
	s_delay_alu instid0(VALU_DEP_1)
	v_mul_f64 v[98:99], v[101:102], v[98:99]
	s_cbranch_execz .LBB79_39
	s_branch .LBB79_40
.LBB79_38:
                                        ; implicit-def: $vgpr98_vgpr99
.LBB79_39:
	ds_load_b64 v[98:99], v100
.LBB79_40:
	s_and_saveexec_b32 s5, s0
	s_cbranch_execz .LBB79_50
; %bb.41:
	v_add_nc_u32_e32 v102, -13, v0
	v_add_nc_u32_e32 v101, -12, v0
	s_delay_alu instid0(VALU_DEP_2)
	v_cmp_lt_u32_e32 vcc_lo, 6, v102
	v_mov_b32_e32 v102, 12
	s_and_saveexec_b32 s0, vcc_lo
	s_cbranch_execz .LBB79_45
; %bb.42:
	v_and_b32_e32 v102, -8, v101
	s_mov_b32 s6, 0
	s_mov_b64 s[2:3], 19
	s_movk_i32 s7, 0xe0
	s_delay_alu instid0(VALU_DEP_1)
	v_sub_nc_u32_e32 v103, 0, v102
.LBB79_43:                              ; =>This Inner Loop Header: Depth=1
	v_mov_b32_e32 v102, s7
	s_lshl_b32 s8, s2, 1
	s_delay_alu instid0(SALU_CYCLE_1)
	s_add_i32 m0, s8, -13
	v_movrels_b32_e32 v113, v34
	ds_load_b128 v[104:107], v102
	ds_load_b128 v[108:111], v102 offset:16
	s_add_i32 m0, s8, -14
	v_movrels_b32_e32 v112, v34
	s_add_i32 m0, s8, -11
	s_waitcnt lgkmcnt(1)
	s_delay_alu instid0(VALU_DEP_1) | instskip(SKIP_4) | instid1(VALU_DEP_1)
	v_fma_f64 v[98:99], v[112:113], v[104:105], v[98:99]
	v_movrels_b32_e32 v105, v34
	s_add_i32 m0, s8, -12
	v_movrels_b32_e32 v104, v34
	s_add_i32 m0, s8, -9
	v_fma_f64 v[98:99], v[104:105], v[106:107], v[98:99]
	v_movrels_b32_e32 v105, v34
	s_add_i32 m0, s8, -10
	v_movrels_b32_e32 v104, v34
	s_add_i32 m0, s8, -7
	s_waitcnt lgkmcnt(0)
	s_delay_alu instid0(VALU_DEP_1)
	v_fma_f64 v[98:99], v[104:105], v[108:109], v[98:99]
	v_movrels_b32_e32 v105, v34
	s_add_i32 m0, s8, -8
	v_movrels_b32_e32 v104, v34
	s_add_i32 m0, s8, -5
	;; [unrolled: 2-line block ×4, first 2 shown]
	v_fma_f64 v[98:99], v[104:105], v[110:111], v[98:99]
	ds_load_b128 v[104:107], v102 offset:32
	ds_load_b128 v[108:111], v102 offset:48
	s_waitcnt lgkmcnt(1)
	v_fma_f64 v[98:99], v[112:113], v[104:105], v[98:99]
	v_movrels_b32_e32 v105, v34
	s_add_i32 m0, s8, -4
	v_movrels_b32_e32 v104, v34
	s_add_i32 m0, s8, -1
	s_delay_alu instid0(VALU_DEP_1)
	v_fma_f64 v[98:99], v[104:105], v[106:107], v[98:99]
	v_movrels_b32_e32 v105, v34
	s_add_i32 m0, s8, -2
	s_add_u32 s2, s2, 8
	v_movrels_b32_e32 v104, v34
	s_mov_b32 m0, s8
	v_add_nc_u32_e32 v102, s2, v103
	s_addc_u32 s3, s3, 0
	s_add_i32 s8, s2, -7
	s_add_i32 s7, s7, 64
	s_delay_alu instid0(VALU_DEP_1)
	v_cmp_eq_u32_e32 vcc_lo, 19, v102
	v_mov_b32_e32 v102, s8
	s_or_b32 s6, vcc_lo, s6
	s_waitcnt lgkmcnt(0)
	v_fma_f64 v[98:99], v[104:105], v[108:109], v[98:99]
	v_movrels_b32_e32 v105, v35
	v_movrels_b32_e32 v104, v34
	s_delay_alu instid0(VALU_DEP_1)
	v_fma_f64 v[98:99], v[104:105], v[110:111], v[98:99]
	s_and_not1_b32 exec_lo, exec_lo, s6
	s_cbranch_execnz .LBB79_43
; %bb.44:
	s_or_b32 exec_lo, exec_lo, s6
.LBB79_45:
	s_delay_alu instid0(SALU_CYCLE_1) | instskip(SKIP_3) | instid1(VALU_DEP_1)
	s_or_b32 exec_lo, exec_lo, s0
	v_and_b32_e32 v101, 7, v101
	s_mov_b32 s3, 0
	s_mov_b32 s2, exec_lo
	v_cmpx_ne_u32_e32 0, v101
	s_cbranch_execz .LBB79_49
; %bb.46:
	v_lshl_add_u32 v103, v102, 3, 0x80
	v_mov_b32_e32 v104, 0
.LBB79_47:                              ; =>This Inner Loop Header: Depth=1
	v_cmp_eq_u32_e32 vcc_lo, 1, v102
	v_cmp_eq_u32_e64 s0, 2, v102
	v_add_nc_u32_e32 v101, -1, v101
	v_dual_cndmask_b32 v105, v35, v37 :: v_dual_cndmask_b32 v106, v34, v36
	v_cmp_eq_u32_e32 vcc_lo, 3, v102
	s_delay_alu instid0(VALU_DEP_2) | instskip(NEXT) | instid1(VALU_DEP_3)
	v_cndmask_b32_e64 v105, v105, v39, s0
	v_cndmask_b32_e64 v106, v106, v38, s0
	v_cmp_eq_u32_e64 s0, 4, v102
	s_delay_alu instid0(VALU_DEP_2) | instskip(SKIP_1) | instid1(VALU_DEP_2)
	v_dual_cndmask_b32 v105, v105, v41 :: v_dual_cndmask_b32 v106, v106, v40
	v_cmp_eq_u32_e32 vcc_lo, 5, v102
	v_cndmask_b32_e64 v105, v105, v43, s0
	s_delay_alu instid0(VALU_DEP_3) | instskip(SKIP_1) | instid1(VALU_DEP_2)
	v_cndmask_b32_e64 v106, v106, v42, s0
	v_cmp_eq_u32_e64 s0, 6, v102
	v_dual_cndmask_b32 v105, v105, v45 :: v_dual_cndmask_b32 v106, v106, v44
	v_cmp_eq_u32_e32 vcc_lo, 7, v102
	s_delay_alu instid0(VALU_DEP_2) | instskip(NEXT) | instid1(VALU_DEP_3)
	v_cndmask_b32_e64 v105, v105, v47, s0
	v_cndmask_b32_e64 v106, v106, v46, s0
	v_cmp_eq_u32_e64 s0, 8, v102
	s_delay_alu instid0(VALU_DEP_2) | instskip(SKIP_1) | instid1(VALU_DEP_2)
	v_dual_cndmask_b32 v105, v105, v49 :: v_dual_cndmask_b32 v106, v106, v48
	v_cmp_eq_u32_e32 vcc_lo, 9, v102
	v_cndmask_b32_e64 v105, v105, v51, s0
	s_delay_alu instid0(VALU_DEP_3) | instskip(SKIP_1) | instid1(VALU_DEP_2)
	v_cndmask_b32_e64 v106, v106, v50, s0
	v_cmp_eq_u32_e64 s0, 10, v102
	v_dual_cndmask_b32 v105, v105, v53 :: v_dual_cndmask_b32 v106, v106, v52
	v_cmp_eq_u32_e32 vcc_lo, 11, v102
	s_delay_alu instid0(VALU_DEP_2) | instskip(NEXT) | instid1(VALU_DEP_3)
	v_cndmask_b32_e64 v105, v105, v55, s0
	v_cndmask_b32_e64 v106, v106, v54, s0
	v_cmp_eq_u32_e64 s0, 12, v102
	s_delay_alu instid0(VALU_DEP_2)
	v_dual_cndmask_b32 v107, v105, v57 :: v_dual_cndmask_b32 v108, v106, v56
	ds_load_b64 v[105:106], v103
	v_cmp_eq_u32_e32 vcc_lo, 13, v102
	v_add_nc_u32_e32 v103, 8, v103
	v_cndmask_b32_e64 v107, v107, v59, s0
	v_cndmask_b32_e64 v108, v108, v58, s0
	v_cmp_eq_u32_e64 s0, 14, v102
	s_delay_alu instid0(VALU_DEP_2) | instskip(SKIP_1) | instid1(VALU_DEP_2)
	v_dual_cndmask_b32 v107, v107, v61 :: v_dual_cndmask_b32 v108, v108, v60
	v_cmp_eq_u32_e32 vcc_lo, 15, v102
	v_cndmask_b32_e64 v107, v107, v63, s0
	s_delay_alu instid0(VALU_DEP_3) | instskip(SKIP_1) | instid1(VALU_DEP_1)
	v_cndmask_b32_e64 v109, v108, v62, s0
	v_add_co_u32 v102, s0, v102, 1
	v_add_co_ci_u32_e64 v104, s0, 0, v104, s0
	s_delay_alu instid0(VALU_DEP_3) | instskip(SKIP_2) | instid1(VALU_DEP_2)
	v_dual_cndmask_b32 v108, v107, v65 :: v_dual_cndmask_b32 v107, v109, v64
	v_cmp_eq_u32_e32 vcc_lo, 0, v101
	s_waitcnt lgkmcnt(0)
	v_fma_f64 v[98:99], v[107:108], v[105:106], v[98:99]
	s_or_b32 s3, vcc_lo, s3
	s_delay_alu instid0(SALU_CYCLE_1)
	s_and_not1_b32 exec_lo, exec_lo, s3
	s_cbranch_execnz .LBB79_47
; %bb.48:
	s_or_b32 exec_lo, exec_lo, s3
.LBB79_49:
	s_delay_alu instid0(SALU_CYCLE_1)
	s_or_b32 exec_lo, exec_lo, s2
.LBB79_50:
	s_delay_alu instid0(SALU_CYCLE_1)
	s_or_b32 exec_lo, exec_lo, s5
	v_mov_b32_e32 v56, 0
	ds_load_b64 v[56:57], v56 offset:88
	s_waitcnt lgkmcnt(0)
	v_mul_f64 v[56:57], v[98:99], v[56:57]
.LBB79_51:
	s_or_b32 exec_lo, exec_lo, s4
	v_cmp_lt_u32_e64 s0, 10, v0
	ds_store_b64 v100, v[54:55]
	s_waitcnt lgkmcnt(0)
	s_barrier
	buffer_gl0_inv
	s_and_saveexec_b32 s4, s0
	s_cbranch_execz .LBB79_67
; %bb.52:
	s_and_not1_b32 vcc_lo, exec_lo, s18
	s_cbranch_vccnz .LBB79_54
; %bb.53:
	v_cmp_eq_u32_e32 vcc_lo, 1, v0
	v_dual_cndmask_b32 v98, v35, v37 :: v_dual_cndmask_b32 v99, v34, v36
	v_cmp_eq_u32_e32 vcc_lo, 2, v0
	s_delay_alu instid0(VALU_DEP_2) | instskip(SKIP_1) | instid1(VALU_DEP_2)
	v_dual_cndmask_b32 v98, v98, v39 :: v_dual_cndmask_b32 v99, v99, v38
	v_cmp_eq_u32_e32 vcc_lo, 3, v0
	v_dual_cndmask_b32 v98, v98, v41 :: v_dual_cndmask_b32 v99, v99, v40
	v_cmp_eq_u32_e32 vcc_lo, 4, v0
	s_delay_alu instid0(VALU_DEP_2) | instskip(SKIP_1) | instid1(VALU_DEP_2)
	v_dual_cndmask_b32 v98, v98, v43 :: v_dual_cndmask_b32 v99, v99, v42
	;; [unrolled: 5-line block ×5, first 2 shown]
	v_cmp_eq_u32_e32 vcc_lo, 11, v0
	v_dual_cndmask_b32 v98, v98, v57 :: v_dual_cndmask_b32 v99, v99, v56
	v_cmp_eq_u32_e32 vcc_lo, 12, v0
	s_delay_alu instid0(VALU_DEP_2) | instskip(SKIP_4) | instid1(VALU_DEP_2)
	v_dual_cndmask_b32 v101, v98, v59 :: v_dual_cndmask_b32 v102, v99, v58
	v_cmp_eq_u32_e32 vcc_lo, 13, v0
	ds_load_b64 v[98:99], v100
	v_dual_cndmask_b32 v101, v101, v61 :: v_dual_cndmask_b32 v102, v102, v60
	v_cmp_eq_u32_e32 vcc_lo, 14, v0
	v_cndmask_b32_e32 v101, v101, v63, vcc_lo
	s_delay_alu instid0(VALU_DEP_3) | instskip(SKIP_1) | instid1(VALU_DEP_2)
	v_cndmask_b32_e32 v103, v102, v62, vcc_lo
	v_cmp_eq_u32_e32 vcc_lo, 15, v0
	v_dual_cndmask_b32 v102, v101, v65 :: v_dual_cndmask_b32 v101, v103, v64
	s_waitcnt lgkmcnt(0)
	s_delay_alu instid0(VALU_DEP_1)
	v_mul_f64 v[98:99], v[101:102], v[98:99]
	s_cbranch_execz .LBB79_55
	s_branch .LBB79_56
.LBB79_54:
                                        ; implicit-def: $vgpr98_vgpr99
.LBB79_55:
	ds_load_b64 v[98:99], v100
.LBB79_56:
	s_and_saveexec_b32 s5, s1
	s_cbranch_execz .LBB79_66
; %bb.57:
	v_add_nc_u32_e32 v102, -12, v0
	v_add_nc_u32_e32 v101, -11, v0
	s_delay_alu instid0(VALU_DEP_2)
	v_cmp_lt_u32_e32 vcc_lo, 6, v102
	v_mov_b32_e32 v102, 11
	s_and_saveexec_b32 s1, vcc_lo
	s_cbranch_execz .LBB79_61
; %bb.58:
	v_and_b32_e32 v102, -8, v101
	s_mov_b32 s6, 0
	s_mov_b64 s[2:3], 18
	s_movk_i32 s7, 0xd8
	s_delay_alu instid0(VALU_DEP_1)
	v_sub_nc_u32_e32 v103, 0, v102
.LBB79_59:                              ; =>This Inner Loop Header: Depth=1
	v_mov_b32_e32 v102, s7
	s_lshl_b32 s8, s2, 1
	s_delay_alu instid0(SALU_CYCLE_1)
	s_add_i32 m0, s8, -13
	v_movrels_b32_e32 v113, v34
	ds_load_2addr_b64 v[104:107], v102 offset1:1
	ds_load_2addr_b64 v[108:111], v102 offset0:2 offset1:3
	s_add_i32 m0, s8, -14
	v_movrels_b32_e32 v112, v34
	s_add_i32 m0, s8, -11
	s_waitcnt lgkmcnt(1)
	s_delay_alu instid0(VALU_DEP_1) | instskip(SKIP_4) | instid1(VALU_DEP_1)
	v_fma_f64 v[98:99], v[112:113], v[104:105], v[98:99]
	v_movrels_b32_e32 v105, v34
	s_add_i32 m0, s8, -12
	v_movrels_b32_e32 v104, v34
	s_add_i32 m0, s8, -9
	v_fma_f64 v[98:99], v[104:105], v[106:107], v[98:99]
	v_movrels_b32_e32 v105, v34
	s_add_i32 m0, s8, -10
	v_movrels_b32_e32 v104, v34
	s_add_i32 m0, s8, -7
	s_waitcnt lgkmcnt(0)
	s_delay_alu instid0(VALU_DEP_1)
	v_fma_f64 v[98:99], v[104:105], v[108:109], v[98:99]
	v_movrels_b32_e32 v105, v34
	s_add_i32 m0, s8, -8
	v_movrels_b32_e32 v104, v34
	s_add_i32 m0, s8, -5
	;; [unrolled: 2-line block ×4, first 2 shown]
	v_fma_f64 v[98:99], v[104:105], v[110:111], v[98:99]
	ds_load_2addr_b64 v[104:107], v102 offset0:4 offset1:5
	ds_load_2addr_b64 v[108:111], v102 offset0:6 offset1:7
	s_waitcnt lgkmcnt(1)
	v_fma_f64 v[98:99], v[112:113], v[104:105], v[98:99]
	v_movrels_b32_e32 v105, v34
	s_add_i32 m0, s8, -4
	v_movrels_b32_e32 v104, v34
	s_add_i32 m0, s8, -1
	s_delay_alu instid0(VALU_DEP_1)
	v_fma_f64 v[98:99], v[104:105], v[106:107], v[98:99]
	v_movrels_b32_e32 v105, v34
	s_add_i32 m0, s8, -2
	s_add_u32 s2, s2, 8
	v_movrels_b32_e32 v104, v34
	s_mov_b32 m0, s8
	v_add_nc_u32_e32 v102, s2, v103
	s_addc_u32 s3, s3, 0
	s_add_i32 s8, s2, -7
	s_add_i32 s7, s7, 64
	s_delay_alu instid0(VALU_DEP_1)
	v_cmp_eq_u32_e32 vcc_lo, 18, v102
	v_mov_b32_e32 v102, s8
	s_or_b32 s6, vcc_lo, s6
	s_waitcnt lgkmcnt(0)
	v_fma_f64 v[98:99], v[104:105], v[108:109], v[98:99]
	v_movrels_b32_e32 v105, v35
	v_movrels_b32_e32 v104, v34
	s_delay_alu instid0(VALU_DEP_1)
	v_fma_f64 v[98:99], v[104:105], v[110:111], v[98:99]
	s_and_not1_b32 exec_lo, exec_lo, s6
	s_cbranch_execnz .LBB79_59
; %bb.60:
	s_or_b32 exec_lo, exec_lo, s6
.LBB79_61:
	s_delay_alu instid0(SALU_CYCLE_1) | instskip(SKIP_3) | instid1(VALU_DEP_1)
	s_or_b32 exec_lo, exec_lo, s1
	v_and_b32_e32 v101, 7, v101
	s_mov_b32 s3, 0
	s_mov_b32 s2, exec_lo
	v_cmpx_ne_u32_e32 0, v101
	s_cbranch_execz .LBB79_65
; %bb.62:
	v_lshl_add_u32 v103, v102, 3, 0x80
	v_mov_b32_e32 v104, 0
.LBB79_63:                              ; =>This Inner Loop Header: Depth=1
	v_cmp_eq_u32_e32 vcc_lo, 1, v102
	v_cmp_eq_u32_e64 s1, 2, v102
	v_add_nc_u32_e32 v101, -1, v101
	v_dual_cndmask_b32 v105, v35, v37 :: v_dual_cndmask_b32 v106, v34, v36
	v_cmp_eq_u32_e32 vcc_lo, 3, v102
	s_delay_alu instid0(VALU_DEP_2) | instskip(NEXT) | instid1(VALU_DEP_3)
	v_cndmask_b32_e64 v105, v105, v39, s1
	v_cndmask_b32_e64 v106, v106, v38, s1
	v_cmp_eq_u32_e64 s1, 4, v102
	s_delay_alu instid0(VALU_DEP_2) | instskip(SKIP_1) | instid1(VALU_DEP_2)
	v_dual_cndmask_b32 v105, v105, v41 :: v_dual_cndmask_b32 v106, v106, v40
	v_cmp_eq_u32_e32 vcc_lo, 5, v102
	v_cndmask_b32_e64 v105, v105, v43, s1
	s_delay_alu instid0(VALU_DEP_3) | instskip(SKIP_1) | instid1(VALU_DEP_2)
	v_cndmask_b32_e64 v106, v106, v42, s1
	v_cmp_eq_u32_e64 s1, 6, v102
	v_dual_cndmask_b32 v105, v105, v45 :: v_dual_cndmask_b32 v106, v106, v44
	v_cmp_eq_u32_e32 vcc_lo, 7, v102
	s_delay_alu instid0(VALU_DEP_2) | instskip(NEXT) | instid1(VALU_DEP_3)
	v_cndmask_b32_e64 v105, v105, v47, s1
	v_cndmask_b32_e64 v106, v106, v46, s1
	v_cmp_eq_u32_e64 s1, 8, v102
	s_delay_alu instid0(VALU_DEP_2) | instskip(SKIP_1) | instid1(VALU_DEP_2)
	v_dual_cndmask_b32 v105, v105, v49 :: v_dual_cndmask_b32 v106, v106, v48
	v_cmp_eq_u32_e32 vcc_lo, 9, v102
	v_cndmask_b32_e64 v105, v105, v51, s1
	s_delay_alu instid0(VALU_DEP_3) | instskip(SKIP_1) | instid1(VALU_DEP_2)
	v_cndmask_b32_e64 v106, v106, v50, s1
	v_cmp_eq_u32_e64 s1, 10, v102
	v_dual_cndmask_b32 v105, v105, v53 :: v_dual_cndmask_b32 v106, v106, v52
	v_cmp_eq_u32_e32 vcc_lo, 11, v102
	s_delay_alu instid0(VALU_DEP_2) | instskip(NEXT) | instid1(VALU_DEP_3)
	v_cndmask_b32_e64 v105, v105, v55, s1
	v_cndmask_b32_e64 v106, v106, v54, s1
	v_cmp_eq_u32_e64 s1, 12, v102
	s_delay_alu instid0(VALU_DEP_2)
	v_dual_cndmask_b32 v107, v105, v57 :: v_dual_cndmask_b32 v108, v106, v56
	ds_load_b64 v[105:106], v103
	v_cmp_eq_u32_e32 vcc_lo, 13, v102
	v_add_nc_u32_e32 v103, 8, v103
	v_cndmask_b32_e64 v107, v107, v59, s1
	v_cndmask_b32_e64 v108, v108, v58, s1
	v_cmp_eq_u32_e64 s1, 14, v102
	s_delay_alu instid0(VALU_DEP_2) | instskip(SKIP_1) | instid1(VALU_DEP_2)
	v_dual_cndmask_b32 v107, v107, v61 :: v_dual_cndmask_b32 v108, v108, v60
	v_cmp_eq_u32_e32 vcc_lo, 15, v102
	v_cndmask_b32_e64 v107, v107, v63, s1
	s_delay_alu instid0(VALU_DEP_3) | instskip(SKIP_1) | instid1(VALU_DEP_1)
	v_cndmask_b32_e64 v109, v108, v62, s1
	v_add_co_u32 v102, s1, v102, 1
	v_add_co_ci_u32_e64 v104, s1, 0, v104, s1
	s_delay_alu instid0(VALU_DEP_3) | instskip(SKIP_2) | instid1(VALU_DEP_2)
	v_dual_cndmask_b32 v108, v107, v65 :: v_dual_cndmask_b32 v107, v109, v64
	v_cmp_eq_u32_e32 vcc_lo, 0, v101
	s_waitcnt lgkmcnt(0)
	v_fma_f64 v[98:99], v[107:108], v[105:106], v[98:99]
	s_or_b32 s3, vcc_lo, s3
	s_delay_alu instid0(SALU_CYCLE_1)
	s_and_not1_b32 exec_lo, exec_lo, s3
	s_cbranch_execnz .LBB79_63
; %bb.64:
	s_or_b32 exec_lo, exec_lo, s3
.LBB79_65:
	s_delay_alu instid0(SALU_CYCLE_1)
	s_or_b32 exec_lo, exec_lo, s2
.LBB79_66:
	s_delay_alu instid0(SALU_CYCLE_1)
	s_or_b32 exec_lo, exec_lo, s5
	v_mov_b32_e32 v54, 0
	ds_load_b64 v[54:55], v54 offset:80
	s_waitcnt lgkmcnt(0)
	v_mul_f64 v[54:55], v[98:99], v[54:55]
.LBB79_67:
	s_or_b32 exec_lo, exec_lo, s4
	v_cmp_lt_u32_e64 s1, 9, v0
	ds_store_b64 v100, v[52:53]
	s_waitcnt lgkmcnt(0)
	s_barrier
	buffer_gl0_inv
	s_and_saveexec_b32 s4, s1
	s_cbranch_execz .LBB79_83
; %bb.68:
	s_and_not1_b32 vcc_lo, exec_lo, s18
	s_cbranch_vccnz .LBB79_70
; %bb.69:
	v_cmp_eq_u32_e32 vcc_lo, 1, v0
	v_dual_cndmask_b32 v98, v35, v37 :: v_dual_cndmask_b32 v99, v34, v36
	v_cmp_eq_u32_e32 vcc_lo, 2, v0
	s_delay_alu instid0(VALU_DEP_2) | instskip(SKIP_1) | instid1(VALU_DEP_2)
	v_dual_cndmask_b32 v98, v98, v39 :: v_dual_cndmask_b32 v99, v99, v38
	v_cmp_eq_u32_e32 vcc_lo, 3, v0
	v_dual_cndmask_b32 v98, v98, v41 :: v_dual_cndmask_b32 v99, v99, v40
	v_cmp_eq_u32_e32 vcc_lo, 4, v0
	s_delay_alu instid0(VALU_DEP_2) | instskip(SKIP_1) | instid1(VALU_DEP_2)
	v_dual_cndmask_b32 v98, v98, v43 :: v_dual_cndmask_b32 v99, v99, v42
	v_cmp_eq_u32_e32 vcc_lo, 5, v0
	v_dual_cndmask_b32 v98, v98, v45 :: v_dual_cndmask_b32 v99, v99, v44
	v_cmp_eq_u32_e32 vcc_lo, 6, v0
	s_delay_alu instid0(VALU_DEP_2) | instskip(SKIP_1) | instid1(VALU_DEP_2)
	v_dual_cndmask_b32 v98, v98, v47 :: v_dual_cndmask_b32 v99, v99, v46
	v_cmp_eq_u32_e32 vcc_lo, 7, v0
	v_dual_cndmask_b32 v98, v98, v49 :: v_dual_cndmask_b32 v99, v99, v48
	v_cmp_eq_u32_e32 vcc_lo, 8, v0
	s_delay_alu instid0(VALU_DEP_2) | instskip(SKIP_1) | instid1(VALU_DEP_2)
	v_dual_cndmask_b32 v98, v98, v51 :: v_dual_cndmask_b32 v99, v99, v50
	v_cmp_eq_u32_e32 vcc_lo, 9, v0
	v_dual_cndmask_b32 v98, v98, v53 :: v_dual_cndmask_b32 v99, v99, v52
	v_cmp_eq_u32_e32 vcc_lo, 10, v0
	s_delay_alu instid0(VALU_DEP_2) | instskip(SKIP_1) | instid1(VALU_DEP_2)
	v_dual_cndmask_b32 v98, v98, v55 :: v_dual_cndmask_b32 v99, v99, v54
	v_cmp_eq_u32_e32 vcc_lo, 11, v0
	v_dual_cndmask_b32 v98, v98, v57 :: v_dual_cndmask_b32 v99, v99, v56
	v_cmp_eq_u32_e32 vcc_lo, 12, v0
	s_delay_alu instid0(VALU_DEP_2) | instskip(SKIP_4) | instid1(VALU_DEP_2)
	v_dual_cndmask_b32 v101, v98, v59 :: v_dual_cndmask_b32 v102, v99, v58
	v_cmp_eq_u32_e32 vcc_lo, 13, v0
	ds_load_b64 v[98:99], v100
	v_dual_cndmask_b32 v101, v101, v61 :: v_dual_cndmask_b32 v102, v102, v60
	v_cmp_eq_u32_e32 vcc_lo, 14, v0
	v_cndmask_b32_e32 v101, v101, v63, vcc_lo
	s_delay_alu instid0(VALU_DEP_3) | instskip(SKIP_1) | instid1(VALU_DEP_2)
	v_cndmask_b32_e32 v103, v102, v62, vcc_lo
	v_cmp_eq_u32_e32 vcc_lo, 15, v0
	v_dual_cndmask_b32 v102, v101, v65 :: v_dual_cndmask_b32 v101, v103, v64
	s_waitcnt lgkmcnt(0)
	s_delay_alu instid0(VALU_DEP_1)
	v_mul_f64 v[98:99], v[101:102], v[98:99]
	s_cbranch_execz .LBB79_71
	s_branch .LBB79_72
.LBB79_70:
                                        ; implicit-def: $vgpr98_vgpr99
.LBB79_71:
	ds_load_b64 v[98:99], v100
.LBB79_72:
	s_and_saveexec_b32 s5, s0
	s_cbranch_execz .LBB79_82
; %bb.73:
	v_add_nc_u32_e32 v102, -11, v0
	v_add_nc_u32_e32 v101, -10, v0
	s_delay_alu instid0(VALU_DEP_2)
	v_cmp_lt_u32_e32 vcc_lo, 6, v102
	v_mov_b32_e32 v102, 10
	s_and_saveexec_b32 s0, vcc_lo
	s_cbranch_execz .LBB79_77
; %bb.74:
	v_and_b32_e32 v102, -8, v101
	s_mov_b32 s6, 0
	s_mov_b64 s[2:3], 17
	s_movk_i32 s7, 0xd0
	s_delay_alu instid0(VALU_DEP_1)
	v_sub_nc_u32_e32 v103, 0, v102
.LBB79_75:                              ; =>This Inner Loop Header: Depth=1
	v_mov_b32_e32 v102, s7
	s_lshl_b32 s8, s2, 1
	s_delay_alu instid0(SALU_CYCLE_1)
	s_add_i32 m0, s8, -13
	v_movrels_b32_e32 v113, v34
	ds_load_b128 v[104:107], v102
	ds_load_b128 v[108:111], v102 offset:16
	s_add_i32 m0, s8, -14
	v_movrels_b32_e32 v112, v34
	s_add_i32 m0, s8, -11
	s_waitcnt lgkmcnt(1)
	s_delay_alu instid0(VALU_DEP_1) | instskip(SKIP_4) | instid1(VALU_DEP_1)
	v_fma_f64 v[98:99], v[112:113], v[104:105], v[98:99]
	v_movrels_b32_e32 v105, v34
	s_add_i32 m0, s8, -12
	v_movrels_b32_e32 v104, v34
	s_add_i32 m0, s8, -9
	v_fma_f64 v[98:99], v[104:105], v[106:107], v[98:99]
	v_movrels_b32_e32 v105, v34
	s_add_i32 m0, s8, -10
	v_movrels_b32_e32 v104, v34
	s_add_i32 m0, s8, -7
	s_waitcnt lgkmcnt(0)
	s_delay_alu instid0(VALU_DEP_1)
	v_fma_f64 v[98:99], v[104:105], v[108:109], v[98:99]
	v_movrels_b32_e32 v105, v34
	s_add_i32 m0, s8, -8
	v_movrels_b32_e32 v104, v34
	s_add_i32 m0, s8, -5
	;; [unrolled: 2-line block ×4, first 2 shown]
	v_fma_f64 v[98:99], v[104:105], v[110:111], v[98:99]
	ds_load_b128 v[104:107], v102 offset:32
	ds_load_b128 v[108:111], v102 offset:48
	s_waitcnt lgkmcnt(1)
	v_fma_f64 v[98:99], v[112:113], v[104:105], v[98:99]
	v_movrels_b32_e32 v105, v34
	s_add_i32 m0, s8, -4
	v_movrels_b32_e32 v104, v34
	s_add_i32 m0, s8, -1
	s_delay_alu instid0(VALU_DEP_1)
	v_fma_f64 v[98:99], v[104:105], v[106:107], v[98:99]
	v_movrels_b32_e32 v105, v34
	s_add_i32 m0, s8, -2
	s_add_u32 s2, s2, 8
	v_movrels_b32_e32 v104, v34
	s_mov_b32 m0, s8
	v_add_nc_u32_e32 v102, s2, v103
	s_addc_u32 s3, s3, 0
	s_add_i32 s8, s2, -7
	s_add_i32 s7, s7, 64
	s_delay_alu instid0(VALU_DEP_1)
	v_cmp_eq_u32_e32 vcc_lo, 17, v102
	v_mov_b32_e32 v102, s8
	s_or_b32 s6, vcc_lo, s6
	s_waitcnt lgkmcnt(0)
	v_fma_f64 v[98:99], v[104:105], v[108:109], v[98:99]
	v_movrels_b32_e32 v105, v35
	v_movrels_b32_e32 v104, v34
	s_delay_alu instid0(VALU_DEP_1)
	v_fma_f64 v[98:99], v[104:105], v[110:111], v[98:99]
	s_and_not1_b32 exec_lo, exec_lo, s6
	s_cbranch_execnz .LBB79_75
; %bb.76:
	s_or_b32 exec_lo, exec_lo, s6
.LBB79_77:
	s_delay_alu instid0(SALU_CYCLE_1) | instskip(SKIP_3) | instid1(VALU_DEP_1)
	s_or_b32 exec_lo, exec_lo, s0
	v_and_b32_e32 v101, 7, v101
	s_mov_b32 s3, 0
	s_mov_b32 s2, exec_lo
	v_cmpx_ne_u32_e32 0, v101
	s_cbranch_execz .LBB79_81
; %bb.78:
	v_lshl_add_u32 v103, v102, 3, 0x80
	v_mov_b32_e32 v104, 0
.LBB79_79:                              ; =>This Inner Loop Header: Depth=1
	v_cmp_eq_u32_e32 vcc_lo, 1, v102
	v_cmp_eq_u32_e64 s0, 2, v102
	v_add_nc_u32_e32 v101, -1, v101
	v_dual_cndmask_b32 v105, v35, v37 :: v_dual_cndmask_b32 v106, v34, v36
	v_cmp_eq_u32_e32 vcc_lo, 3, v102
	s_delay_alu instid0(VALU_DEP_2) | instskip(NEXT) | instid1(VALU_DEP_3)
	v_cndmask_b32_e64 v105, v105, v39, s0
	v_cndmask_b32_e64 v106, v106, v38, s0
	v_cmp_eq_u32_e64 s0, 4, v102
	s_delay_alu instid0(VALU_DEP_2) | instskip(SKIP_1) | instid1(VALU_DEP_2)
	v_dual_cndmask_b32 v105, v105, v41 :: v_dual_cndmask_b32 v106, v106, v40
	v_cmp_eq_u32_e32 vcc_lo, 5, v102
	v_cndmask_b32_e64 v105, v105, v43, s0
	s_delay_alu instid0(VALU_DEP_3) | instskip(SKIP_1) | instid1(VALU_DEP_2)
	v_cndmask_b32_e64 v106, v106, v42, s0
	v_cmp_eq_u32_e64 s0, 6, v102
	v_dual_cndmask_b32 v105, v105, v45 :: v_dual_cndmask_b32 v106, v106, v44
	v_cmp_eq_u32_e32 vcc_lo, 7, v102
	s_delay_alu instid0(VALU_DEP_2) | instskip(NEXT) | instid1(VALU_DEP_3)
	v_cndmask_b32_e64 v105, v105, v47, s0
	v_cndmask_b32_e64 v106, v106, v46, s0
	v_cmp_eq_u32_e64 s0, 8, v102
	s_delay_alu instid0(VALU_DEP_2) | instskip(SKIP_1) | instid1(VALU_DEP_2)
	v_dual_cndmask_b32 v105, v105, v49 :: v_dual_cndmask_b32 v106, v106, v48
	v_cmp_eq_u32_e32 vcc_lo, 9, v102
	v_cndmask_b32_e64 v105, v105, v51, s0
	s_delay_alu instid0(VALU_DEP_3) | instskip(SKIP_1) | instid1(VALU_DEP_2)
	v_cndmask_b32_e64 v106, v106, v50, s0
	v_cmp_eq_u32_e64 s0, 10, v102
	v_dual_cndmask_b32 v105, v105, v53 :: v_dual_cndmask_b32 v106, v106, v52
	v_cmp_eq_u32_e32 vcc_lo, 11, v102
	s_delay_alu instid0(VALU_DEP_2) | instskip(NEXT) | instid1(VALU_DEP_3)
	v_cndmask_b32_e64 v105, v105, v55, s0
	v_cndmask_b32_e64 v106, v106, v54, s0
	v_cmp_eq_u32_e64 s0, 12, v102
	s_delay_alu instid0(VALU_DEP_2)
	v_dual_cndmask_b32 v107, v105, v57 :: v_dual_cndmask_b32 v108, v106, v56
	ds_load_b64 v[105:106], v103
	v_cmp_eq_u32_e32 vcc_lo, 13, v102
	v_add_nc_u32_e32 v103, 8, v103
	v_cndmask_b32_e64 v107, v107, v59, s0
	v_cndmask_b32_e64 v108, v108, v58, s0
	v_cmp_eq_u32_e64 s0, 14, v102
	s_delay_alu instid0(VALU_DEP_2) | instskip(SKIP_1) | instid1(VALU_DEP_2)
	v_dual_cndmask_b32 v107, v107, v61 :: v_dual_cndmask_b32 v108, v108, v60
	v_cmp_eq_u32_e32 vcc_lo, 15, v102
	v_cndmask_b32_e64 v107, v107, v63, s0
	s_delay_alu instid0(VALU_DEP_3) | instskip(SKIP_1) | instid1(VALU_DEP_1)
	v_cndmask_b32_e64 v109, v108, v62, s0
	v_add_co_u32 v102, s0, v102, 1
	v_add_co_ci_u32_e64 v104, s0, 0, v104, s0
	s_delay_alu instid0(VALU_DEP_3) | instskip(SKIP_2) | instid1(VALU_DEP_2)
	v_dual_cndmask_b32 v108, v107, v65 :: v_dual_cndmask_b32 v107, v109, v64
	v_cmp_eq_u32_e32 vcc_lo, 0, v101
	s_waitcnt lgkmcnt(0)
	v_fma_f64 v[98:99], v[107:108], v[105:106], v[98:99]
	s_or_b32 s3, vcc_lo, s3
	s_delay_alu instid0(SALU_CYCLE_1)
	s_and_not1_b32 exec_lo, exec_lo, s3
	s_cbranch_execnz .LBB79_79
; %bb.80:
	s_or_b32 exec_lo, exec_lo, s3
.LBB79_81:
	s_delay_alu instid0(SALU_CYCLE_1)
	s_or_b32 exec_lo, exec_lo, s2
.LBB79_82:
	s_delay_alu instid0(SALU_CYCLE_1)
	s_or_b32 exec_lo, exec_lo, s5
	v_mov_b32_e32 v52, 0
	ds_load_b64 v[52:53], v52 offset:72
	s_waitcnt lgkmcnt(0)
	v_mul_f64 v[52:53], v[98:99], v[52:53]
.LBB79_83:
	s_or_b32 exec_lo, exec_lo, s4
	v_cmp_lt_u32_e64 s0, 8, v0
	ds_store_b64 v100, v[50:51]
	s_waitcnt lgkmcnt(0)
	s_barrier
	buffer_gl0_inv
	s_and_saveexec_b32 s4, s0
	s_cbranch_execz .LBB79_99
; %bb.84:
	s_and_not1_b32 vcc_lo, exec_lo, s18
	s_cbranch_vccnz .LBB79_86
; %bb.85:
	v_cmp_eq_u32_e32 vcc_lo, 1, v0
	v_dual_cndmask_b32 v98, v35, v37 :: v_dual_cndmask_b32 v99, v34, v36
	v_cmp_eq_u32_e32 vcc_lo, 2, v0
	s_delay_alu instid0(VALU_DEP_2) | instskip(SKIP_1) | instid1(VALU_DEP_2)
	v_dual_cndmask_b32 v98, v98, v39 :: v_dual_cndmask_b32 v99, v99, v38
	v_cmp_eq_u32_e32 vcc_lo, 3, v0
	v_dual_cndmask_b32 v98, v98, v41 :: v_dual_cndmask_b32 v99, v99, v40
	v_cmp_eq_u32_e32 vcc_lo, 4, v0
	s_delay_alu instid0(VALU_DEP_2) | instskip(SKIP_1) | instid1(VALU_DEP_2)
	v_dual_cndmask_b32 v98, v98, v43 :: v_dual_cndmask_b32 v99, v99, v42
	;; [unrolled: 5-line block ×5, first 2 shown]
	v_cmp_eq_u32_e32 vcc_lo, 11, v0
	v_dual_cndmask_b32 v98, v98, v57 :: v_dual_cndmask_b32 v99, v99, v56
	v_cmp_eq_u32_e32 vcc_lo, 12, v0
	s_delay_alu instid0(VALU_DEP_2) | instskip(SKIP_4) | instid1(VALU_DEP_2)
	v_dual_cndmask_b32 v101, v98, v59 :: v_dual_cndmask_b32 v102, v99, v58
	v_cmp_eq_u32_e32 vcc_lo, 13, v0
	ds_load_b64 v[98:99], v100
	v_dual_cndmask_b32 v101, v101, v61 :: v_dual_cndmask_b32 v102, v102, v60
	v_cmp_eq_u32_e32 vcc_lo, 14, v0
	v_cndmask_b32_e32 v101, v101, v63, vcc_lo
	s_delay_alu instid0(VALU_DEP_3) | instskip(SKIP_1) | instid1(VALU_DEP_2)
	v_cndmask_b32_e32 v103, v102, v62, vcc_lo
	v_cmp_eq_u32_e32 vcc_lo, 15, v0
	v_dual_cndmask_b32 v102, v101, v65 :: v_dual_cndmask_b32 v101, v103, v64
	s_waitcnt lgkmcnt(0)
	s_delay_alu instid0(VALU_DEP_1)
	v_mul_f64 v[98:99], v[101:102], v[98:99]
	s_cbranch_execz .LBB79_87
	s_branch .LBB79_88
.LBB79_86:
                                        ; implicit-def: $vgpr98_vgpr99
.LBB79_87:
	ds_load_b64 v[98:99], v100
.LBB79_88:
	s_and_saveexec_b32 s5, s1
	s_cbranch_execz .LBB79_98
; %bb.89:
	v_add_nc_u32_e32 v102, -10, v0
	v_add_nc_u32_e32 v101, -9, v0
	s_delay_alu instid0(VALU_DEP_2)
	v_cmp_lt_u32_e32 vcc_lo, 6, v102
	v_mov_b32_e32 v102, 9
	s_and_saveexec_b32 s1, vcc_lo
	s_cbranch_execz .LBB79_93
; %bb.90:
	v_and_b32_e32 v102, -8, v101
	s_mov_b32 s6, 0
	s_mov_b64 s[2:3], 16
	s_movk_i32 s7, 0xc8
	s_delay_alu instid0(VALU_DEP_1)
	v_sub_nc_u32_e32 v103, 0, v102
.LBB79_91:                              ; =>This Inner Loop Header: Depth=1
	v_mov_b32_e32 v102, s7
	s_lshl_b32 s8, s2, 1
	s_delay_alu instid0(SALU_CYCLE_1)
	s_add_i32 m0, s8, -13
	v_movrels_b32_e32 v113, v34
	ds_load_2addr_b64 v[104:107], v102 offset1:1
	ds_load_2addr_b64 v[108:111], v102 offset0:2 offset1:3
	s_add_i32 m0, s8, -14
	v_movrels_b32_e32 v112, v34
	s_add_i32 m0, s8, -11
	s_waitcnt lgkmcnt(1)
	s_delay_alu instid0(VALU_DEP_1) | instskip(SKIP_4) | instid1(VALU_DEP_1)
	v_fma_f64 v[98:99], v[112:113], v[104:105], v[98:99]
	v_movrels_b32_e32 v105, v34
	s_add_i32 m0, s8, -12
	v_movrels_b32_e32 v104, v34
	s_add_i32 m0, s8, -9
	v_fma_f64 v[98:99], v[104:105], v[106:107], v[98:99]
	v_movrels_b32_e32 v105, v34
	s_add_i32 m0, s8, -10
	v_movrels_b32_e32 v104, v34
	s_add_i32 m0, s8, -7
	s_waitcnt lgkmcnt(0)
	s_delay_alu instid0(VALU_DEP_1)
	v_fma_f64 v[98:99], v[104:105], v[108:109], v[98:99]
	v_movrels_b32_e32 v105, v34
	s_add_i32 m0, s8, -8
	v_movrels_b32_e32 v104, v34
	s_add_i32 m0, s8, -5
	;; [unrolled: 2-line block ×4, first 2 shown]
	v_fma_f64 v[98:99], v[104:105], v[110:111], v[98:99]
	ds_load_2addr_b64 v[104:107], v102 offset0:4 offset1:5
	ds_load_2addr_b64 v[108:111], v102 offset0:6 offset1:7
	s_waitcnt lgkmcnt(1)
	v_fma_f64 v[98:99], v[112:113], v[104:105], v[98:99]
	v_movrels_b32_e32 v105, v34
	s_add_i32 m0, s8, -4
	v_movrels_b32_e32 v104, v34
	s_add_i32 m0, s8, -1
	s_delay_alu instid0(VALU_DEP_1)
	v_fma_f64 v[98:99], v[104:105], v[106:107], v[98:99]
	v_movrels_b32_e32 v105, v34
	s_add_i32 m0, s8, -2
	s_add_u32 s2, s2, 8
	v_movrels_b32_e32 v104, v34
	s_mov_b32 m0, s8
	v_add_nc_u32_e32 v102, s2, v103
	s_addc_u32 s3, s3, 0
	s_add_i32 s8, s2, -7
	s_add_i32 s7, s7, 64
	s_delay_alu instid0(VALU_DEP_1)
	v_cmp_eq_u32_e32 vcc_lo, 16, v102
	v_mov_b32_e32 v102, s8
	s_or_b32 s6, vcc_lo, s6
	s_waitcnt lgkmcnt(0)
	v_fma_f64 v[98:99], v[104:105], v[108:109], v[98:99]
	v_movrels_b32_e32 v105, v35
	v_movrels_b32_e32 v104, v34
	s_delay_alu instid0(VALU_DEP_1)
	v_fma_f64 v[98:99], v[104:105], v[110:111], v[98:99]
	s_and_not1_b32 exec_lo, exec_lo, s6
	s_cbranch_execnz .LBB79_91
; %bb.92:
	s_or_b32 exec_lo, exec_lo, s6
.LBB79_93:
	s_delay_alu instid0(SALU_CYCLE_1) | instskip(SKIP_3) | instid1(VALU_DEP_1)
	s_or_b32 exec_lo, exec_lo, s1
	v_and_b32_e32 v101, 7, v101
	s_mov_b32 s3, 0
	s_mov_b32 s2, exec_lo
	v_cmpx_ne_u32_e32 0, v101
	s_cbranch_execz .LBB79_97
; %bb.94:
	v_lshl_add_u32 v103, v102, 3, 0x80
	v_mov_b32_e32 v104, 0
.LBB79_95:                              ; =>This Inner Loop Header: Depth=1
	v_cmp_eq_u32_e32 vcc_lo, 1, v102
	v_cmp_eq_u32_e64 s1, 2, v102
	v_add_nc_u32_e32 v101, -1, v101
	v_dual_cndmask_b32 v105, v35, v37 :: v_dual_cndmask_b32 v106, v34, v36
	v_cmp_eq_u32_e32 vcc_lo, 3, v102
	s_delay_alu instid0(VALU_DEP_2) | instskip(NEXT) | instid1(VALU_DEP_3)
	v_cndmask_b32_e64 v105, v105, v39, s1
	v_cndmask_b32_e64 v106, v106, v38, s1
	v_cmp_eq_u32_e64 s1, 4, v102
	s_delay_alu instid0(VALU_DEP_2) | instskip(SKIP_1) | instid1(VALU_DEP_2)
	v_dual_cndmask_b32 v105, v105, v41 :: v_dual_cndmask_b32 v106, v106, v40
	v_cmp_eq_u32_e32 vcc_lo, 5, v102
	v_cndmask_b32_e64 v105, v105, v43, s1
	s_delay_alu instid0(VALU_DEP_3) | instskip(SKIP_1) | instid1(VALU_DEP_2)
	v_cndmask_b32_e64 v106, v106, v42, s1
	v_cmp_eq_u32_e64 s1, 6, v102
	v_dual_cndmask_b32 v105, v105, v45 :: v_dual_cndmask_b32 v106, v106, v44
	v_cmp_eq_u32_e32 vcc_lo, 7, v102
	s_delay_alu instid0(VALU_DEP_2) | instskip(NEXT) | instid1(VALU_DEP_3)
	v_cndmask_b32_e64 v105, v105, v47, s1
	v_cndmask_b32_e64 v106, v106, v46, s1
	v_cmp_eq_u32_e64 s1, 8, v102
	s_delay_alu instid0(VALU_DEP_2) | instskip(SKIP_1) | instid1(VALU_DEP_2)
	v_dual_cndmask_b32 v105, v105, v49 :: v_dual_cndmask_b32 v106, v106, v48
	v_cmp_eq_u32_e32 vcc_lo, 9, v102
	v_cndmask_b32_e64 v105, v105, v51, s1
	s_delay_alu instid0(VALU_DEP_3) | instskip(SKIP_1) | instid1(VALU_DEP_2)
	v_cndmask_b32_e64 v106, v106, v50, s1
	v_cmp_eq_u32_e64 s1, 10, v102
	v_dual_cndmask_b32 v105, v105, v53 :: v_dual_cndmask_b32 v106, v106, v52
	v_cmp_eq_u32_e32 vcc_lo, 11, v102
	s_delay_alu instid0(VALU_DEP_2) | instskip(NEXT) | instid1(VALU_DEP_3)
	v_cndmask_b32_e64 v105, v105, v55, s1
	v_cndmask_b32_e64 v106, v106, v54, s1
	v_cmp_eq_u32_e64 s1, 12, v102
	s_delay_alu instid0(VALU_DEP_2)
	v_dual_cndmask_b32 v107, v105, v57 :: v_dual_cndmask_b32 v108, v106, v56
	ds_load_b64 v[105:106], v103
	v_cmp_eq_u32_e32 vcc_lo, 13, v102
	v_add_nc_u32_e32 v103, 8, v103
	v_cndmask_b32_e64 v107, v107, v59, s1
	v_cndmask_b32_e64 v108, v108, v58, s1
	v_cmp_eq_u32_e64 s1, 14, v102
	s_delay_alu instid0(VALU_DEP_2) | instskip(SKIP_1) | instid1(VALU_DEP_2)
	v_dual_cndmask_b32 v107, v107, v61 :: v_dual_cndmask_b32 v108, v108, v60
	v_cmp_eq_u32_e32 vcc_lo, 15, v102
	v_cndmask_b32_e64 v107, v107, v63, s1
	s_delay_alu instid0(VALU_DEP_3) | instskip(SKIP_1) | instid1(VALU_DEP_1)
	v_cndmask_b32_e64 v109, v108, v62, s1
	v_add_co_u32 v102, s1, v102, 1
	v_add_co_ci_u32_e64 v104, s1, 0, v104, s1
	s_delay_alu instid0(VALU_DEP_3) | instskip(SKIP_2) | instid1(VALU_DEP_2)
	v_dual_cndmask_b32 v108, v107, v65 :: v_dual_cndmask_b32 v107, v109, v64
	v_cmp_eq_u32_e32 vcc_lo, 0, v101
	s_waitcnt lgkmcnt(0)
	v_fma_f64 v[98:99], v[107:108], v[105:106], v[98:99]
	s_or_b32 s3, vcc_lo, s3
	s_delay_alu instid0(SALU_CYCLE_1)
	s_and_not1_b32 exec_lo, exec_lo, s3
	s_cbranch_execnz .LBB79_95
; %bb.96:
	s_or_b32 exec_lo, exec_lo, s3
.LBB79_97:
	s_delay_alu instid0(SALU_CYCLE_1)
	s_or_b32 exec_lo, exec_lo, s2
.LBB79_98:
	s_delay_alu instid0(SALU_CYCLE_1)
	s_or_b32 exec_lo, exec_lo, s5
	v_mov_b32_e32 v50, 0
	ds_load_b64 v[50:51], v50 offset:64
	s_waitcnt lgkmcnt(0)
	v_mul_f64 v[50:51], v[98:99], v[50:51]
.LBB79_99:
	s_or_b32 exec_lo, exec_lo, s4
	v_cmp_lt_u32_e64 s1, 7, v0
	ds_store_b64 v100, v[48:49]
	s_waitcnt lgkmcnt(0)
	s_barrier
	buffer_gl0_inv
	s_and_saveexec_b32 s4, s1
	s_cbranch_execz .LBB79_115
; %bb.100:
	s_and_not1_b32 vcc_lo, exec_lo, s18
	s_cbranch_vccnz .LBB79_102
; %bb.101:
	v_cmp_eq_u32_e32 vcc_lo, 1, v0
	v_dual_cndmask_b32 v98, v35, v37 :: v_dual_cndmask_b32 v99, v34, v36
	v_cmp_eq_u32_e32 vcc_lo, 2, v0
	s_delay_alu instid0(VALU_DEP_2) | instskip(SKIP_1) | instid1(VALU_DEP_2)
	v_dual_cndmask_b32 v98, v98, v39 :: v_dual_cndmask_b32 v99, v99, v38
	v_cmp_eq_u32_e32 vcc_lo, 3, v0
	v_dual_cndmask_b32 v98, v98, v41 :: v_dual_cndmask_b32 v99, v99, v40
	v_cmp_eq_u32_e32 vcc_lo, 4, v0
	s_delay_alu instid0(VALU_DEP_2) | instskip(SKIP_1) | instid1(VALU_DEP_2)
	v_dual_cndmask_b32 v98, v98, v43 :: v_dual_cndmask_b32 v99, v99, v42
	;; [unrolled: 5-line block ×5, first 2 shown]
	v_cmp_eq_u32_e32 vcc_lo, 11, v0
	v_dual_cndmask_b32 v98, v98, v57 :: v_dual_cndmask_b32 v99, v99, v56
	v_cmp_eq_u32_e32 vcc_lo, 12, v0
	s_delay_alu instid0(VALU_DEP_2) | instskip(SKIP_4) | instid1(VALU_DEP_2)
	v_dual_cndmask_b32 v101, v98, v59 :: v_dual_cndmask_b32 v102, v99, v58
	v_cmp_eq_u32_e32 vcc_lo, 13, v0
	ds_load_b64 v[98:99], v100
	v_dual_cndmask_b32 v101, v101, v61 :: v_dual_cndmask_b32 v102, v102, v60
	v_cmp_eq_u32_e32 vcc_lo, 14, v0
	v_cndmask_b32_e32 v101, v101, v63, vcc_lo
	s_delay_alu instid0(VALU_DEP_3) | instskip(SKIP_1) | instid1(VALU_DEP_2)
	v_cndmask_b32_e32 v103, v102, v62, vcc_lo
	v_cmp_eq_u32_e32 vcc_lo, 15, v0
	v_dual_cndmask_b32 v102, v101, v65 :: v_dual_cndmask_b32 v101, v103, v64
	s_waitcnt lgkmcnt(0)
	s_delay_alu instid0(VALU_DEP_1)
	v_mul_f64 v[98:99], v[101:102], v[98:99]
	s_cbranch_execz .LBB79_103
	s_branch .LBB79_104
.LBB79_102:
                                        ; implicit-def: $vgpr98_vgpr99
.LBB79_103:
	ds_load_b64 v[98:99], v100
.LBB79_104:
	s_and_saveexec_b32 s5, s0
	s_cbranch_execz .LBB79_114
; %bb.105:
	v_add_nc_u32_e32 v101, -9, v0
	s_delay_alu instid0(VALU_DEP_1)
	v_cmp_lt_u32_e32 vcc_lo, 6, v101
	v_mov_b32_e32 v101, 8
	s_and_saveexec_b32 s0, vcc_lo
	s_cbranch_execz .LBB79_109
; %bb.106:
	v_and_b32_e32 v101, 8, v0
	s_mov_b32 s6, 0
	s_mov_b64 s[2:3], 15
	s_movk_i32 s7, 0xc0
	s_delay_alu instid0(VALU_DEP_1)
	v_sub_nc_u32_e32 v102, 0, v101
.LBB79_107:                             ; =>This Inner Loop Header: Depth=1
	v_mov_b32_e32 v101, s7
	s_lshl_b32 s8, s2, 1
	s_delay_alu instid0(SALU_CYCLE_1)
	s_add_i32 m0, s8, -13
	v_movrels_b32_e32 v112, v34
	ds_load_b128 v[103:106], v101
	ds_load_b128 v[107:110], v101 offset:16
	s_add_i32 m0, s8, -14
	v_movrels_b32_e32 v111, v34
	s_add_i32 m0, s8, -11
	s_waitcnt lgkmcnt(1)
	s_delay_alu instid0(VALU_DEP_1) | instskip(SKIP_4) | instid1(VALU_DEP_1)
	v_fma_f64 v[98:99], v[111:112], v[103:104], v[98:99]
	v_movrels_b32_e32 v104, v34
	s_add_i32 m0, s8, -12
	v_movrels_b32_e32 v103, v34
	s_add_i32 m0, s8, -9
	v_fma_f64 v[98:99], v[103:104], v[105:106], v[98:99]
	v_movrels_b32_e32 v104, v34
	s_add_i32 m0, s8, -10
	v_movrels_b32_e32 v103, v34
	s_add_i32 m0, s8, -7
	s_waitcnt lgkmcnt(0)
	s_delay_alu instid0(VALU_DEP_1)
	v_fma_f64 v[98:99], v[103:104], v[107:108], v[98:99]
	v_movrels_b32_e32 v104, v34
	s_add_i32 m0, s8, -8
	v_movrels_b32_e32 v103, v34
	s_add_i32 m0, s8, -5
	;; [unrolled: 2-line block ×4, first 2 shown]
	v_fma_f64 v[98:99], v[103:104], v[109:110], v[98:99]
	ds_load_b128 v[103:106], v101 offset:32
	ds_load_b128 v[107:110], v101 offset:48
	s_waitcnt lgkmcnt(1)
	v_fma_f64 v[98:99], v[111:112], v[103:104], v[98:99]
	v_movrels_b32_e32 v104, v34
	s_add_i32 m0, s8, -4
	v_movrels_b32_e32 v103, v34
	s_add_i32 m0, s8, -1
	s_delay_alu instid0(VALU_DEP_1)
	v_fma_f64 v[98:99], v[103:104], v[105:106], v[98:99]
	v_movrels_b32_e32 v104, v34
	s_add_i32 m0, s8, -2
	s_add_u32 s2, s2, 8
	v_movrels_b32_e32 v103, v34
	s_mov_b32 m0, s8
	v_add_nc_u32_e32 v101, s2, v102
	s_addc_u32 s3, s3, 0
	s_add_i32 s8, s2, -7
	s_add_i32 s7, s7, 64
	s_delay_alu instid0(VALU_DEP_1)
	v_cmp_eq_u32_e32 vcc_lo, 7, v101
	v_mov_b32_e32 v101, s8
	s_or_b32 s6, vcc_lo, s6
	s_waitcnt lgkmcnt(0)
	v_fma_f64 v[98:99], v[103:104], v[107:108], v[98:99]
	v_movrels_b32_e32 v104, v35
	v_movrels_b32_e32 v103, v34
	s_delay_alu instid0(VALU_DEP_1)
	v_fma_f64 v[98:99], v[103:104], v[109:110], v[98:99]
	s_and_not1_b32 exec_lo, exec_lo, s6
	s_cbranch_execnz .LBB79_107
; %bb.108:
	s_or_b32 exec_lo, exec_lo, s6
.LBB79_109:
	s_delay_alu instid0(SALU_CYCLE_1) | instskip(SKIP_3) | instid1(VALU_DEP_1)
	s_or_b32 exec_lo, exec_lo, s0
	v_and_b32_e32 v102, 7, v0
	s_mov_b32 s3, 0
	s_mov_b32 s2, exec_lo
	v_cmpx_ne_u32_e32 0, v102
	s_cbranch_execz .LBB79_113
; %bb.110:
	v_lshl_add_u32 v103, v101, 3, 0x80
	v_mov_b32_e32 v104, 0
.LBB79_111:                             ; =>This Inner Loop Header: Depth=1
	v_cmp_eq_u32_e32 vcc_lo, 1, v101
	v_cmp_eq_u32_e64 s0, 2, v101
	v_dual_cndmask_b32 v105, v35, v37 :: v_dual_add_nc_u32 v102, -1, v102
	v_cndmask_b32_e32 v106, v34, v36, vcc_lo
	v_cmp_eq_u32_e32 vcc_lo, 3, v101
	s_delay_alu instid0(VALU_DEP_3) | instskip(NEXT) | instid1(VALU_DEP_3)
	v_cndmask_b32_e64 v105, v105, v39, s0
	v_cndmask_b32_e64 v106, v106, v38, s0
	v_cmp_eq_u32_e64 s0, 4, v101
	s_delay_alu instid0(VALU_DEP_2) | instskip(SKIP_1) | instid1(VALU_DEP_2)
	v_dual_cndmask_b32 v105, v105, v41 :: v_dual_cndmask_b32 v106, v106, v40
	v_cmp_eq_u32_e32 vcc_lo, 5, v101
	v_cndmask_b32_e64 v105, v105, v43, s0
	s_delay_alu instid0(VALU_DEP_3) | instskip(SKIP_1) | instid1(VALU_DEP_2)
	v_cndmask_b32_e64 v106, v106, v42, s0
	v_cmp_eq_u32_e64 s0, 6, v101
	v_dual_cndmask_b32 v105, v105, v45 :: v_dual_cndmask_b32 v106, v106, v44
	v_cmp_eq_u32_e32 vcc_lo, 7, v101
	s_delay_alu instid0(VALU_DEP_2) | instskip(NEXT) | instid1(VALU_DEP_3)
	v_cndmask_b32_e64 v105, v105, v47, s0
	v_cndmask_b32_e64 v106, v106, v46, s0
	v_cmp_eq_u32_e64 s0, 8, v101
	s_delay_alu instid0(VALU_DEP_2) | instskip(SKIP_1) | instid1(VALU_DEP_2)
	v_dual_cndmask_b32 v105, v105, v49 :: v_dual_cndmask_b32 v106, v106, v48
	v_cmp_eq_u32_e32 vcc_lo, 9, v101
	v_cndmask_b32_e64 v105, v105, v51, s0
	s_delay_alu instid0(VALU_DEP_3) | instskip(SKIP_1) | instid1(VALU_DEP_2)
	v_cndmask_b32_e64 v106, v106, v50, s0
	v_cmp_eq_u32_e64 s0, 10, v101
	v_dual_cndmask_b32 v105, v105, v53 :: v_dual_cndmask_b32 v106, v106, v52
	v_cmp_eq_u32_e32 vcc_lo, 11, v101
	s_delay_alu instid0(VALU_DEP_2) | instskip(NEXT) | instid1(VALU_DEP_3)
	v_cndmask_b32_e64 v105, v105, v55, s0
	v_cndmask_b32_e64 v106, v106, v54, s0
	v_cmp_eq_u32_e64 s0, 12, v101
	s_delay_alu instid0(VALU_DEP_2)
	v_dual_cndmask_b32 v107, v105, v57 :: v_dual_cndmask_b32 v108, v106, v56
	ds_load_b64 v[105:106], v103
	v_cmp_eq_u32_e32 vcc_lo, 13, v101
	v_add_nc_u32_e32 v103, 8, v103
	v_cndmask_b32_e64 v107, v107, v59, s0
	v_cndmask_b32_e64 v108, v108, v58, s0
	v_cmp_eq_u32_e64 s0, 14, v101
	s_delay_alu instid0(VALU_DEP_2) | instskip(SKIP_1) | instid1(VALU_DEP_2)
	v_dual_cndmask_b32 v107, v107, v61 :: v_dual_cndmask_b32 v108, v108, v60
	v_cmp_eq_u32_e32 vcc_lo, 15, v101
	v_cndmask_b32_e64 v107, v107, v63, s0
	s_delay_alu instid0(VALU_DEP_3) | instskip(SKIP_1) | instid1(VALU_DEP_1)
	v_cndmask_b32_e64 v109, v108, v62, s0
	v_add_co_u32 v101, s0, v101, 1
	v_add_co_ci_u32_e64 v104, s0, 0, v104, s0
	s_delay_alu instid0(VALU_DEP_3) | instskip(SKIP_2) | instid1(VALU_DEP_2)
	v_dual_cndmask_b32 v108, v107, v65 :: v_dual_cndmask_b32 v107, v109, v64
	v_cmp_eq_u32_e32 vcc_lo, 0, v102
	s_waitcnt lgkmcnt(0)
	v_fma_f64 v[98:99], v[107:108], v[105:106], v[98:99]
	s_or_b32 s3, vcc_lo, s3
	s_delay_alu instid0(SALU_CYCLE_1)
	s_and_not1_b32 exec_lo, exec_lo, s3
	s_cbranch_execnz .LBB79_111
; %bb.112:
	s_or_b32 exec_lo, exec_lo, s3
.LBB79_113:
	s_delay_alu instid0(SALU_CYCLE_1)
	s_or_b32 exec_lo, exec_lo, s2
.LBB79_114:
	s_delay_alu instid0(SALU_CYCLE_1)
	s_or_b32 exec_lo, exec_lo, s5
	v_mov_b32_e32 v48, 0
	ds_load_b64 v[48:49], v48 offset:56
	s_waitcnt lgkmcnt(0)
	v_mul_f64 v[48:49], v[98:99], v[48:49]
.LBB79_115:
	s_or_b32 exec_lo, exec_lo, s4
	v_cmp_lt_u32_e64 s0, 6, v0
	ds_store_b64 v100, v[46:47]
	s_waitcnt lgkmcnt(0)
	s_barrier
	buffer_gl0_inv
	s_and_saveexec_b32 s4, s0
	s_cbranch_execz .LBB79_131
; %bb.116:
	s_and_not1_b32 vcc_lo, exec_lo, s18
	s_cbranch_vccnz .LBB79_118
; %bb.117:
	v_cmp_eq_u32_e32 vcc_lo, 1, v0
	v_dual_cndmask_b32 v98, v35, v37 :: v_dual_cndmask_b32 v99, v34, v36
	v_cmp_eq_u32_e32 vcc_lo, 2, v0
	s_delay_alu instid0(VALU_DEP_2) | instskip(SKIP_1) | instid1(VALU_DEP_2)
	v_dual_cndmask_b32 v98, v98, v39 :: v_dual_cndmask_b32 v99, v99, v38
	v_cmp_eq_u32_e32 vcc_lo, 3, v0
	v_dual_cndmask_b32 v98, v98, v41 :: v_dual_cndmask_b32 v99, v99, v40
	v_cmp_eq_u32_e32 vcc_lo, 4, v0
	s_delay_alu instid0(VALU_DEP_2) | instskip(SKIP_1) | instid1(VALU_DEP_2)
	v_dual_cndmask_b32 v98, v98, v43 :: v_dual_cndmask_b32 v99, v99, v42
	;; [unrolled: 5-line block ×5, first 2 shown]
	v_cmp_eq_u32_e32 vcc_lo, 11, v0
	v_dual_cndmask_b32 v98, v98, v57 :: v_dual_cndmask_b32 v99, v99, v56
	v_cmp_eq_u32_e32 vcc_lo, 12, v0
	s_delay_alu instid0(VALU_DEP_2) | instskip(SKIP_4) | instid1(VALU_DEP_2)
	v_dual_cndmask_b32 v101, v98, v59 :: v_dual_cndmask_b32 v102, v99, v58
	v_cmp_eq_u32_e32 vcc_lo, 13, v0
	ds_load_b64 v[98:99], v100
	v_dual_cndmask_b32 v101, v101, v61 :: v_dual_cndmask_b32 v102, v102, v60
	v_cmp_eq_u32_e32 vcc_lo, 14, v0
	v_cndmask_b32_e32 v101, v101, v63, vcc_lo
	s_delay_alu instid0(VALU_DEP_3) | instskip(SKIP_1) | instid1(VALU_DEP_2)
	v_cndmask_b32_e32 v103, v102, v62, vcc_lo
	v_cmp_eq_u32_e32 vcc_lo, 15, v0
	v_dual_cndmask_b32 v102, v101, v65 :: v_dual_cndmask_b32 v101, v103, v64
	s_waitcnt lgkmcnt(0)
	s_delay_alu instid0(VALU_DEP_1)
	v_mul_f64 v[98:99], v[101:102], v[98:99]
	s_cbranch_execz .LBB79_119
	s_branch .LBB79_120
.LBB79_118:
                                        ; implicit-def: $vgpr98_vgpr99
.LBB79_119:
	ds_load_b64 v[98:99], v100
.LBB79_120:
	s_and_saveexec_b32 s5, s1
	s_cbranch_execz .LBB79_130
; %bb.121:
	v_add_nc_u32_e32 v102, -8, v0
	v_add_nc_u32_e32 v101, -7, v0
	s_delay_alu instid0(VALU_DEP_2)
	v_cmp_lt_u32_e32 vcc_lo, 6, v102
	v_mov_b32_e32 v102, 7
	s_and_saveexec_b32 s1, vcc_lo
	s_cbranch_execz .LBB79_125
; %bb.122:
	v_and_b32_e32 v102, -8, v101
	s_mov_b32 s6, 0
	s_mov_b64 s[2:3], 14
	s_movk_i32 s7, 0xb8
	s_delay_alu instid0(VALU_DEP_1)
	v_sub_nc_u32_e32 v103, 0, v102
.LBB79_123:                             ; =>This Inner Loop Header: Depth=1
	v_mov_b32_e32 v102, s7
	s_lshl_b32 s8, s2, 1
	s_delay_alu instid0(SALU_CYCLE_1)
	s_add_i32 m0, s8, -13
	v_movrels_b32_e32 v113, v34
	ds_load_2addr_b64 v[104:107], v102 offset1:1
	ds_load_2addr_b64 v[108:111], v102 offset0:2 offset1:3
	s_add_i32 m0, s8, -14
	v_movrels_b32_e32 v112, v34
	s_add_i32 m0, s8, -11
	s_waitcnt lgkmcnt(1)
	s_delay_alu instid0(VALU_DEP_1) | instskip(SKIP_4) | instid1(VALU_DEP_1)
	v_fma_f64 v[98:99], v[112:113], v[104:105], v[98:99]
	v_movrels_b32_e32 v105, v34
	s_add_i32 m0, s8, -12
	v_movrels_b32_e32 v104, v34
	s_add_i32 m0, s8, -9
	v_fma_f64 v[98:99], v[104:105], v[106:107], v[98:99]
	v_movrels_b32_e32 v105, v34
	s_add_i32 m0, s8, -10
	v_movrels_b32_e32 v104, v34
	s_add_i32 m0, s8, -7
	s_waitcnt lgkmcnt(0)
	s_delay_alu instid0(VALU_DEP_1)
	v_fma_f64 v[98:99], v[104:105], v[108:109], v[98:99]
	v_movrels_b32_e32 v105, v34
	s_add_i32 m0, s8, -8
	v_movrels_b32_e32 v104, v34
	s_add_i32 m0, s8, -5
	;; [unrolled: 2-line block ×4, first 2 shown]
	v_fma_f64 v[98:99], v[104:105], v[110:111], v[98:99]
	ds_load_2addr_b64 v[104:107], v102 offset0:4 offset1:5
	ds_load_2addr_b64 v[108:111], v102 offset0:6 offset1:7
	s_waitcnt lgkmcnt(1)
	v_fma_f64 v[98:99], v[112:113], v[104:105], v[98:99]
	v_movrels_b32_e32 v105, v34
	s_add_i32 m0, s8, -4
	v_movrels_b32_e32 v104, v34
	s_add_i32 m0, s8, -1
	s_delay_alu instid0(VALU_DEP_1)
	v_fma_f64 v[98:99], v[104:105], v[106:107], v[98:99]
	v_movrels_b32_e32 v105, v34
	s_add_i32 m0, s8, -2
	s_add_u32 s2, s2, 8
	v_movrels_b32_e32 v104, v34
	s_mov_b32 m0, s8
	v_add_nc_u32_e32 v102, s2, v103
	s_addc_u32 s3, s3, 0
	s_add_i32 s8, s2, -7
	s_add_i32 s7, s7, 64
	s_delay_alu instid0(VALU_DEP_1)
	v_cmp_eq_u32_e32 vcc_lo, 14, v102
	v_mov_b32_e32 v102, s8
	s_or_b32 s6, vcc_lo, s6
	s_waitcnt lgkmcnt(0)
	v_fma_f64 v[98:99], v[104:105], v[108:109], v[98:99]
	v_movrels_b32_e32 v105, v35
	v_movrels_b32_e32 v104, v34
	s_delay_alu instid0(VALU_DEP_1)
	v_fma_f64 v[98:99], v[104:105], v[110:111], v[98:99]
	s_and_not1_b32 exec_lo, exec_lo, s6
	s_cbranch_execnz .LBB79_123
; %bb.124:
	s_or_b32 exec_lo, exec_lo, s6
.LBB79_125:
	s_delay_alu instid0(SALU_CYCLE_1) | instskip(SKIP_3) | instid1(VALU_DEP_1)
	s_or_b32 exec_lo, exec_lo, s1
	v_and_b32_e32 v101, 7, v101
	s_mov_b32 s3, 0
	s_mov_b32 s2, exec_lo
	v_cmpx_ne_u32_e32 0, v101
	s_cbranch_execz .LBB79_129
; %bb.126:
	v_lshl_add_u32 v103, v102, 3, 0x80
	v_mov_b32_e32 v104, 0
.LBB79_127:                             ; =>This Inner Loop Header: Depth=1
	v_cmp_eq_u32_e32 vcc_lo, 1, v102
	v_cmp_eq_u32_e64 s1, 2, v102
	v_add_nc_u32_e32 v101, -1, v101
	v_dual_cndmask_b32 v105, v35, v37 :: v_dual_cndmask_b32 v106, v34, v36
	v_cmp_eq_u32_e32 vcc_lo, 3, v102
	s_delay_alu instid0(VALU_DEP_2) | instskip(NEXT) | instid1(VALU_DEP_3)
	v_cndmask_b32_e64 v105, v105, v39, s1
	v_cndmask_b32_e64 v106, v106, v38, s1
	v_cmp_eq_u32_e64 s1, 4, v102
	s_delay_alu instid0(VALU_DEP_2) | instskip(SKIP_1) | instid1(VALU_DEP_2)
	v_dual_cndmask_b32 v105, v105, v41 :: v_dual_cndmask_b32 v106, v106, v40
	v_cmp_eq_u32_e32 vcc_lo, 5, v102
	v_cndmask_b32_e64 v105, v105, v43, s1
	s_delay_alu instid0(VALU_DEP_3) | instskip(SKIP_1) | instid1(VALU_DEP_2)
	v_cndmask_b32_e64 v106, v106, v42, s1
	v_cmp_eq_u32_e64 s1, 6, v102
	v_dual_cndmask_b32 v105, v105, v45 :: v_dual_cndmask_b32 v106, v106, v44
	v_cmp_eq_u32_e32 vcc_lo, 7, v102
	s_delay_alu instid0(VALU_DEP_2) | instskip(NEXT) | instid1(VALU_DEP_3)
	v_cndmask_b32_e64 v105, v105, v47, s1
	v_cndmask_b32_e64 v106, v106, v46, s1
	v_cmp_eq_u32_e64 s1, 8, v102
	s_delay_alu instid0(VALU_DEP_2) | instskip(SKIP_1) | instid1(VALU_DEP_2)
	v_dual_cndmask_b32 v105, v105, v49 :: v_dual_cndmask_b32 v106, v106, v48
	v_cmp_eq_u32_e32 vcc_lo, 9, v102
	v_cndmask_b32_e64 v105, v105, v51, s1
	s_delay_alu instid0(VALU_DEP_3) | instskip(SKIP_1) | instid1(VALU_DEP_2)
	v_cndmask_b32_e64 v106, v106, v50, s1
	v_cmp_eq_u32_e64 s1, 10, v102
	v_dual_cndmask_b32 v105, v105, v53 :: v_dual_cndmask_b32 v106, v106, v52
	v_cmp_eq_u32_e32 vcc_lo, 11, v102
	s_delay_alu instid0(VALU_DEP_2) | instskip(NEXT) | instid1(VALU_DEP_3)
	v_cndmask_b32_e64 v105, v105, v55, s1
	v_cndmask_b32_e64 v106, v106, v54, s1
	v_cmp_eq_u32_e64 s1, 12, v102
	s_delay_alu instid0(VALU_DEP_2)
	v_dual_cndmask_b32 v107, v105, v57 :: v_dual_cndmask_b32 v108, v106, v56
	ds_load_b64 v[105:106], v103
	v_cmp_eq_u32_e32 vcc_lo, 13, v102
	v_add_nc_u32_e32 v103, 8, v103
	v_cndmask_b32_e64 v107, v107, v59, s1
	v_cndmask_b32_e64 v108, v108, v58, s1
	v_cmp_eq_u32_e64 s1, 14, v102
	s_delay_alu instid0(VALU_DEP_2) | instskip(SKIP_1) | instid1(VALU_DEP_2)
	v_dual_cndmask_b32 v107, v107, v61 :: v_dual_cndmask_b32 v108, v108, v60
	v_cmp_eq_u32_e32 vcc_lo, 15, v102
	v_cndmask_b32_e64 v107, v107, v63, s1
	s_delay_alu instid0(VALU_DEP_3) | instskip(SKIP_1) | instid1(VALU_DEP_1)
	v_cndmask_b32_e64 v109, v108, v62, s1
	v_add_co_u32 v102, s1, v102, 1
	v_add_co_ci_u32_e64 v104, s1, 0, v104, s1
	s_delay_alu instid0(VALU_DEP_3) | instskip(SKIP_2) | instid1(VALU_DEP_2)
	v_dual_cndmask_b32 v108, v107, v65 :: v_dual_cndmask_b32 v107, v109, v64
	v_cmp_eq_u32_e32 vcc_lo, 0, v101
	s_waitcnt lgkmcnt(0)
	v_fma_f64 v[98:99], v[107:108], v[105:106], v[98:99]
	s_or_b32 s3, vcc_lo, s3
	s_delay_alu instid0(SALU_CYCLE_1)
	s_and_not1_b32 exec_lo, exec_lo, s3
	s_cbranch_execnz .LBB79_127
; %bb.128:
	s_or_b32 exec_lo, exec_lo, s3
.LBB79_129:
	s_delay_alu instid0(SALU_CYCLE_1)
	s_or_b32 exec_lo, exec_lo, s2
.LBB79_130:
	s_delay_alu instid0(SALU_CYCLE_1)
	s_or_b32 exec_lo, exec_lo, s5
	v_mov_b32_e32 v46, 0
	ds_load_b64 v[46:47], v46 offset:48
	s_waitcnt lgkmcnt(0)
	v_mul_f64 v[46:47], v[98:99], v[46:47]
.LBB79_131:
	s_or_b32 exec_lo, exec_lo, s4
	v_cmp_lt_u32_e64 s2, 5, v0
	ds_store_b64 v100, v[44:45]
	s_waitcnt lgkmcnt(0)
	s_barrier
	buffer_gl0_inv
	s_and_saveexec_b32 s3, s2
	s_cbranch_execz .LBB79_147
; %bb.132:
	s_and_not1_b32 vcc_lo, exec_lo, s18
	s_cbranch_vccnz .LBB79_134
; %bb.133:
	v_cmp_eq_u32_e32 vcc_lo, 1, v0
	v_dual_cndmask_b32 v98, v35, v37 :: v_dual_cndmask_b32 v99, v34, v36
	v_cmp_eq_u32_e32 vcc_lo, 2, v0
	s_delay_alu instid0(VALU_DEP_2) | instskip(SKIP_1) | instid1(VALU_DEP_2)
	v_dual_cndmask_b32 v98, v98, v39 :: v_dual_cndmask_b32 v99, v99, v38
	v_cmp_eq_u32_e32 vcc_lo, 3, v0
	v_dual_cndmask_b32 v98, v98, v41 :: v_dual_cndmask_b32 v99, v99, v40
	v_cmp_eq_u32_e32 vcc_lo, 4, v0
	s_delay_alu instid0(VALU_DEP_2) | instskip(SKIP_1) | instid1(VALU_DEP_2)
	v_dual_cndmask_b32 v98, v98, v43 :: v_dual_cndmask_b32 v99, v99, v42
	;; [unrolled: 5-line block ×5, first 2 shown]
	v_cmp_eq_u32_e32 vcc_lo, 11, v0
	v_dual_cndmask_b32 v98, v98, v57 :: v_dual_cndmask_b32 v99, v99, v56
	v_cmp_eq_u32_e32 vcc_lo, 12, v0
	s_delay_alu instid0(VALU_DEP_2) | instskip(SKIP_4) | instid1(VALU_DEP_2)
	v_dual_cndmask_b32 v101, v98, v59 :: v_dual_cndmask_b32 v102, v99, v58
	v_cmp_eq_u32_e32 vcc_lo, 13, v0
	ds_load_b64 v[98:99], v100
	v_dual_cndmask_b32 v101, v101, v61 :: v_dual_cndmask_b32 v102, v102, v60
	v_cmp_eq_u32_e32 vcc_lo, 14, v0
	v_cndmask_b32_e32 v101, v101, v63, vcc_lo
	s_delay_alu instid0(VALU_DEP_3) | instskip(SKIP_1) | instid1(VALU_DEP_2)
	v_cndmask_b32_e32 v103, v102, v62, vcc_lo
	v_cmp_eq_u32_e32 vcc_lo, 15, v0
	v_dual_cndmask_b32 v102, v101, v65 :: v_dual_cndmask_b32 v101, v103, v64
	s_waitcnt lgkmcnt(0)
	s_delay_alu instid0(VALU_DEP_1)
	v_mul_f64 v[98:99], v[101:102], v[98:99]
	s_cbranch_execz .LBB79_135
	s_branch .LBB79_136
.LBB79_134:
                                        ; implicit-def: $vgpr98_vgpr99
.LBB79_135:
	ds_load_b64 v[98:99], v100
.LBB79_136:
	s_and_saveexec_b32 s4, s0
	s_cbranch_execz .LBB79_146
; %bb.137:
	v_add_nc_u32_e32 v102, -7, v0
	v_add_nc_u32_e32 v101, -6, v0
	s_delay_alu instid0(VALU_DEP_2)
	v_cmp_lt_u32_e32 vcc_lo, 6, v102
	v_mov_b32_e32 v102, 6
	s_and_saveexec_b32 s5, vcc_lo
	s_cbranch_execz .LBB79_141
; %bb.138:
	v_and_b32_e32 v102, -8, v101
	s_mov_b32 s6, 0
	s_mov_b64 s[0:1], 13
	s_movk_i32 s7, 0xb0
	s_delay_alu instid0(VALU_DEP_1)
	v_sub_nc_u32_e32 v103, 0, v102
.LBB79_139:                             ; =>This Inner Loop Header: Depth=1
	v_mov_b32_e32 v102, s7
	s_lshl_b32 s8, s0, 1
	s_delay_alu instid0(SALU_CYCLE_1)
	s_add_i32 m0, s8, -13
	v_movrels_b32_e32 v113, v34
	ds_load_b128 v[104:107], v102
	ds_load_b128 v[108:111], v102 offset:16
	s_add_i32 m0, s8, -14
	v_movrels_b32_e32 v112, v34
	s_add_i32 m0, s8, -11
	s_waitcnt lgkmcnt(1)
	s_delay_alu instid0(VALU_DEP_1) | instskip(SKIP_4) | instid1(VALU_DEP_1)
	v_fma_f64 v[98:99], v[112:113], v[104:105], v[98:99]
	v_movrels_b32_e32 v105, v34
	s_add_i32 m0, s8, -12
	v_movrels_b32_e32 v104, v34
	s_add_i32 m0, s8, -9
	v_fma_f64 v[98:99], v[104:105], v[106:107], v[98:99]
	v_movrels_b32_e32 v105, v34
	s_add_i32 m0, s8, -10
	v_movrels_b32_e32 v104, v34
	s_add_i32 m0, s8, -7
	s_waitcnt lgkmcnt(0)
	s_delay_alu instid0(VALU_DEP_1)
	v_fma_f64 v[98:99], v[104:105], v[108:109], v[98:99]
	v_movrels_b32_e32 v105, v34
	s_add_i32 m0, s8, -8
	v_movrels_b32_e32 v104, v34
	s_add_i32 m0, s8, -5
	;; [unrolled: 2-line block ×4, first 2 shown]
	v_fma_f64 v[98:99], v[104:105], v[110:111], v[98:99]
	ds_load_b128 v[104:107], v102 offset:32
	ds_load_b128 v[108:111], v102 offset:48
	s_waitcnt lgkmcnt(1)
	v_fma_f64 v[98:99], v[112:113], v[104:105], v[98:99]
	v_movrels_b32_e32 v105, v34
	s_add_i32 m0, s8, -4
	v_movrels_b32_e32 v104, v34
	s_add_i32 m0, s8, -1
	s_delay_alu instid0(VALU_DEP_1)
	v_fma_f64 v[98:99], v[104:105], v[106:107], v[98:99]
	v_movrels_b32_e32 v105, v34
	s_add_i32 m0, s8, -2
	s_add_u32 s0, s0, 8
	v_movrels_b32_e32 v104, v34
	s_mov_b32 m0, s8
	v_add_nc_u32_e32 v102, s0, v103
	s_addc_u32 s1, s1, 0
	s_add_i32 s8, s0, -7
	s_add_i32 s7, s7, 64
	s_delay_alu instid0(VALU_DEP_1)
	v_cmp_eq_u32_e32 vcc_lo, 13, v102
	v_mov_b32_e32 v102, s8
	s_or_b32 s6, vcc_lo, s6
	s_waitcnt lgkmcnt(0)
	v_fma_f64 v[98:99], v[104:105], v[108:109], v[98:99]
	v_movrels_b32_e32 v105, v35
	v_movrels_b32_e32 v104, v34
	s_delay_alu instid0(VALU_DEP_1)
	v_fma_f64 v[98:99], v[104:105], v[110:111], v[98:99]
	s_and_not1_b32 exec_lo, exec_lo, s6
	s_cbranch_execnz .LBB79_139
; %bb.140:
	s_or_b32 exec_lo, exec_lo, s6
.LBB79_141:
	s_delay_alu instid0(SALU_CYCLE_1) | instskip(SKIP_3) | instid1(VALU_DEP_1)
	s_or_b32 exec_lo, exec_lo, s5
	v_and_b32_e32 v101, 7, v101
	s_mov_b32 s5, 0
	s_mov_b32 s1, exec_lo
	v_cmpx_ne_u32_e32 0, v101
	s_cbranch_execz .LBB79_145
; %bb.142:
	v_lshl_add_u32 v103, v102, 3, 0x80
	v_mov_b32_e32 v104, 0
.LBB79_143:                             ; =>This Inner Loop Header: Depth=1
	v_cmp_eq_u32_e32 vcc_lo, 1, v102
	v_cmp_eq_u32_e64 s0, 2, v102
	v_add_nc_u32_e32 v101, -1, v101
	v_dual_cndmask_b32 v105, v35, v37 :: v_dual_cndmask_b32 v106, v34, v36
	v_cmp_eq_u32_e32 vcc_lo, 3, v102
	s_delay_alu instid0(VALU_DEP_2) | instskip(NEXT) | instid1(VALU_DEP_3)
	v_cndmask_b32_e64 v105, v105, v39, s0
	v_cndmask_b32_e64 v106, v106, v38, s0
	v_cmp_eq_u32_e64 s0, 4, v102
	s_delay_alu instid0(VALU_DEP_2) | instskip(SKIP_1) | instid1(VALU_DEP_2)
	v_dual_cndmask_b32 v105, v105, v41 :: v_dual_cndmask_b32 v106, v106, v40
	v_cmp_eq_u32_e32 vcc_lo, 5, v102
	v_cndmask_b32_e64 v105, v105, v43, s0
	s_delay_alu instid0(VALU_DEP_3) | instskip(SKIP_1) | instid1(VALU_DEP_2)
	v_cndmask_b32_e64 v106, v106, v42, s0
	v_cmp_eq_u32_e64 s0, 6, v102
	v_dual_cndmask_b32 v105, v105, v45 :: v_dual_cndmask_b32 v106, v106, v44
	v_cmp_eq_u32_e32 vcc_lo, 7, v102
	s_delay_alu instid0(VALU_DEP_2) | instskip(NEXT) | instid1(VALU_DEP_3)
	v_cndmask_b32_e64 v105, v105, v47, s0
	v_cndmask_b32_e64 v106, v106, v46, s0
	v_cmp_eq_u32_e64 s0, 8, v102
	s_delay_alu instid0(VALU_DEP_2) | instskip(SKIP_1) | instid1(VALU_DEP_2)
	v_dual_cndmask_b32 v105, v105, v49 :: v_dual_cndmask_b32 v106, v106, v48
	v_cmp_eq_u32_e32 vcc_lo, 9, v102
	v_cndmask_b32_e64 v105, v105, v51, s0
	s_delay_alu instid0(VALU_DEP_3) | instskip(SKIP_1) | instid1(VALU_DEP_2)
	v_cndmask_b32_e64 v106, v106, v50, s0
	v_cmp_eq_u32_e64 s0, 10, v102
	v_dual_cndmask_b32 v105, v105, v53 :: v_dual_cndmask_b32 v106, v106, v52
	v_cmp_eq_u32_e32 vcc_lo, 11, v102
	s_delay_alu instid0(VALU_DEP_2) | instskip(NEXT) | instid1(VALU_DEP_3)
	v_cndmask_b32_e64 v105, v105, v55, s0
	v_cndmask_b32_e64 v106, v106, v54, s0
	v_cmp_eq_u32_e64 s0, 12, v102
	s_delay_alu instid0(VALU_DEP_2)
	v_dual_cndmask_b32 v107, v105, v57 :: v_dual_cndmask_b32 v108, v106, v56
	ds_load_b64 v[105:106], v103
	v_cmp_eq_u32_e32 vcc_lo, 13, v102
	v_add_nc_u32_e32 v103, 8, v103
	v_cndmask_b32_e64 v107, v107, v59, s0
	v_cndmask_b32_e64 v108, v108, v58, s0
	v_cmp_eq_u32_e64 s0, 14, v102
	s_delay_alu instid0(VALU_DEP_2) | instskip(SKIP_1) | instid1(VALU_DEP_2)
	v_dual_cndmask_b32 v107, v107, v61 :: v_dual_cndmask_b32 v108, v108, v60
	v_cmp_eq_u32_e32 vcc_lo, 15, v102
	v_cndmask_b32_e64 v107, v107, v63, s0
	s_delay_alu instid0(VALU_DEP_3) | instskip(SKIP_1) | instid1(VALU_DEP_1)
	v_cndmask_b32_e64 v109, v108, v62, s0
	v_add_co_u32 v102, s0, v102, 1
	v_add_co_ci_u32_e64 v104, s0, 0, v104, s0
	s_delay_alu instid0(VALU_DEP_3) | instskip(SKIP_2) | instid1(VALU_DEP_2)
	v_dual_cndmask_b32 v108, v107, v65 :: v_dual_cndmask_b32 v107, v109, v64
	v_cmp_eq_u32_e32 vcc_lo, 0, v101
	s_waitcnt lgkmcnt(0)
	v_fma_f64 v[98:99], v[107:108], v[105:106], v[98:99]
	s_or_b32 s5, vcc_lo, s5
	s_delay_alu instid0(SALU_CYCLE_1)
	s_and_not1_b32 exec_lo, exec_lo, s5
	s_cbranch_execnz .LBB79_143
; %bb.144:
	s_or_b32 exec_lo, exec_lo, s5
.LBB79_145:
	s_delay_alu instid0(SALU_CYCLE_1)
	s_or_b32 exec_lo, exec_lo, s1
.LBB79_146:
	s_delay_alu instid0(SALU_CYCLE_1)
	s_or_b32 exec_lo, exec_lo, s4
	v_mov_b32_e32 v44, 0
	ds_load_b64 v[44:45], v44 offset:40
	s_waitcnt lgkmcnt(0)
	v_mul_f64 v[44:45], v[98:99], v[44:45]
.LBB79_147:
	s_or_b32 exec_lo, exec_lo, s3
	v_cmp_lt_u32_e64 s1, 4, v0
	ds_store_b64 v100, v[42:43]
	s_waitcnt lgkmcnt(0)
	s_barrier
	buffer_gl0_inv
	s_and_saveexec_b32 s4, s1
	s_cbranch_execz .LBB79_163
; %bb.148:
	s_and_not1_b32 vcc_lo, exec_lo, s18
	s_cbranch_vccnz .LBB79_150
; %bb.149:
	v_cmp_eq_u32_e32 vcc_lo, 1, v0
	v_dual_cndmask_b32 v98, v35, v37 :: v_dual_cndmask_b32 v99, v34, v36
	v_cmp_eq_u32_e32 vcc_lo, 2, v0
	s_delay_alu instid0(VALU_DEP_2) | instskip(SKIP_1) | instid1(VALU_DEP_2)
	v_dual_cndmask_b32 v98, v98, v39 :: v_dual_cndmask_b32 v99, v99, v38
	v_cmp_eq_u32_e32 vcc_lo, 3, v0
	v_dual_cndmask_b32 v98, v98, v41 :: v_dual_cndmask_b32 v99, v99, v40
	v_cmp_eq_u32_e32 vcc_lo, 4, v0
	s_delay_alu instid0(VALU_DEP_2) | instskip(SKIP_1) | instid1(VALU_DEP_2)
	v_dual_cndmask_b32 v98, v98, v43 :: v_dual_cndmask_b32 v99, v99, v42
	;; [unrolled: 5-line block ×5, first 2 shown]
	v_cmp_eq_u32_e32 vcc_lo, 11, v0
	v_dual_cndmask_b32 v98, v98, v57 :: v_dual_cndmask_b32 v99, v99, v56
	v_cmp_eq_u32_e32 vcc_lo, 12, v0
	s_delay_alu instid0(VALU_DEP_2) | instskip(SKIP_4) | instid1(VALU_DEP_2)
	v_dual_cndmask_b32 v101, v98, v59 :: v_dual_cndmask_b32 v102, v99, v58
	v_cmp_eq_u32_e32 vcc_lo, 13, v0
	ds_load_b64 v[98:99], v100
	v_dual_cndmask_b32 v101, v101, v61 :: v_dual_cndmask_b32 v102, v102, v60
	v_cmp_eq_u32_e32 vcc_lo, 14, v0
	v_cndmask_b32_e32 v101, v101, v63, vcc_lo
	s_delay_alu instid0(VALU_DEP_3) | instskip(SKIP_1) | instid1(VALU_DEP_2)
	v_cndmask_b32_e32 v103, v102, v62, vcc_lo
	v_cmp_eq_u32_e32 vcc_lo, 15, v0
	v_dual_cndmask_b32 v102, v101, v65 :: v_dual_cndmask_b32 v101, v103, v64
	s_waitcnt lgkmcnt(0)
	s_delay_alu instid0(VALU_DEP_1)
	v_mul_f64 v[98:99], v[101:102], v[98:99]
	s_cbranch_execz .LBB79_151
	s_branch .LBB79_152
.LBB79_150:
                                        ; implicit-def: $vgpr98_vgpr99
.LBB79_151:
	ds_load_b64 v[98:99], v100
.LBB79_152:
	s_and_saveexec_b32 s5, s2
	s_cbranch_execz .LBB79_162
; %bb.153:
	v_add_nc_u32_e32 v102, -6, v0
	v_add_nc_u32_e32 v101, -5, v0
	s_delay_alu instid0(VALU_DEP_2)
	v_cmp_lt_u32_e32 vcc_lo, 6, v102
	v_mov_b32_e32 v102, 5
	s_and_saveexec_b32 s0, vcc_lo
	s_cbranch_execz .LBB79_157
; %bb.154:
	v_and_b32_e32 v102, -8, v101
	s_mov_b32 s6, 0
	s_mov_b64 s[2:3], 12
	s_movk_i32 s7, 0xa8
	s_delay_alu instid0(VALU_DEP_1)
	v_sub_nc_u32_e32 v103, 0, v102
.LBB79_155:                             ; =>This Inner Loop Header: Depth=1
	v_mov_b32_e32 v102, s7
	s_lshl_b32 s8, s2, 1
	s_delay_alu instid0(SALU_CYCLE_1)
	s_add_i32 m0, s8, -13
	v_movrels_b32_e32 v113, v34
	ds_load_2addr_b64 v[104:107], v102 offset1:1
	ds_load_2addr_b64 v[108:111], v102 offset0:2 offset1:3
	s_add_i32 m0, s8, -14
	v_movrels_b32_e32 v112, v34
	s_add_i32 m0, s8, -11
	s_waitcnt lgkmcnt(1)
	s_delay_alu instid0(VALU_DEP_1) | instskip(SKIP_4) | instid1(VALU_DEP_1)
	v_fma_f64 v[98:99], v[112:113], v[104:105], v[98:99]
	v_movrels_b32_e32 v105, v34
	s_add_i32 m0, s8, -12
	v_movrels_b32_e32 v104, v34
	s_add_i32 m0, s8, -9
	v_fma_f64 v[98:99], v[104:105], v[106:107], v[98:99]
	v_movrels_b32_e32 v105, v34
	s_add_i32 m0, s8, -10
	v_movrels_b32_e32 v104, v34
	s_add_i32 m0, s8, -7
	s_waitcnt lgkmcnt(0)
	s_delay_alu instid0(VALU_DEP_1)
	v_fma_f64 v[98:99], v[104:105], v[108:109], v[98:99]
	v_movrels_b32_e32 v105, v34
	s_add_i32 m0, s8, -8
	v_movrels_b32_e32 v104, v34
	s_add_i32 m0, s8, -5
	;; [unrolled: 2-line block ×4, first 2 shown]
	v_fma_f64 v[98:99], v[104:105], v[110:111], v[98:99]
	ds_load_2addr_b64 v[104:107], v102 offset0:4 offset1:5
	ds_load_2addr_b64 v[108:111], v102 offset0:6 offset1:7
	s_waitcnt lgkmcnt(1)
	v_fma_f64 v[98:99], v[112:113], v[104:105], v[98:99]
	v_movrels_b32_e32 v105, v34
	s_add_i32 m0, s8, -4
	v_movrels_b32_e32 v104, v34
	s_add_i32 m0, s8, -1
	s_delay_alu instid0(VALU_DEP_1)
	v_fma_f64 v[98:99], v[104:105], v[106:107], v[98:99]
	v_movrels_b32_e32 v105, v34
	s_add_i32 m0, s8, -2
	s_add_u32 s2, s2, 8
	v_movrels_b32_e32 v104, v34
	s_mov_b32 m0, s8
	v_add_nc_u32_e32 v102, s2, v103
	s_addc_u32 s3, s3, 0
	s_add_i32 s8, s2, -7
	s_add_i32 s7, s7, 64
	s_delay_alu instid0(VALU_DEP_1)
	v_cmp_eq_u32_e32 vcc_lo, 12, v102
	v_mov_b32_e32 v102, s8
	s_or_b32 s6, vcc_lo, s6
	s_waitcnt lgkmcnt(0)
	v_fma_f64 v[98:99], v[104:105], v[108:109], v[98:99]
	v_movrels_b32_e32 v105, v35
	v_movrels_b32_e32 v104, v34
	s_delay_alu instid0(VALU_DEP_1)
	v_fma_f64 v[98:99], v[104:105], v[110:111], v[98:99]
	s_and_not1_b32 exec_lo, exec_lo, s6
	s_cbranch_execnz .LBB79_155
; %bb.156:
	s_or_b32 exec_lo, exec_lo, s6
.LBB79_157:
	s_delay_alu instid0(SALU_CYCLE_1) | instskip(SKIP_3) | instid1(VALU_DEP_1)
	s_or_b32 exec_lo, exec_lo, s0
	v_and_b32_e32 v101, 7, v101
	s_mov_b32 s3, 0
	s_mov_b32 s2, exec_lo
	v_cmpx_ne_u32_e32 0, v101
	s_cbranch_execz .LBB79_161
; %bb.158:
	v_lshl_add_u32 v103, v102, 3, 0x80
	v_mov_b32_e32 v104, 0
.LBB79_159:                             ; =>This Inner Loop Header: Depth=1
	v_cmp_eq_u32_e32 vcc_lo, 1, v102
	v_cmp_eq_u32_e64 s0, 2, v102
	v_add_nc_u32_e32 v101, -1, v101
	v_dual_cndmask_b32 v105, v35, v37 :: v_dual_cndmask_b32 v106, v34, v36
	v_cmp_eq_u32_e32 vcc_lo, 3, v102
	s_delay_alu instid0(VALU_DEP_2) | instskip(NEXT) | instid1(VALU_DEP_3)
	v_cndmask_b32_e64 v105, v105, v39, s0
	v_cndmask_b32_e64 v106, v106, v38, s0
	v_cmp_eq_u32_e64 s0, 4, v102
	s_delay_alu instid0(VALU_DEP_2) | instskip(SKIP_1) | instid1(VALU_DEP_2)
	v_dual_cndmask_b32 v105, v105, v41 :: v_dual_cndmask_b32 v106, v106, v40
	v_cmp_eq_u32_e32 vcc_lo, 5, v102
	v_cndmask_b32_e64 v105, v105, v43, s0
	s_delay_alu instid0(VALU_DEP_3) | instskip(SKIP_1) | instid1(VALU_DEP_2)
	v_cndmask_b32_e64 v106, v106, v42, s0
	v_cmp_eq_u32_e64 s0, 6, v102
	v_dual_cndmask_b32 v105, v105, v45 :: v_dual_cndmask_b32 v106, v106, v44
	v_cmp_eq_u32_e32 vcc_lo, 7, v102
	s_delay_alu instid0(VALU_DEP_2) | instskip(NEXT) | instid1(VALU_DEP_3)
	v_cndmask_b32_e64 v105, v105, v47, s0
	v_cndmask_b32_e64 v106, v106, v46, s0
	v_cmp_eq_u32_e64 s0, 8, v102
	s_delay_alu instid0(VALU_DEP_2) | instskip(SKIP_1) | instid1(VALU_DEP_2)
	v_dual_cndmask_b32 v105, v105, v49 :: v_dual_cndmask_b32 v106, v106, v48
	v_cmp_eq_u32_e32 vcc_lo, 9, v102
	v_cndmask_b32_e64 v105, v105, v51, s0
	s_delay_alu instid0(VALU_DEP_3) | instskip(SKIP_1) | instid1(VALU_DEP_2)
	v_cndmask_b32_e64 v106, v106, v50, s0
	v_cmp_eq_u32_e64 s0, 10, v102
	v_dual_cndmask_b32 v105, v105, v53 :: v_dual_cndmask_b32 v106, v106, v52
	v_cmp_eq_u32_e32 vcc_lo, 11, v102
	s_delay_alu instid0(VALU_DEP_2) | instskip(NEXT) | instid1(VALU_DEP_3)
	v_cndmask_b32_e64 v105, v105, v55, s0
	v_cndmask_b32_e64 v106, v106, v54, s0
	v_cmp_eq_u32_e64 s0, 12, v102
	s_delay_alu instid0(VALU_DEP_2)
	v_dual_cndmask_b32 v107, v105, v57 :: v_dual_cndmask_b32 v108, v106, v56
	ds_load_b64 v[105:106], v103
	v_cmp_eq_u32_e32 vcc_lo, 13, v102
	v_add_nc_u32_e32 v103, 8, v103
	v_cndmask_b32_e64 v107, v107, v59, s0
	v_cndmask_b32_e64 v108, v108, v58, s0
	v_cmp_eq_u32_e64 s0, 14, v102
	s_delay_alu instid0(VALU_DEP_2) | instskip(SKIP_1) | instid1(VALU_DEP_2)
	v_dual_cndmask_b32 v107, v107, v61 :: v_dual_cndmask_b32 v108, v108, v60
	v_cmp_eq_u32_e32 vcc_lo, 15, v102
	v_cndmask_b32_e64 v107, v107, v63, s0
	s_delay_alu instid0(VALU_DEP_3) | instskip(SKIP_1) | instid1(VALU_DEP_1)
	v_cndmask_b32_e64 v109, v108, v62, s0
	v_add_co_u32 v102, s0, v102, 1
	v_add_co_ci_u32_e64 v104, s0, 0, v104, s0
	s_delay_alu instid0(VALU_DEP_3) | instskip(SKIP_2) | instid1(VALU_DEP_2)
	v_dual_cndmask_b32 v108, v107, v65 :: v_dual_cndmask_b32 v107, v109, v64
	v_cmp_eq_u32_e32 vcc_lo, 0, v101
	s_waitcnt lgkmcnt(0)
	v_fma_f64 v[98:99], v[107:108], v[105:106], v[98:99]
	s_or_b32 s3, vcc_lo, s3
	s_delay_alu instid0(SALU_CYCLE_1)
	s_and_not1_b32 exec_lo, exec_lo, s3
	s_cbranch_execnz .LBB79_159
; %bb.160:
	s_or_b32 exec_lo, exec_lo, s3
.LBB79_161:
	s_delay_alu instid0(SALU_CYCLE_1)
	s_or_b32 exec_lo, exec_lo, s2
.LBB79_162:
	s_delay_alu instid0(SALU_CYCLE_1)
	s_or_b32 exec_lo, exec_lo, s5
	v_mov_b32_e32 v42, 0
	ds_load_b64 v[42:43], v42 offset:32
	s_waitcnt lgkmcnt(0)
	v_mul_f64 v[42:43], v[98:99], v[42:43]
.LBB79_163:
	s_or_b32 exec_lo, exec_lo, s4
	v_cmp_lt_u32_e64 s0, 3, v0
	ds_store_b64 v100, v[40:41]
	s_waitcnt lgkmcnt(0)
	s_barrier
	buffer_gl0_inv
	s_and_saveexec_b32 s4, s0
	s_cbranch_execz .LBB79_179
; %bb.164:
	s_and_not1_b32 vcc_lo, exec_lo, s18
	s_cbranch_vccnz .LBB79_166
; %bb.165:
	v_cmp_eq_u32_e32 vcc_lo, 1, v0
	v_dual_cndmask_b32 v98, v35, v37 :: v_dual_cndmask_b32 v99, v34, v36
	v_cmp_eq_u32_e32 vcc_lo, 2, v0
	s_delay_alu instid0(VALU_DEP_2) | instskip(SKIP_1) | instid1(VALU_DEP_2)
	v_dual_cndmask_b32 v98, v98, v39 :: v_dual_cndmask_b32 v99, v99, v38
	v_cmp_eq_u32_e32 vcc_lo, 3, v0
	v_dual_cndmask_b32 v98, v98, v41 :: v_dual_cndmask_b32 v99, v99, v40
	v_cmp_eq_u32_e32 vcc_lo, 4, v0
	s_delay_alu instid0(VALU_DEP_2) | instskip(SKIP_1) | instid1(VALU_DEP_2)
	v_dual_cndmask_b32 v98, v98, v43 :: v_dual_cndmask_b32 v99, v99, v42
	;; [unrolled: 5-line block ×5, first 2 shown]
	v_cmp_eq_u32_e32 vcc_lo, 11, v0
	v_dual_cndmask_b32 v98, v98, v57 :: v_dual_cndmask_b32 v99, v99, v56
	v_cmp_eq_u32_e32 vcc_lo, 12, v0
	s_delay_alu instid0(VALU_DEP_2) | instskip(SKIP_4) | instid1(VALU_DEP_2)
	v_dual_cndmask_b32 v101, v98, v59 :: v_dual_cndmask_b32 v102, v99, v58
	v_cmp_eq_u32_e32 vcc_lo, 13, v0
	ds_load_b64 v[98:99], v100
	v_dual_cndmask_b32 v101, v101, v61 :: v_dual_cndmask_b32 v102, v102, v60
	v_cmp_eq_u32_e32 vcc_lo, 14, v0
	v_cndmask_b32_e32 v101, v101, v63, vcc_lo
	s_delay_alu instid0(VALU_DEP_3) | instskip(SKIP_1) | instid1(VALU_DEP_2)
	v_cndmask_b32_e32 v103, v102, v62, vcc_lo
	v_cmp_eq_u32_e32 vcc_lo, 15, v0
	v_dual_cndmask_b32 v102, v101, v65 :: v_dual_cndmask_b32 v101, v103, v64
	s_waitcnt lgkmcnt(0)
	s_delay_alu instid0(VALU_DEP_1)
	v_mul_f64 v[98:99], v[101:102], v[98:99]
	s_cbranch_execz .LBB79_167
	s_branch .LBB79_168
.LBB79_166:
                                        ; implicit-def: $vgpr98_vgpr99
.LBB79_167:
	ds_load_b64 v[98:99], v100
.LBB79_168:
	s_and_saveexec_b32 s5, s1
	s_cbranch_execz .LBB79_178
; %bb.169:
	v_dual_mov_b32 v103, 4 :: v_dual_add_nc_u32 v102, -5, v0
	v_add_nc_u32_e32 v101, -4, v0
	s_mov_b32 s1, exec_lo
	s_delay_alu instid0(VALU_DEP_2)
	v_cmpx_lt_u32_e32 6, v102
	s_cbranch_execz .LBB79_173
; %bb.170:
	s_delay_alu instid0(VALU_DEP_2) | instskip(SKIP_3) | instid1(VALU_DEP_1)
	v_and_b32_e32 v102, -8, v101
	s_mov_b32 s6, 0
	s_mov_b64 s[2:3], 5
	s_movk_i32 s7, 0xa0
	v_sub_nc_u32_e32 v102, 0, v102
.LBB79_171:                             ; =>This Inner Loop Header: Depth=1
	v_mov_b32_e32 v113, s7
	s_lshl_b32 s8, s2, 1
	s_delay_alu instid0(SALU_CYCLE_1)
	s_add_i32 m0, s8, -1
	s_add_i32 s9, s8, 3
	ds_load_b128 v[103:106], v113
	ds_load_b128 v[107:110], v113 offset:16
	v_movrels_b32_e32 v112, v34
	s_add_i32 m0, s8, -2
	s_add_i32 s10, s8, 2
	v_movrels_b32_e32 v111, v34
	s_mov_b32 m0, s8
	s_waitcnt lgkmcnt(1)
	s_delay_alu instid0(VALU_DEP_1) | instskip(SKIP_4) | instid1(VALU_DEP_1)
	v_fma_f64 v[98:99], v[111:112], v[103:104], v[98:99]
	v_movrels_b32_e32 v104, v35
	v_movrels_b32_e32 v103, v34
	s_mov_b32 m0, s9
	s_add_i32 s9, s8, 5
	v_fma_f64 v[98:99], v[103:104], v[105:106], v[98:99]
	v_movrels_b32_e32 v104, v34
	s_mov_b32 m0, s10
	s_add_i32 s10, s8, 4
	v_movrels_b32_e32 v103, v34
	s_mov_b32 m0, s9
	s_add_i32 s9, s8, 7
	s_waitcnt lgkmcnt(0)
	s_delay_alu instid0(VALU_DEP_1)
	v_fma_f64 v[98:99], v[103:104], v[107:108], v[98:99]
	v_movrels_b32_e32 v104, v34
	s_mov_b32 m0, s10
	s_add_i32 s10, s8, 6
	v_movrels_b32_e32 v103, v34
	s_mov_b32 m0, s9
	s_add_i32 s9, s8, 9
	;; [unrolled: 3-line block ×4, first 2 shown]
	v_fma_f64 v[98:99], v[103:104], v[109:110], v[98:99]
	ds_load_b128 v[103:106], v113 offset:32
	ds_load_b128 v[107:110], v113 offset:48
	s_waitcnt lgkmcnt(1)
	v_fma_f64 v[98:99], v[111:112], v[103:104], v[98:99]
	v_movrels_b32_e32 v104, v34
	s_mov_b32 m0, s10
	s_add_i32 s10, s8, 10
	v_movrels_b32_e32 v103, v34
	s_mov_b32 m0, s9
	s_add_i32 s9, s8, 13
	s_add_i32 s8, s8, 12
	s_add_u32 s2, s2, 8
	s_addc_u32 s3, s3, 0
	s_add_i32 s7, s7, 64
	s_delay_alu instid0(VALU_DEP_3)
	v_fma_f64 v[98:99], v[103:104], v[105:106], v[98:99]
	v_movrels_b32_e32 v104, v34
	s_mov_b32 m0, s10
	v_movrels_b32_e32 v103, v34
	s_mov_b32 m0, s9
	s_waitcnt lgkmcnt(0)
	s_delay_alu instid0(VALU_DEP_1) | instskip(SKIP_4) | instid1(VALU_DEP_1)
	v_fma_f64 v[98:99], v[103:104], v[107:108], v[98:99]
	v_movrels_b32_e32 v104, v34
	s_mov_b32 m0, s8
	s_add_i32 s8, s2, -1
	v_movrels_b32_e32 v103, v34
	v_fma_f64 v[98:99], v[103:104], v[109:110], v[98:99]
	v_add_nc_u32_e32 v103, s2, v102
	s_delay_alu instid0(VALU_DEP_1) | instskip(SKIP_2) | instid1(SALU_CYCLE_1)
	v_cmp_eq_u32_e32 vcc_lo, 5, v103
	v_mov_b32_e32 v103, s8
	s_or_b32 s6, vcc_lo, s6
	s_and_not1_b32 exec_lo, exec_lo, s6
	s_cbranch_execnz .LBB79_171
; %bb.172:
	s_or_b32 exec_lo, exec_lo, s6
.LBB79_173:
	s_delay_alu instid0(SALU_CYCLE_1) | instskip(SKIP_3) | instid1(VALU_DEP_1)
	s_or_b32 exec_lo, exec_lo, s1
	v_and_b32_e32 v101, 7, v101
	s_mov_b32 s3, 0
	s_mov_b32 s2, exec_lo
	v_cmpx_ne_u32_e32 0, v101
	s_cbranch_execz .LBB79_177
; %bb.174:
	v_lshl_add_u32 v102, v103, 3, 0x80
	v_mov_b32_e32 v104, 0
.LBB79_175:                             ; =>This Inner Loop Header: Depth=1
	v_cmp_eq_u32_e32 vcc_lo, 1, v103
	v_cmp_eq_u32_e64 s1, 2, v103
	v_add_nc_u32_e32 v101, -1, v101
	v_dual_cndmask_b32 v105, v35, v37 :: v_dual_cndmask_b32 v106, v34, v36
	v_cmp_eq_u32_e32 vcc_lo, 3, v103
	s_delay_alu instid0(VALU_DEP_2) | instskip(NEXT) | instid1(VALU_DEP_3)
	v_cndmask_b32_e64 v105, v105, v39, s1
	v_cndmask_b32_e64 v106, v106, v38, s1
	v_cmp_eq_u32_e64 s1, 4, v103
	s_delay_alu instid0(VALU_DEP_2) | instskip(SKIP_1) | instid1(VALU_DEP_2)
	v_dual_cndmask_b32 v105, v105, v41 :: v_dual_cndmask_b32 v106, v106, v40
	v_cmp_eq_u32_e32 vcc_lo, 5, v103
	v_cndmask_b32_e64 v105, v105, v43, s1
	s_delay_alu instid0(VALU_DEP_3) | instskip(SKIP_1) | instid1(VALU_DEP_2)
	v_cndmask_b32_e64 v106, v106, v42, s1
	v_cmp_eq_u32_e64 s1, 6, v103
	v_dual_cndmask_b32 v105, v105, v45 :: v_dual_cndmask_b32 v106, v106, v44
	v_cmp_eq_u32_e32 vcc_lo, 7, v103
	s_delay_alu instid0(VALU_DEP_2) | instskip(NEXT) | instid1(VALU_DEP_3)
	v_cndmask_b32_e64 v105, v105, v47, s1
	v_cndmask_b32_e64 v106, v106, v46, s1
	v_cmp_eq_u32_e64 s1, 8, v103
	s_delay_alu instid0(VALU_DEP_2) | instskip(SKIP_1) | instid1(VALU_DEP_2)
	v_dual_cndmask_b32 v105, v105, v49 :: v_dual_cndmask_b32 v106, v106, v48
	v_cmp_eq_u32_e32 vcc_lo, 9, v103
	v_cndmask_b32_e64 v105, v105, v51, s1
	s_delay_alu instid0(VALU_DEP_3) | instskip(SKIP_1) | instid1(VALU_DEP_2)
	v_cndmask_b32_e64 v106, v106, v50, s1
	v_cmp_eq_u32_e64 s1, 10, v103
	v_dual_cndmask_b32 v105, v105, v53 :: v_dual_cndmask_b32 v106, v106, v52
	v_cmp_eq_u32_e32 vcc_lo, 11, v103
	s_delay_alu instid0(VALU_DEP_2) | instskip(NEXT) | instid1(VALU_DEP_3)
	v_cndmask_b32_e64 v105, v105, v55, s1
	v_cndmask_b32_e64 v106, v106, v54, s1
	v_cmp_eq_u32_e64 s1, 12, v103
	s_delay_alu instid0(VALU_DEP_2)
	v_dual_cndmask_b32 v107, v105, v57 :: v_dual_cndmask_b32 v108, v106, v56
	ds_load_b64 v[105:106], v102
	v_cmp_eq_u32_e32 vcc_lo, 13, v103
	v_add_nc_u32_e32 v102, 8, v102
	v_cndmask_b32_e64 v107, v107, v59, s1
	v_cndmask_b32_e64 v108, v108, v58, s1
	v_cmp_eq_u32_e64 s1, 14, v103
	s_delay_alu instid0(VALU_DEP_2) | instskip(SKIP_1) | instid1(VALU_DEP_2)
	v_dual_cndmask_b32 v107, v107, v61 :: v_dual_cndmask_b32 v108, v108, v60
	v_cmp_eq_u32_e32 vcc_lo, 15, v103
	v_cndmask_b32_e64 v107, v107, v63, s1
	s_delay_alu instid0(VALU_DEP_3) | instskip(SKIP_1) | instid1(VALU_DEP_1)
	v_cndmask_b32_e64 v109, v108, v62, s1
	v_add_co_u32 v103, s1, v103, 1
	v_add_co_ci_u32_e64 v104, s1, 0, v104, s1
	s_delay_alu instid0(VALU_DEP_3) | instskip(SKIP_2) | instid1(VALU_DEP_2)
	v_dual_cndmask_b32 v108, v107, v65 :: v_dual_cndmask_b32 v107, v109, v64
	v_cmp_eq_u32_e32 vcc_lo, 0, v101
	s_waitcnt lgkmcnt(0)
	v_fma_f64 v[98:99], v[107:108], v[105:106], v[98:99]
	s_or_b32 s3, vcc_lo, s3
	s_delay_alu instid0(SALU_CYCLE_1)
	s_and_not1_b32 exec_lo, exec_lo, s3
	s_cbranch_execnz .LBB79_175
; %bb.176:
	s_or_b32 exec_lo, exec_lo, s3
.LBB79_177:
	s_delay_alu instid0(SALU_CYCLE_1)
	s_or_b32 exec_lo, exec_lo, s2
.LBB79_178:
	s_delay_alu instid0(SALU_CYCLE_1)
	s_or_b32 exec_lo, exec_lo, s5
	v_mov_b32_e32 v40, 0
	ds_load_b64 v[40:41], v40 offset:24
	s_waitcnt lgkmcnt(0)
	v_mul_f64 v[40:41], v[98:99], v[40:41]
.LBB79_179:
	s_or_b32 exec_lo, exec_lo, s4
	v_cmp_lt_u32_e64 s1, 2, v0
	ds_store_b64 v100, v[38:39]
	s_waitcnt lgkmcnt(0)
	s_barrier
	buffer_gl0_inv
	s_and_saveexec_b32 s4, s1
	s_cbranch_execz .LBB79_195
; %bb.180:
	s_and_not1_b32 vcc_lo, exec_lo, s18
	s_cbranch_vccnz .LBB79_182
; %bb.181:
	v_cmp_eq_u32_e32 vcc_lo, 1, v0
	v_dual_cndmask_b32 v98, v35, v37 :: v_dual_cndmask_b32 v99, v34, v36
	v_cmp_eq_u32_e32 vcc_lo, 2, v0
	s_delay_alu instid0(VALU_DEP_2) | instskip(SKIP_1) | instid1(VALU_DEP_2)
	v_dual_cndmask_b32 v98, v98, v39 :: v_dual_cndmask_b32 v99, v99, v38
	v_cmp_eq_u32_e32 vcc_lo, 3, v0
	v_dual_cndmask_b32 v98, v98, v41 :: v_dual_cndmask_b32 v99, v99, v40
	v_cmp_eq_u32_e32 vcc_lo, 4, v0
	s_delay_alu instid0(VALU_DEP_2) | instskip(SKIP_1) | instid1(VALU_DEP_2)
	v_dual_cndmask_b32 v98, v98, v43 :: v_dual_cndmask_b32 v99, v99, v42
	;; [unrolled: 5-line block ×5, first 2 shown]
	v_cmp_eq_u32_e32 vcc_lo, 11, v0
	v_dual_cndmask_b32 v98, v98, v57 :: v_dual_cndmask_b32 v99, v99, v56
	v_cmp_eq_u32_e32 vcc_lo, 12, v0
	s_delay_alu instid0(VALU_DEP_2) | instskip(SKIP_4) | instid1(VALU_DEP_2)
	v_dual_cndmask_b32 v101, v98, v59 :: v_dual_cndmask_b32 v102, v99, v58
	v_cmp_eq_u32_e32 vcc_lo, 13, v0
	ds_load_b64 v[98:99], v100
	v_dual_cndmask_b32 v101, v101, v61 :: v_dual_cndmask_b32 v102, v102, v60
	v_cmp_eq_u32_e32 vcc_lo, 14, v0
	v_cndmask_b32_e32 v101, v101, v63, vcc_lo
	s_delay_alu instid0(VALU_DEP_3) | instskip(SKIP_1) | instid1(VALU_DEP_2)
	v_cndmask_b32_e32 v103, v102, v62, vcc_lo
	v_cmp_eq_u32_e32 vcc_lo, 15, v0
	v_dual_cndmask_b32 v102, v101, v65 :: v_dual_cndmask_b32 v101, v103, v64
	s_waitcnt lgkmcnt(0)
	s_delay_alu instid0(VALU_DEP_1)
	v_mul_f64 v[98:99], v[101:102], v[98:99]
	s_cbranch_execz .LBB79_183
	s_branch .LBB79_184
.LBB79_182:
                                        ; implicit-def: $vgpr98_vgpr99
.LBB79_183:
	ds_load_b64 v[98:99], v100
.LBB79_184:
	s_and_saveexec_b32 s5, s0
	s_cbranch_execz .LBB79_194
; %bb.185:
	v_add_nc_u32_e32 v102, -4, v0
	v_add_nc_u32_e32 v101, -3, v0
	s_delay_alu instid0(VALU_DEP_2)
	v_cmp_lt_u32_e32 vcc_lo, 6, v102
	v_mov_b32_e32 v102, 3
	s_and_saveexec_b32 s0, vcc_lo
	s_cbranch_execz .LBB79_189
; %bb.186:
	v_and_b32_e32 v102, -8, v101
	s_mov_b32 s6, 0
	s_mov_b64 s[2:3], 10
	s_movk_i32 s7, 0x98
	s_delay_alu instid0(VALU_DEP_1)
	v_sub_nc_u32_e32 v103, 0, v102
.LBB79_187:                             ; =>This Inner Loop Header: Depth=1
	v_mov_b32_e32 v102, s7
	s_lshl_b32 s8, s2, 1
	s_delay_alu instid0(SALU_CYCLE_1)
	s_add_i32 m0, s8, -13
	v_movrels_b32_e32 v113, v34
	ds_load_2addr_b64 v[104:107], v102 offset1:1
	ds_load_2addr_b64 v[108:111], v102 offset0:2 offset1:3
	s_add_i32 m0, s8, -14
	v_movrels_b32_e32 v112, v34
	s_add_i32 m0, s8, -11
	s_waitcnt lgkmcnt(1)
	s_delay_alu instid0(VALU_DEP_1) | instskip(SKIP_4) | instid1(VALU_DEP_1)
	v_fma_f64 v[98:99], v[112:113], v[104:105], v[98:99]
	v_movrels_b32_e32 v105, v34
	s_add_i32 m0, s8, -12
	v_movrels_b32_e32 v104, v34
	s_add_i32 m0, s8, -9
	v_fma_f64 v[98:99], v[104:105], v[106:107], v[98:99]
	v_movrels_b32_e32 v105, v34
	s_add_i32 m0, s8, -10
	v_movrels_b32_e32 v104, v34
	s_add_i32 m0, s8, -7
	s_waitcnt lgkmcnt(0)
	s_delay_alu instid0(VALU_DEP_1)
	v_fma_f64 v[98:99], v[104:105], v[108:109], v[98:99]
	v_movrels_b32_e32 v105, v34
	s_add_i32 m0, s8, -8
	v_movrels_b32_e32 v104, v34
	s_add_i32 m0, s8, -5
	;; [unrolled: 2-line block ×4, first 2 shown]
	v_fma_f64 v[98:99], v[104:105], v[110:111], v[98:99]
	ds_load_2addr_b64 v[104:107], v102 offset0:4 offset1:5
	ds_load_2addr_b64 v[108:111], v102 offset0:6 offset1:7
	s_waitcnt lgkmcnt(1)
	v_fma_f64 v[98:99], v[112:113], v[104:105], v[98:99]
	v_movrels_b32_e32 v105, v34
	s_add_i32 m0, s8, -4
	v_movrels_b32_e32 v104, v34
	s_add_i32 m0, s8, -1
	s_delay_alu instid0(VALU_DEP_1)
	v_fma_f64 v[98:99], v[104:105], v[106:107], v[98:99]
	v_movrels_b32_e32 v105, v34
	s_add_i32 m0, s8, -2
	s_add_u32 s2, s2, 8
	v_movrels_b32_e32 v104, v34
	s_mov_b32 m0, s8
	v_add_nc_u32_e32 v102, s2, v103
	s_addc_u32 s3, s3, 0
	s_add_i32 s8, s2, -7
	s_add_i32 s7, s7, 64
	s_delay_alu instid0(VALU_DEP_1)
	v_cmp_eq_u32_e32 vcc_lo, 10, v102
	v_mov_b32_e32 v102, s8
	s_or_b32 s6, vcc_lo, s6
	s_waitcnt lgkmcnt(0)
	v_fma_f64 v[98:99], v[104:105], v[108:109], v[98:99]
	v_movrels_b32_e32 v105, v35
	v_movrels_b32_e32 v104, v34
	s_delay_alu instid0(VALU_DEP_1)
	v_fma_f64 v[98:99], v[104:105], v[110:111], v[98:99]
	s_and_not1_b32 exec_lo, exec_lo, s6
	s_cbranch_execnz .LBB79_187
; %bb.188:
	s_or_b32 exec_lo, exec_lo, s6
.LBB79_189:
	s_delay_alu instid0(SALU_CYCLE_1) | instskip(SKIP_3) | instid1(VALU_DEP_1)
	s_or_b32 exec_lo, exec_lo, s0
	v_and_b32_e32 v101, 7, v101
	s_mov_b32 s3, 0
	s_mov_b32 s2, exec_lo
	v_cmpx_ne_u32_e32 0, v101
	s_cbranch_execz .LBB79_193
; %bb.190:
	v_lshl_add_u32 v103, v102, 3, 0x80
	v_mov_b32_e32 v104, 0
.LBB79_191:                             ; =>This Inner Loop Header: Depth=1
	v_cmp_eq_u32_e32 vcc_lo, 1, v102
	v_cmp_eq_u32_e64 s0, 2, v102
	v_add_nc_u32_e32 v101, -1, v101
	v_dual_cndmask_b32 v105, v35, v37 :: v_dual_cndmask_b32 v106, v34, v36
	v_cmp_eq_u32_e32 vcc_lo, 3, v102
	s_delay_alu instid0(VALU_DEP_2) | instskip(NEXT) | instid1(VALU_DEP_3)
	v_cndmask_b32_e64 v105, v105, v39, s0
	v_cndmask_b32_e64 v106, v106, v38, s0
	v_cmp_eq_u32_e64 s0, 4, v102
	s_delay_alu instid0(VALU_DEP_2) | instskip(SKIP_1) | instid1(VALU_DEP_2)
	v_dual_cndmask_b32 v105, v105, v41 :: v_dual_cndmask_b32 v106, v106, v40
	v_cmp_eq_u32_e32 vcc_lo, 5, v102
	v_cndmask_b32_e64 v105, v105, v43, s0
	s_delay_alu instid0(VALU_DEP_3) | instskip(SKIP_1) | instid1(VALU_DEP_2)
	v_cndmask_b32_e64 v106, v106, v42, s0
	v_cmp_eq_u32_e64 s0, 6, v102
	v_dual_cndmask_b32 v105, v105, v45 :: v_dual_cndmask_b32 v106, v106, v44
	v_cmp_eq_u32_e32 vcc_lo, 7, v102
	s_delay_alu instid0(VALU_DEP_2) | instskip(NEXT) | instid1(VALU_DEP_3)
	v_cndmask_b32_e64 v105, v105, v47, s0
	v_cndmask_b32_e64 v106, v106, v46, s0
	v_cmp_eq_u32_e64 s0, 8, v102
	s_delay_alu instid0(VALU_DEP_2) | instskip(SKIP_1) | instid1(VALU_DEP_2)
	v_dual_cndmask_b32 v105, v105, v49 :: v_dual_cndmask_b32 v106, v106, v48
	v_cmp_eq_u32_e32 vcc_lo, 9, v102
	v_cndmask_b32_e64 v105, v105, v51, s0
	s_delay_alu instid0(VALU_DEP_3) | instskip(SKIP_1) | instid1(VALU_DEP_2)
	v_cndmask_b32_e64 v106, v106, v50, s0
	v_cmp_eq_u32_e64 s0, 10, v102
	v_dual_cndmask_b32 v105, v105, v53 :: v_dual_cndmask_b32 v106, v106, v52
	v_cmp_eq_u32_e32 vcc_lo, 11, v102
	s_delay_alu instid0(VALU_DEP_2) | instskip(NEXT) | instid1(VALU_DEP_3)
	v_cndmask_b32_e64 v105, v105, v55, s0
	v_cndmask_b32_e64 v106, v106, v54, s0
	v_cmp_eq_u32_e64 s0, 12, v102
	s_delay_alu instid0(VALU_DEP_2)
	v_dual_cndmask_b32 v107, v105, v57 :: v_dual_cndmask_b32 v108, v106, v56
	ds_load_b64 v[105:106], v103
	v_cmp_eq_u32_e32 vcc_lo, 13, v102
	v_add_nc_u32_e32 v103, 8, v103
	v_cndmask_b32_e64 v107, v107, v59, s0
	v_cndmask_b32_e64 v108, v108, v58, s0
	v_cmp_eq_u32_e64 s0, 14, v102
	s_delay_alu instid0(VALU_DEP_2) | instskip(SKIP_1) | instid1(VALU_DEP_2)
	v_dual_cndmask_b32 v107, v107, v61 :: v_dual_cndmask_b32 v108, v108, v60
	v_cmp_eq_u32_e32 vcc_lo, 15, v102
	v_cndmask_b32_e64 v107, v107, v63, s0
	s_delay_alu instid0(VALU_DEP_3) | instskip(SKIP_1) | instid1(VALU_DEP_1)
	v_cndmask_b32_e64 v109, v108, v62, s0
	v_add_co_u32 v102, s0, v102, 1
	v_add_co_ci_u32_e64 v104, s0, 0, v104, s0
	s_delay_alu instid0(VALU_DEP_3) | instskip(SKIP_2) | instid1(VALU_DEP_2)
	v_dual_cndmask_b32 v108, v107, v65 :: v_dual_cndmask_b32 v107, v109, v64
	v_cmp_eq_u32_e32 vcc_lo, 0, v101
	s_waitcnt lgkmcnt(0)
	v_fma_f64 v[98:99], v[107:108], v[105:106], v[98:99]
	s_or_b32 s3, vcc_lo, s3
	s_delay_alu instid0(SALU_CYCLE_1)
	s_and_not1_b32 exec_lo, exec_lo, s3
	s_cbranch_execnz .LBB79_191
; %bb.192:
	s_or_b32 exec_lo, exec_lo, s3
.LBB79_193:
	s_delay_alu instid0(SALU_CYCLE_1)
	s_or_b32 exec_lo, exec_lo, s2
.LBB79_194:
	s_delay_alu instid0(SALU_CYCLE_1)
	s_or_b32 exec_lo, exec_lo, s5
	v_mov_b32_e32 v38, 0
	ds_load_b64 v[38:39], v38 offset:16
	s_waitcnt lgkmcnt(0)
	v_mul_f64 v[38:39], v[98:99], v[38:39]
.LBB79_195:
	s_or_b32 exec_lo, exec_lo, s4
	v_cmp_lt_u32_e64 s0, 1, v0
	ds_store_b64 v100, v[36:37]
	s_waitcnt lgkmcnt(0)
	s_barrier
	buffer_gl0_inv
	s_and_saveexec_b32 s4, s0
	s_cbranch_execz .LBB79_211
; %bb.196:
	s_and_not1_b32 vcc_lo, exec_lo, s18
	s_cbranch_vccnz .LBB79_198
; %bb.197:
	v_cmp_eq_u32_e32 vcc_lo, 1, v0
	v_dual_cndmask_b32 v98, v35, v37 :: v_dual_cndmask_b32 v99, v34, v36
	v_cmp_eq_u32_e32 vcc_lo, 2, v0
	s_delay_alu instid0(VALU_DEP_2) | instskip(SKIP_1) | instid1(VALU_DEP_2)
	v_dual_cndmask_b32 v98, v98, v39 :: v_dual_cndmask_b32 v99, v99, v38
	v_cmp_eq_u32_e32 vcc_lo, 3, v0
	v_dual_cndmask_b32 v98, v98, v41 :: v_dual_cndmask_b32 v99, v99, v40
	v_cmp_eq_u32_e32 vcc_lo, 4, v0
	s_delay_alu instid0(VALU_DEP_2) | instskip(SKIP_1) | instid1(VALU_DEP_2)
	v_dual_cndmask_b32 v98, v98, v43 :: v_dual_cndmask_b32 v99, v99, v42
	;; [unrolled: 5-line block ×5, first 2 shown]
	v_cmp_eq_u32_e32 vcc_lo, 11, v0
	v_dual_cndmask_b32 v98, v98, v57 :: v_dual_cndmask_b32 v99, v99, v56
	v_cmp_eq_u32_e32 vcc_lo, 12, v0
	s_delay_alu instid0(VALU_DEP_2) | instskip(SKIP_4) | instid1(VALU_DEP_2)
	v_dual_cndmask_b32 v101, v98, v59 :: v_dual_cndmask_b32 v102, v99, v58
	v_cmp_eq_u32_e32 vcc_lo, 13, v0
	ds_load_b64 v[98:99], v100
	v_dual_cndmask_b32 v101, v101, v61 :: v_dual_cndmask_b32 v102, v102, v60
	v_cmp_eq_u32_e32 vcc_lo, 14, v0
	v_cndmask_b32_e32 v101, v101, v63, vcc_lo
	s_delay_alu instid0(VALU_DEP_3) | instskip(SKIP_1) | instid1(VALU_DEP_2)
	v_cndmask_b32_e32 v103, v102, v62, vcc_lo
	v_cmp_eq_u32_e32 vcc_lo, 15, v0
	v_dual_cndmask_b32 v102, v101, v65 :: v_dual_cndmask_b32 v101, v103, v64
	s_waitcnt lgkmcnt(0)
	s_delay_alu instid0(VALU_DEP_1)
	v_mul_f64 v[98:99], v[101:102], v[98:99]
	s_cbranch_execz .LBB79_199
	s_branch .LBB79_200
.LBB79_198:
                                        ; implicit-def: $vgpr98_vgpr99
.LBB79_199:
	ds_load_b64 v[98:99], v100
.LBB79_200:
	s_and_saveexec_b32 s5, s1
	s_cbranch_execz .LBB79_210
; %bb.201:
	v_add_nc_u32_e32 v102, -3, v0
	v_add_nc_u32_e32 v101, -2, v0
	s_delay_alu instid0(VALU_DEP_2)
	v_cmp_lt_u32_e32 vcc_lo, 6, v102
	v_mov_b32_e32 v102, 2
	s_and_saveexec_b32 s1, vcc_lo
	s_cbranch_execz .LBB79_205
; %bb.202:
	v_and_b32_e32 v102, -8, v101
	s_mov_b32 s6, 0
	s_mov_b64 s[2:3], 9
	s_movk_i32 s7, 0x90
	s_delay_alu instid0(VALU_DEP_1)
	v_sub_nc_u32_e32 v103, 0, v102
.LBB79_203:                             ; =>This Inner Loop Header: Depth=1
	v_mov_b32_e32 v102, s7
	s_lshl_b32 s8, s2, 1
	s_delay_alu instid0(SALU_CYCLE_1)
	s_add_i32 m0, s8, -13
	v_movrels_b32_e32 v113, v34
	ds_load_b128 v[104:107], v102
	ds_load_b128 v[108:111], v102 offset:16
	s_add_i32 m0, s8, -14
	v_movrels_b32_e32 v112, v34
	s_add_i32 m0, s8, -11
	s_waitcnt lgkmcnt(1)
	s_delay_alu instid0(VALU_DEP_1) | instskip(SKIP_4) | instid1(VALU_DEP_1)
	v_fma_f64 v[98:99], v[112:113], v[104:105], v[98:99]
	v_movrels_b32_e32 v105, v34
	s_add_i32 m0, s8, -12
	v_movrels_b32_e32 v104, v34
	s_add_i32 m0, s8, -9
	v_fma_f64 v[98:99], v[104:105], v[106:107], v[98:99]
	v_movrels_b32_e32 v105, v34
	s_add_i32 m0, s8, -10
	v_movrels_b32_e32 v104, v34
	s_add_i32 m0, s8, -7
	s_waitcnt lgkmcnt(0)
	s_delay_alu instid0(VALU_DEP_1)
	v_fma_f64 v[98:99], v[104:105], v[108:109], v[98:99]
	v_movrels_b32_e32 v105, v34
	s_add_i32 m0, s8, -8
	v_movrels_b32_e32 v104, v34
	s_add_i32 m0, s8, -5
	;; [unrolled: 2-line block ×4, first 2 shown]
	v_fma_f64 v[98:99], v[104:105], v[110:111], v[98:99]
	ds_load_b128 v[104:107], v102 offset:32
	ds_load_b128 v[108:111], v102 offset:48
	s_waitcnt lgkmcnt(1)
	v_fma_f64 v[98:99], v[112:113], v[104:105], v[98:99]
	v_movrels_b32_e32 v105, v34
	s_add_i32 m0, s8, -4
	v_movrels_b32_e32 v104, v34
	s_add_i32 m0, s8, -1
	s_delay_alu instid0(VALU_DEP_1)
	v_fma_f64 v[98:99], v[104:105], v[106:107], v[98:99]
	v_movrels_b32_e32 v105, v34
	s_add_i32 m0, s8, -2
	s_add_u32 s2, s2, 8
	v_movrels_b32_e32 v104, v34
	s_mov_b32 m0, s8
	v_add_nc_u32_e32 v102, s2, v103
	s_addc_u32 s3, s3, 0
	s_add_i32 s8, s2, -7
	s_add_i32 s7, s7, 64
	s_delay_alu instid0(VALU_DEP_1)
	v_cmp_eq_u32_e32 vcc_lo, 9, v102
	v_mov_b32_e32 v102, s8
	s_or_b32 s6, vcc_lo, s6
	s_waitcnt lgkmcnt(0)
	v_fma_f64 v[98:99], v[104:105], v[108:109], v[98:99]
	v_movrels_b32_e32 v105, v35
	v_movrels_b32_e32 v104, v34
	s_delay_alu instid0(VALU_DEP_1)
	v_fma_f64 v[98:99], v[104:105], v[110:111], v[98:99]
	s_and_not1_b32 exec_lo, exec_lo, s6
	s_cbranch_execnz .LBB79_203
; %bb.204:
	s_or_b32 exec_lo, exec_lo, s6
.LBB79_205:
	s_delay_alu instid0(SALU_CYCLE_1) | instskip(SKIP_3) | instid1(VALU_DEP_1)
	s_or_b32 exec_lo, exec_lo, s1
	v_and_b32_e32 v101, 7, v101
	s_mov_b32 s3, 0
	s_mov_b32 s2, exec_lo
	v_cmpx_ne_u32_e32 0, v101
	s_cbranch_execz .LBB79_209
; %bb.206:
	v_lshl_add_u32 v103, v102, 3, 0x80
	v_mov_b32_e32 v104, 0
.LBB79_207:                             ; =>This Inner Loop Header: Depth=1
	v_cmp_eq_u32_e32 vcc_lo, 1, v102
	v_cmp_eq_u32_e64 s1, 2, v102
	v_add_nc_u32_e32 v101, -1, v101
	v_dual_cndmask_b32 v105, v35, v37 :: v_dual_cndmask_b32 v106, v34, v36
	v_cmp_eq_u32_e32 vcc_lo, 3, v102
	s_delay_alu instid0(VALU_DEP_2) | instskip(NEXT) | instid1(VALU_DEP_3)
	v_cndmask_b32_e64 v105, v105, v39, s1
	v_cndmask_b32_e64 v106, v106, v38, s1
	v_cmp_eq_u32_e64 s1, 4, v102
	s_delay_alu instid0(VALU_DEP_2) | instskip(SKIP_1) | instid1(VALU_DEP_2)
	v_dual_cndmask_b32 v105, v105, v41 :: v_dual_cndmask_b32 v106, v106, v40
	v_cmp_eq_u32_e32 vcc_lo, 5, v102
	v_cndmask_b32_e64 v105, v105, v43, s1
	s_delay_alu instid0(VALU_DEP_3) | instskip(SKIP_1) | instid1(VALU_DEP_2)
	v_cndmask_b32_e64 v106, v106, v42, s1
	v_cmp_eq_u32_e64 s1, 6, v102
	v_dual_cndmask_b32 v105, v105, v45 :: v_dual_cndmask_b32 v106, v106, v44
	v_cmp_eq_u32_e32 vcc_lo, 7, v102
	s_delay_alu instid0(VALU_DEP_2) | instskip(NEXT) | instid1(VALU_DEP_3)
	v_cndmask_b32_e64 v105, v105, v47, s1
	v_cndmask_b32_e64 v106, v106, v46, s1
	v_cmp_eq_u32_e64 s1, 8, v102
	s_delay_alu instid0(VALU_DEP_2) | instskip(SKIP_1) | instid1(VALU_DEP_2)
	v_dual_cndmask_b32 v105, v105, v49 :: v_dual_cndmask_b32 v106, v106, v48
	v_cmp_eq_u32_e32 vcc_lo, 9, v102
	v_cndmask_b32_e64 v105, v105, v51, s1
	s_delay_alu instid0(VALU_DEP_3) | instskip(SKIP_1) | instid1(VALU_DEP_2)
	v_cndmask_b32_e64 v106, v106, v50, s1
	v_cmp_eq_u32_e64 s1, 10, v102
	v_dual_cndmask_b32 v105, v105, v53 :: v_dual_cndmask_b32 v106, v106, v52
	v_cmp_eq_u32_e32 vcc_lo, 11, v102
	s_delay_alu instid0(VALU_DEP_2) | instskip(NEXT) | instid1(VALU_DEP_3)
	v_cndmask_b32_e64 v105, v105, v55, s1
	v_cndmask_b32_e64 v106, v106, v54, s1
	v_cmp_eq_u32_e64 s1, 12, v102
	s_delay_alu instid0(VALU_DEP_2)
	v_dual_cndmask_b32 v107, v105, v57 :: v_dual_cndmask_b32 v108, v106, v56
	ds_load_b64 v[105:106], v103
	v_cmp_eq_u32_e32 vcc_lo, 13, v102
	v_add_nc_u32_e32 v103, 8, v103
	v_cndmask_b32_e64 v107, v107, v59, s1
	v_cndmask_b32_e64 v108, v108, v58, s1
	v_cmp_eq_u32_e64 s1, 14, v102
	s_delay_alu instid0(VALU_DEP_2) | instskip(SKIP_1) | instid1(VALU_DEP_2)
	v_dual_cndmask_b32 v107, v107, v61 :: v_dual_cndmask_b32 v108, v108, v60
	v_cmp_eq_u32_e32 vcc_lo, 15, v102
	v_cndmask_b32_e64 v107, v107, v63, s1
	s_delay_alu instid0(VALU_DEP_3) | instskip(SKIP_1) | instid1(VALU_DEP_1)
	v_cndmask_b32_e64 v109, v108, v62, s1
	v_add_co_u32 v102, s1, v102, 1
	v_add_co_ci_u32_e64 v104, s1, 0, v104, s1
	s_delay_alu instid0(VALU_DEP_3) | instskip(SKIP_2) | instid1(VALU_DEP_2)
	v_dual_cndmask_b32 v108, v107, v65 :: v_dual_cndmask_b32 v107, v109, v64
	v_cmp_eq_u32_e32 vcc_lo, 0, v101
	s_waitcnt lgkmcnt(0)
	v_fma_f64 v[98:99], v[107:108], v[105:106], v[98:99]
	s_or_b32 s3, vcc_lo, s3
	s_delay_alu instid0(SALU_CYCLE_1)
	s_and_not1_b32 exec_lo, exec_lo, s3
	s_cbranch_execnz .LBB79_207
; %bb.208:
	s_or_b32 exec_lo, exec_lo, s3
.LBB79_209:
	s_delay_alu instid0(SALU_CYCLE_1)
	s_or_b32 exec_lo, exec_lo, s2
.LBB79_210:
	s_delay_alu instid0(SALU_CYCLE_1)
	s_or_b32 exec_lo, exec_lo, s5
	v_mov_b32_e32 v36, 0
	ds_load_b64 v[36:37], v36 offset:8
	s_waitcnt lgkmcnt(0)
	v_mul_f64 v[36:37], v[98:99], v[36:37]
.LBB79_211:
	s_or_b32 exec_lo, exec_lo, s4
	s_mov_b32 s2, 0
	s_mov_b32 s3, exec_lo
	ds_store_b64 v100, v[34:35]
	s_waitcnt lgkmcnt(0)
	s_barrier
	buffer_gl0_inv
	v_cmpx_ne_u32_e32 0, v0
	s_cbranch_execz .LBB79_227
; %bb.212:
	s_and_not1_b32 vcc_lo, exec_lo, s18
	s_cbranch_vccnz .LBB79_214
; %bb.213:
	v_cmp_eq_u32_e32 vcc_lo, 1, v0
	v_dual_cndmask_b32 v98, v35, v37 :: v_dual_cndmask_b32 v99, v34, v36
	v_cmp_eq_u32_e32 vcc_lo, 2, v0
	s_delay_alu instid0(VALU_DEP_2) | instskip(SKIP_1) | instid1(VALU_DEP_2)
	v_dual_cndmask_b32 v98, v98, v39 :: v_dual_cndmask_b32 v99, v99, v38
	v_cmp_eq_u32_e32 vcc_lo, 3, v0
	v_dual_cndmask_b32 v98, v98, v41 :: v_dual_cndmask_b32 v99, v99, v40
	v_cmp_eq_u32_e32 vcc_lo, 4, v0
	s_delay_alu instid0(VALU_DEP_2) | instskip(SKIP_1) | instid1(VALU_DEP_2)
	v_dual_cndmask_b32 v98, v98, v43 :: v_dual_cndmask_b32 v99, v99, v42
	;; [unrolled: 5-line block ×5, first 2 shown]
	v_cmp_eq_u32_e32 vcc_lo, 11, v0
	v_dual_cndmask_b32 v98, v98, v57 :: v_dual_cndmask_b32 v99, v99, v56
	v_cmp_eq_u32_e32 vcc_lo, 12, v0
	s_delay_alu instid0(VALU_DEP_2) | instskip(SKIP_4) | instid1(VALU_DEP_2)
	v_dual_cndmask_b32 v101, v98, v59 :: v_dual_cndmask_b32 v102, v99, v58
	v_cmp_eq_u32_e32 vcc_lo, 13, v0
	ds_load_b64 v[98:99], v100
	v_dual_cndmask_b32 v101, v101, v61 :: v_dual_cndmask_b32 v102, v102, v60
	v_cmp_eq_u32_e32 vcc_lo, 14, v0
	v_cndmask_b32_e32 v101, v101, v63, vcc_lo
	s_delay_alu instid0(VALU_DEP_3) | instskip(SKIP_1) | instid1(VALU_DEP_2)
	v_cndmask_b32_e32 v103, v102, v62, vcc_lo
	v_cmp_eq_u32_e32 vcc_lo, 15, v0
	v_dual_cndmask_b32 v102, v101, v65 :: v_dual_cndmask_b32 v101, v103, v64
	s_waitcnt lgkmcnt(0)
	s_delay_alu instid0(VALU_DEP_1)
	v_mul_f64 v[98:99], v[101:102], v[98:99]
	s_cbranch_execz .LBB79_215
	s_branch .LBB79_216
.LBB79_214:
                                        ; implicit-def: $vgpr98_vgpr99
.LBB79_215:
	ds_load_b64 v[98:99], v100
.LBB79_216:
	s_and_saveexec_b32 s4, s0
	s_cbranch_execz .LBB79_226
; %bb.217:
	v_add_nc_u32_e32 v102, -2, v0
	v_add_nc_u32_e32 v101, -1, v0
	s_delay_alu instid0(VALU_DEP_2)
	v_cmp_lt_u32_e32 vcc_lo, 6, v102
	v_mov_b32_e32 v102, 1
	s_and_saveexec_b32 s5, vcc_lo
	s_cbranch_execz .LBB79_221
; %bb.218:
	v_and_b32_e32 v102, -8, v101
	s_mov_b32 s6, 0
	s_mov_b64 s[0:1], 8
	s_movk_i32 s7, 0x88
	s_delay_alu instid0(VALU_DEP_1)
	v_sub_nc_u32_e32 v103, 0, v102
.LBB79_219:                             ; =>This Inner Loop Header: Depth=1
	v_mov_b32_e32 v102, s7
	s_lshl_b32 s8, s0, 1
	s_delay_alu instid0(SALU_CYCLE_1)
	s_add_i32 m0, s8, -13
	v_movrels_b32_e32 v113, v34
	ds_load_2addr_b64 v[104:107], v102 offset1:1
	ds_load_2addr_b64 v[108:111], v102 offset0:2 offset1:3
	s_add_i32 m0, s8, -14
	v_movrels_b32_e32 v112, v34
	s_add_i32 m0, s8, -11
	s_waitcnt lgkmcnt(1)
	s_delay_alu instid0(VALU_DEP_1) | instskip(SKIP_4) | instid1(VALU_DEP_1)
	v_fma_f64 v[98:99], v[112:113], v[104:105], v[98:99]
	v_movrels_b32_e32 v105, v34
	s_add_i32 m0, s8, -12
	v_movrels_b32_e32 v104, v34
	s_add_i32 m0, s8, -9
	v_fma_f64 v[98:99], v[104:105], v[106:107], v[98:99]
	v_movrels_b32_e32 v105, v34
	s_add_i32 m0, s8, -10
	v_movrels_b32_e32 v104, v34
	s_add_i32 m0, s8, -7
	s_waitcnt lgkmcnt(0)
	s_delay_alu instid0(VALU_DEP_1)
	v_fma_f64 v[98:99], v[104:105], v[108:109], v[98:99]
	v_movrels_b32_e32 v105, v34
	s_add_i32 m0, s8, -8
	v_movrels_b32_e32 v104, v34
	s_add_i32 m0, s8, -5
	;; [unrolled: 2-line block ×4, first 2 shown]
	v_fma_f64 v[98:99], v[104:105], v[110:111], v[98:99]
	ds_load_2addr_b64 v[104:107], v102 offset0:4 offset1:5
	ds_load_2addr_b64 v[108:111], v102 offset0:6 offset1:7
	s_waitcnt lgkmcnt(1)
	v_fma_f64 v[98:99], v[112:113], v[104:105], v[98:99]
	v_movrels_b32_e32 v105, v34
	s_add_i32 m0, s8, -4
	v_movrels_b32_e32 v104, v34
	s_add_i32 m0, s8, -1
	s_delay_alu instid0(VALU_DEP_1)
	v_fma_f64 v[98:99], v[104:105], v[106:107], v[98:99]
	v_movrels_b32_e32 v105, v34
	s_add_i32 m0, s8, -2
	s_add_u32 s0, s0, 8
	v_movrels_b32_e32 v104, v34
	s_mov_b32 m0, s8
	v_add_nc_u32_e32 v102, s0, v103
	s_addc_u32 s1, s1, 0
	s_add_i32 s8, s0, -7
	s_add_i32 s7, s7, 64
	s_delay_alu instid0(VALU_DEP_1)
	v_cmp_eq_u32_e32 vcc_lo, 8, v102
	v_mov_b32_e32 v102, s8
	s_or_b32 s6, vcc_lo, s6
	s_waitcnt lgkmcnt(0)
	v_fma_f64 v[98:99], v[104:105], v[108:109], v[98:99]
	v_movrels_b32_e32 v105, v35
	v_movrels_b32_e32 v104, v34
	s_delay_alu instid0(VALU_DEP_1)
	v_fma_f64 v[98:99], v[104:105], v[110:111], v[98:99]
	s_and_not1_b32 exec_lo, exec_lo, s6
	s_cbranch_execnz .LBB79_219
; %bb.220:
	s_or_b32 exec_lo, exec_lo, s6
.LBB79_221:
	s_delay_alu instid0(SALU_CYCLE_1) | instskip(SKIP_3) | instid1(VALU_DEP_1)
	s_or_b32 exec_lo, exec_lo, s5
	v_and_b32_e32 v101, 7, v101
	s_mov_b32 s5, 0
	s_mov_b32 s1, exec_lo
	v_cmpx_ne_u32_e32 0, v101
	s_cbranch_execz .LBB79_225
; %bb.222:
	v_lshl_add_u32 v103, v102, 3, 0x80
	v_mov_b32_e32 v104, 0
.LBB79_223:                             ; =>This Inner Loop Header: Depth=1
	v_cmp_eq_u32_e32 vcc_lo, 1, v102
	v_cmp_eq_u32_e64 s0, 2, v102
	v_add_nc_u32_e32 v101, -1, v101
	v_dual_cndmask_b32 v105, v35, v37 :: v_dual_cndmask_b32 v106, v34, v36
	v_cmp_eq_u32_e32 vcc_lo, 3, v102
	s_delay_alu instid0(VALU_DEP_2) | instskip(NEXT) | instid1(VALU_DEP_3)
	v_cndmask_b32_e64 v105, v105, v39, s0
	v_cndmask_b32_e64 v106, v106, v38, s0
	v_cmp_eq_u32_e64 s0, 4, v102
	s_delay_alu instid0(VALU_DEP_2) | instskip(SKIP_1) | instid1(VALU_DEP_2)
	v_dual_cndmask_b32 v105, v105, v41 :: v_dual_cndmask_b32 v106, v106, v40
	v_cmp_eq_u32_e32 vcc_lo, 5, v102
	v_cndmask_b32_e64 v105, v105, v43, s0
	s_delay_alu instid0(VALU_DEP_3) | instskip(SKIP_1) | instid1(VALU_DEP_2)
	v_cndmask_b32_e64 v106, v106, v42, s0
	v_cmp_eq_u32_e64 s0, 6, v102
	v_dual_cndmask_b32 v105, v105, v45 :: v_dual_cndmask_b32 v106, v106, v44
	v_cmp_eq_u32_e32 vcc_lo, 7, v102
	s_delay_alu instid0(VALU_DEP_2) | instskip(NEXT) | instid1(VALU_DEP_3)
	v_cndmask_b32_e64 v105, v105, v47, s0
	v_cndmask_b32_e64 v106, v106, v46, s0
	v_cmp_eq_u32_e64 s0, 8, v102
	s_delay_alu instid0(VALU_DEP_2) | instskip(SKIP_1) | instid1(VALU_DEP_2)
	v_dual_cndmask_b32 v105, v105, v49 :: v_dual_cndmask_b32 v106, v106, v48
	v_cmp_eq_u32_e32 vcc_lo, 9, v102
	v_cndmask_b32_e64 v105, v105, v51, s0
	s_delay_alu instid0(VALU_DEP_3) | instskip(SKIP_1) | instid1(VALU_DEP_2)
	v_cndmask_b32_e64 v106, v106, v50, s0
	v_cmp_eq_u32_e64 s0, 10, v102
	v_dual_cndmask_b32 v105, v105, v53 :: v_dual_cndmask_b32 v106, v106, v52
	v_cmp_eq_u32_e32 vcc_lo, 11, v102
	s_delay_alu instid0(VALU_DEP_2) | instskip(NEXT) | instid1(VALU_DEP_3)
	v_cndmask_b32_e64 v105, v105, v55, s0
	v_cndmask_b32_e64 v106, v106, v54, s0
	v_cmp_eq_u32_e64 s0, 12, v102
	s_delay_alu instid0(VALU_DEP_2)
	v_dual_cndmask_b32 v107, v105, v57 :: v_dual_cndmask_b32 v108, v106, v56
	ds_load_b64 v[105:106], v103
	v_cmp_eq_u32_e32 vcc_lo, 13, v102
	v_add_nc_u32_e32 v103, 8, v103
	v_cndmask_b32_e64 v107, v107, v59, s0
	v_cndmask_b32_e64 v108, v108, v58, s0
	v_cmp_eq_u32_e64 s0, 14, v102
	s_delay_alu instid0(VALU_DEP_2) | instskip(SKIP_1) | instid1(VALU_DEP_2)
	v_dual_cndmask_b32 v107, v107, v61 :: v_dual_cndmask_b32 v108, v108, v60
	v_cmp_eq_u32_e32 vcc_lo, 15, v102
	v_cndmask_b32_e64 v107, v107, v63, s0
	s_delay_alu instid0(VALU_DEP_3) | instskip(SKIP_1) | instid1(VALU_DEP_1)
	v_cndmask_b32_e64 v109, v108, v62, s0
	v_add_co_u32 v102, s0, v102, 1
	v_add_co_ci_u32_e64 v104, s0, 0, v104, s0
	s_delay_alu instid0(VALU_DEP_3) | instskip(SKIP_2) | instid1(VALU_DEP_2)
	v_dual_cndmask_b32 v108, v107, v65 :: v_dual_cndmask_b32 v107, v109, v64
	v_cmp_eq_u32_e32 vcc_lo, 0, v101
	s_waitcnt lgkmcnt(0)
	v_fma_f64 v[98:99], v[107:108], v[105:106], v[98:99]
	s_or_b32 s5, vcc_lo, s5
	s_delay_alu instid0(SALU_CYCLE_1)
	s_and_not1_b32 exec_lo, exec_lo, s5
	s_cbranch_execnz .LBB79_223
; %bb.224:
	s_or_b32 exec_lo, exec_lo, s5
.LBB79_225:
	s_delay_alu instid0(SALU_CYCLE_1)
	s_or_b32 exec_lo, exec_lo, s1
.LBB79_226:
	s_delay_alu instid0(SALU_CYCLE_1)
	s_or_b32 exec_lo, exec_lo, s4
	v_mov_b32_e32 v34, 0
	ds_load_b64 v[34:35], v34
	s_waitcnt lgkmcnt(0)
	v_mul_f64 v[34:35], v[98:99], v[34:35]
.LBB79_227:
	s_or_b32 exec_lo, exec_lo, s3
	s_delay_alu instid0(SALU_CYCLE_1)
	s_and_b32 vcc_lo, exec_lo, s2
	s_cbranch_vccz .LBB79_385
.LBB79_228:
	v_cmp_eq_u32_e64 s0, 0, v0
	s_waitcnt vmcnt(15)
	ds_store_b64 v100, v[4:5]
	s_waitcnt vmcnt(0) lgkmcnt(0)
	s_barrier
	buffer_gl0_inv
	s_and_saveexec_b32 s1, s0
	s_cbranch_execz .LBB79_234
; %bb.229:
	s_and_b32 vcc_lo, exec_lo, s18
	s_cbranch_vccz .LBB79_231
; %bb.230:
	v_cmp_eq_u32_e32 vcc_lo, 1, v0
	v_dual_cndmask_b32 v5, v3, v5 :: v_dual_cndmask_b32 v4, v2, v4
	v_cmp_eq_u32_e32 vcc_lo, 2, v0
	s_delay_alu instid0(VALU_DEP_2) | instskip(SKIP_1) | instid1(VALU_DEP_2)
	v_dual_cndmask_b32 v5, v5, v7 :: v_dual_cndmask_b32 v4, v4, v6
	v_cmp_eq_u32_e32 vcc_lo, 3, v0
	v_dual_cndmask_b32 v5, v5, v9 :: v_dual_cndmask_b32 v4, v4, v8
	v_cmp_eq_u32_e32 vcc_lo, 4, v0
	s_delay_alu instid0(VALU_DEP_2) | instskip(SKIP_1) | instid1(VALU_DEP_2)
	v_dual_cndmask_b32 v5, v5, v11 :: v_dual_cndmask_b32 v4, v4, v10
	v_cmp_eq_u32_e32 vcc_lo, 5, v0
	v_dual_cndmask_b32 v5, v5, v13 :: v_dual_cndmask_b32 v4, v4, v12
	v_cmp_eq_u32_e32 vcc_lo, 6, v0
	s_delay_alu instid0(VALU_DEP_2) | instskip(SKIP_1) | instid1(VALU_DEP_2)
	v_dual_cndmask_b32 v5, v5, v15 :: v_dual_cndmask_b32 v4, v4, v14
	v_cmp_eq_u32_e32 vcc_lo, 7, v0
	v_dual_cndmask_b32 v5, v5, v17 :: v_dual_cndmask_b32 v4, v4, v16
	v_cmp_eq_u32_e32 vcc_lo, 8, v0
	s_delay_alu instid0(VALU_DEP_2) | instskip(SKIP_1) | instid1(VALU_DEP_2)
	v_dual_cndmask_b32 v5, v5, v19 :: v_dual_cndmask_b32 v4, v4, v18
	v_cmp_eq_u32_e32 vcc_lo, 9, v0
	v_dual_cndmask_b32 v5, v5, v21 :: v_dual_cndmask_b32 v4, v4, v20
	v_cmp_eq_u32_e32 vcc_lo, 10, v0
	s_delay_alu instid0(VALU_DEP_2) | instskip(SKIP_1) | instid1(VALU_DEP_2)
	v_dual_cndmask_b32 v5, v5, v23 :: v_dual_cndmask_b32 v4, v4, v22
	v_cmp_eq_u32_e32 vcc_lo, 11, v0
	v_dual_cndmask_b32 v5, v5, v25 :: v_dual_cndmask_b32 v4, v4, v24
	v_cmp_eq_u32_e32 vcc_lo, 12, v0
	s_delay_alu instid0(VALU_DEP_2) | instskip(SKIP_4) | instid1(VALU_DEP_2)
	v_dual_cndmask_b32 v34, v5, v27 :: v_dual_cndmask_b32 v35, v4, v26
	v_cmp_eq_u32_e32 vcc_lo, 13, v0
	ds_load_b64 v[4:5], v100
	v_dual_cndmask_b32 v34, v34, v29 :: v_dual_cndmask_b32 v35, v35, v28
	v_cmp_eq_u32_e32 vcc_lo, 14, v0
	v_cndmask_b32_e32 v34, v34, v31, vcc_lo
	s_delay_alu instid0(VALU_DEP_3) | instskip(SKIP_1) | instid1(VALU_DEP_2)
	v_cndmask_b32_e32 v36, v35, v30, vcc_lo
	v_cmp_eq_u32_e32 vcc_lo, 15, v0
	v_dual_cndmask_b32 v35, v34, v33 :: v_dual_cndmask_b32 v34, v36, v32
	s_waitcnt lgkmcnt(0)
	s_delay_alu instid0(VALU_DEP_1)
	v_mul_f64 v[4:5], v[34:35], v[4:5]
	s_cbranch_execz .LBB79_232
	s_branch .LBB79_233
.LBB79_231:
                                        ; implicit-def: $vgpr4_vgpr5
.LBB79_232:
	ds_load_b64 v[4:5], v100
.LBB79_233:
	v_mov_b32_e32 v34, 0
	ds_load_b64 v[34:35], v34 offset:8
	s_waitcnt lgkmcnt(0)
	v_mul_f64 v[4:5], v[4:5], v[34:35]
.LBB79_234:
	s_or_b32 exec_lo, exec_lo, s1
	v_add_nc_u32_e32 v39, 1, v0
	v_cndmask_b32_e64 v38, 0, 1, s18
	s_mov_b32 s1, exec_lo
	ds_store_b64 v100, v[6:7]
	s_waitcnt lgkmcnt(0)
	s_barrier
	buffer_gl0_inv
	v_cmpx_gt_u32_e32 2, v0
	s_cbranch_execz .LBB79_242
; %bb.235:
	s_and_not1_b32 vcc_lo, exec_lo, s18
	s_cbranch_vccnz .LBB79_237
; %bb.236:
	v_cmp_eq_u32_e32 vcc_lo, 1, v0
	v_dual_cndmask_b32 v34, v3, v5 :: v_dual_cndmask_b32 v35, v2, v4
	v_cmp_eq_u32_e32 vcc_lo, 2, v0
	s_delay_alu instid0(VALU_DEP_2) | instskip(SKIP_1) | instid1(VALU_DEP_2)
	v_dual_cndmask_b32 v34, v34, v7 :: v_dual_cndmask_b32 v35, v35, v6
	v_cmp_eq_u32_e32 vcc_lo, 3, v0
	v_dual_cndmask_b32 v34, v34, v9 :: v_dual_cndmask_b32 v35, v35, v8
	v_cmp_eq_u32_e32 vcc_lo, 4, v0
	s_delay_alu instid0(VALU_DEP_2) | instskip(SKIP_1) | instid1(VALU_DEP_2)
	v_dual_cndmask_b32 v34, v34, v11 :: v_dual_cndmask_b32 v35, v35, v10
	;; [unrolled: 5-line block ×5, first 2 shown]
	v_cmp_eq_u32_e32 vcc_lo, 11, v0
	v_dual_cndmask_b32 v34, v34, v25 :: v_dual_cndmask_b32 v35, v35, v24
	v_cmp_eq_u32_e32 vcc_lo, 12, v0
	s_delay_alu instid0(VALU_DEP_2) | instskip(SKIP_4) | instid1(VALU_DEP_2)
	v_dual_cndmask_b32 v36, v34, v27 :: v_dual_cndmask_b32 v37, v35, v26
	v_cmp_eq_u32_e32 vcc_lo, 13, v0
	ds_load_b64 v[34:35], v100
	v_dual_cndmask_b32 v36, v36, v29 :: v_dual_cndmask_b32 v37, v37, v28
	v_cmp_eq_u32_e32 vcc_lo, 14, v0
	v_cndmask_b32_e32 v36, v36, v31, vcc_lo
	s_delay_alu instid0(VALU_DEP_3) | instskip(SKIP_1) | instid1(VALU_DEP_3)
	v_cndmask_b32_e32 v40, v37, v30, vcc_lo
	v_cmp_eq_u32_e32 vcc_lo, 15, v0
	v_cndmask_b32_e32 v37, v36, v33, vcc_lo
	s_delay_alu instid0(VALU_DEP_3) | instskip(SKIP_1) | instid1(VALU_DEP_1)
	v_cndmask_b32_e32 v36, v40, v32, vcc_lo
	s_waitcnt lgkmcnt(0)
	v_mul_f64 v[34:35], v[36:37], v[34:35]
	s_cbranch_execz .LBB79_238
	s_branch .LBB79_239
.LBB79_237:
                                        ; implicit-def: $vgpr34_vgpr35
.LBB79_238:
	ds_load_b64 v[34:35], v100
.LBB79_239:
	s_and_saveexec_b32 s2, s0
	s_cbranch_execz .LBB79_241
; %bb.240:
	v_cmp_eq_u32_e32 vcc_lo, 1, v39
	v_dual_cndmask_b32 v36, v3, v5 :: v_dual_cndmask_b32 v37, v2, v4
	v_cmp_eq_u32_e32 vcc_lo, 2, v39
	s_delay_alu instid0(VALU_DEP_2) | instskip(SKIP_1) | instid1(VALU_DEP_2)
	v_dual_cndmask_b32 v7, v36, v7 :: v_dual_cndmask_b32 v6, v37, v6
	v_cmp_eq_u32_e32 vcc_lo, 3, v39
	v_dual_cndmask_b32 v7, v7, v9 :: v_dual_cndmask_b32 v6, v6, v8
	v_cmp_eq_u32_e32 vcc_lo, 4, v39
	s_delay_alu instid0(VALU_DEP_2) | instskip(SKIP_1) | instid1(VALU_DEP_2)
	v_dual_cndmask_b32 v7, v7, v11 :: v_dual_cndmask_b32 v6, v6, v10
	;; [unrolled: 5-line block ×5, first 2 shown]
	v_cmp_eq_u32_e32 vcc_lo, 11, v39
	v_dual_cndmask_b32 v7, v7, v25 :: v_dual_cndmask_b32 v6, v6, v24
	v_cmp_eq_u32_e32 vcc_lo, 12, v39
	s_delay_alu instid0(VALU_DEP_2) | instskip(SKIP_4) | instid1(VALU_DEP_2)
	v_dual_cndmask_b32 v36, v7, v27 :: v_dual_cndmask_b32 v37, v6, v26
	v_cmp_eq_u32_e32 vcc_lo, 13, v39
	ds_load_b64 v[6:7], v100 offset:8
	v_dual_cndmask_b32 v36, v36, v29 :: v_dual_cndmask_b32 v37, v37, v28
	v_cmp_eq_u32_e32 vcc_lo, 14, v39
	v_cndmask_b32_e32 v36, v36, v31, vcc_lo
	s_delay_alu instid0(VALU_DEP_3) | instskip(SKIP_1) | instid1(VALU_DEP_3)
	v_cndmask_b32_e32 v40, v37, v30, vcc_lo
	v_cmp_eq_u32_e32 vcc_lo, 15, v39
	v_cndmask_b32_e32 v37, v36, v33, vcc_lo
	s_delay_alu instid0(VALU_DEP_3) | instskip(SKIP_1) | instid1(VALU_DEP_1)
	v_cndmask_b32_e32 v36, v40, v32, vcc_lo
	s_waitcnt lgkmcnt(0)
	v_fma_f64 v[34:35], v[36:37], v[6:7], v[34:35]
.LBB79_241:
	s_or_b32 exec_lo, exec_lo, s2
	v_mov_b32_e32 v6, 0
	ds_load_b64 v[6:7], v6 offset:16
	s_waitcnt lgkmcnt(0)
	v_mul_f64 v[6:7], v[34:35], v[6:7]
.LBB79_242:
	s_or_b32 exec_lo, exec_lo, s1
	v_cmp_gt_u32_e64 s1, 3, v0
	ds_store_b64 v100, v[8:9]
	s_waitcnt lgkmcnt(0)
	s_barrier
	buffer_gl0_inv
	s_and_saveexec_b32 s2, s1
	s_cbranch_execz .LBB79_252
; %bb.243:
	v_cmp_ne_u32_e32 vcc_lo, 1, v38
	s_cbranch_vccnz .LBB79_245
; %bb.244:
	v_cmp_eq_u32_e32 vcc_lo, 1, v0
	v_dual_cndmask_b32 v34, v3, v5 :: v_dual_cndmask_b32 v35, v2, v4
	v_cmp_eq_u32_e32 vcc_lo, 2, v0
	s_delay_alu instid0(VALU_DEP_2) | instskip(SKIP_1) | instid1(VALU_DEP_2)
	v_dual_cndmask_b32 v34, v34, v7 :: v_dual_cndmask_b32 v35, v35, v6
	v_cmp_eq_u32_e32 vcc_lo, 3, v0
	v_dual_cndmask_b32 v34, v34, v9 :: v_dual_cndmask_b32 v35, v35, v8
	v_cmp_eq_u32_e32 vcc_lo, 4, v0
	s_delay_alu instid0(VALU_DEP_2) | instskip(SKIP_1) | instid1(VALU_DEP_2)
	v_dual_cndmask_b32 v34, v34, v11 :: v_dual_cndmask_b32 v35, v35, v10
	;; [unrolled: 5-line block ×5, first 2 shown]
	v_cmp_eq_u32_e32 vcc_lo, 11, v0
	v_dual_cndmask_b32 v34, v34, v25 :: v_dual_cndmask_b32 v35, v35, v24
	v_cmp_eq_u32_e32 vcc_lo, 12, v0
	s_delay_alu instid0(VALU_DEP_2) | instskip(SKIP_4) | instid1(VALU_DEP_2)
	v_dual_cndmask_b32 v36, v34, v27 :: v_dual_cndmask_b32 v37, v35, v26
	v_cmp_eq_u32_e32 vcc_lo, 13, v0
	ds_load_b64 v[34:35], v100
	v_dual_cndmask_b32 v36, v36, v29 :: v_dual_cndmask_b32 v37, v37, v28
	v_cmp_eq_u32_e32 vcc_lo, 14, v0
	v_cndmask_b32_e32 v36, v36, v31, vcc_lo
	s_delay_alu instid0(VALU_DEP_3) | instskip(SKIP_1) | instid1(VALU_DEP_3)
	v_cndmask_b32_e32 v40, v37, v30, vcc_lo
	v_cmp_eq_u32_e32 vcc_lo, 15, v0
	v_cndmask_b32_e32 v37, v36, v33, vcc_lo
	s_delay_alu instid0(VALU_DEP_3) | instskip(SKIP_1) | instid1(VALU_DEP_1)
	v_cndmask_b32_e32 v36, v40, v32, vcc_lo
	s_waitcnt lgkmcnt(0)
	v_mul_f64 v[34:35], v[36:37], v[34:35]
	s_cbranch_execz .LBB79_246
	s_branch .LBB79_247
.LBB79_245:
                                        ; implicit-def: $vgpr34_vgpr35
.LBB79_246:
	ds_load_b64 v[34:35], v100
.LBB79_247:
	s_mov_b32 s3, exec_lo
	v_cmpx_ne_u32_e32 2, v0
	s_cbranch_execz .LBB79_251
; %bb.248:
	v_cmp_eq_u32_e32 vcc_lo, 1, v39
	v_dual_cndmask_b32 v36, v3, v5 :: v_dual_cndmask_b32 v37, v2, v4
	v_cmp_eq_u32_e32 vcc_lo, 2, v39
	s_delay_alu instid0(VALU_DEP_2) | instskip(SKIP_1) | instid1(VALU_DEP_2)
	v_dual_cndmask_b32 v36, v36, v7 :: v_dual_cndmask_b32 v37, v37, v6
	v_cmp_eq_u32_e32 vcc_lo, 3, v39
	v_dual_cndmask_b32 v9, v36, v9 :: v_dual_cndmask_b32 v8, v37, v8
	v_cmp_eq_u32_e32 vcc_lo, 4, v39
	s_delay_alu instid0(VALU_DEP_2) | instskip(SKIP_1) | instid1(VALU_DEP_2)
	v_dual_cndmask_b32 v9, v9, v11 :: v_dual_cndmask_b32 v8, v8, v10
	;; [unrolled: 5-line block ×5, first 2 shown]
	v_cmp_eq_u32_e32 vcc_lo, 11, v39
	v_dual_cndmask_b32 v9, v9, v25 :: v_dual_cndmask_b32 v8, v8, v24
	v_cmp_eq_u32_e32 vcc_lo, 12, v39
	s_delay_alu instid0(VALU_DEP_2) | instskip(SKIP_4) | instid1(VALU_DEP_2)
	v_dual_cndmask_b32 v36, v9, v27 :: v_dual_cndmask_b32 v37, v8, v26
	v_cmp_eq_u32_e32 vcc_lo, 13, v39
	ds_load_b64 v[8:9], v100 offset:8
	v_dual_cndmask_b32 v36, v36, v29 :: v_dual_cndmask_b32 v37, v37, v28
	v_cmp_eq_u32_e32 vcc_lo, 14, v39
	v_cndmask_b32_e32 v36, v36, v31, vcc_lo
	s_delay_alu instid0(VALU_DEP_3) | instskip(SKIP_1) | instid1(VALU_DEP_3)
	v_cndmask_b32_e32 v40, v37, v30, vcc_lo
	v_cmp_eq_u32_e32 vcc_lo, 15, v39
	v_cndmask_b32_e32 v37, v36, v33, vcc_lo
	s_delay_alu instid0(VALU_DEP_3) | instskip(SKIP_1) | instid1(VALU_DEP_1)
	v_cndmask_b32_e32 v36, v40, v32, vcc_lo
	s_waitcnt lgkmcnt(0)
	v_fma_f64 v[34:35], v[36:37], v[8:9], v[34:35]
	s_and_saveexec_b32 s4, s0
	s_cbranch_execz .LBB79_250
; %bb.249:
	v_mov_b32_e32 v8, 0
	ds_load_b64 v[8:9], v8 offset:144
	s_waitcnt lgkmcnt(0)
	v_fma_f64 v[34:35], v[6:7], v[8:9], v[34:35]
.LBB79_250:
	s_or_b32 exec_lo, exec_lo, s4
.LBB79_251:
	s_delay_alu instid0(SALU_CYCLE_1)
	s_or_b32 exec_lo, exec_lo, s3
	v_mov_b32_e32 v8, 0
	ds_load_b64 v[8:9], v8 offset:24
	s_waitcnt lgkmcnt(0)
	v_mul_f64 v[8:9], v[34:35], v[8:9]
.LBB79_252:
	s_or_b32 exec_lo, exec_lo, s2
	s_delay_alu instid0(SALU_CYCLE_1)
	s_mov_b32 s3, exec_lo
	ds_store_b64 v100, v[10:11]
	s_waitcnt lgkmcnt(0)
	s_barrier
	buffer_gl0_inv
	v_cmpx_gt_u32_e32 4, v0
	s_cbranch_execz .LBB79_262
; %bb.253:
	v_cmp_ne_u32_e32 vcc_lo, 1, v38
	s_cbranch_vccnz .LBB79_255
; %bb.254:
	v_cmp_eq_u32_e32 vcc_lo, 1, v0
	v_dual_cndmask_b32 v34, v3, v5 :: v_dual_cndmask_b32 v35, v2, v4
	v_cmp_eq_u32_e32 vcc_lo, 2, v0
	s_delay_alu instid0(VALU_DEP_2) | instskip(SKIP_1) | instid1(VALU_DEP_2)
	v_dual_cndmask_b32 v34, v34, v7 :: v_dual_cndmask_b32 v35, v35, v6
	v_cmp_eq_u32_e32 vcc_lo, 3, v0
	v_dual_cndmask_b32 v34, v34, v9 :: v_dual_cndmask_b32 v35, v35, v8
	v_cmp_eq_u32_e32 vcc_lo, 4, v0
	s_delay_alu instid0(VALU_DEP_2) | instskip(SKIP_1) | instid1(VALU_DEP_2)
	v_dual_cndmask_b32 v34, v34, v11 :: v_dual_cndmask_b32 v35, v35, v10
	v_cmp_eq_u32_e32 vcc_lo, 5, v0
	v_dual_cndmask_b32 v34, v34, v13 :: v_dual_cndmask_b32 v35, v35, v12
	v_cmp_eq_u32_e32 vcc_lo, 6, v0
	s_delay_alu instid0(VALU_DEP_2) | instskip(SKIP_1) | instid1(VALU_DEP_2)
	v_dual_cndmask_b32 v34, v34, v15 :: v_dual_cndmask_b32 v35, v35, v14
	v_cmp_eq_u32_e32 vcc_lo, 7, v0
	v_dual_cndmask_b32 v34, v34, v17 :: v_dual_cndmask_b32 v35, v35, v16
	v_cmp_eq_u32_e32 vcc_lo, 8, v0
	s_delay_alu instid0(VALU_DEP_2) | instskip(SKIP_1) | instid1(VALU_DEP_2)
	v_dual_cndmask_b32 v34, v34, v19 :: v_dual_cndmask_b32 v35, v35, v18
	v_cmp_eq_u32_e32 vcc_lo, 9, v0
	v_dual_cndmask_b32 v34, v34, v21 :: v_dual_cndmask_b32 v35, v35, v20
	v_cmp_eq_u32_e32 vcc_lo, 10, v0
	s_delay_alu instid0(VALU_DEP_2) | instskip(SKIP_1) | instid1(VALU_DEP_2)
	v_dual_cndmask_b32 v34, v34, v23 :: v_dual_cndmask_b32 v35, v35, v22
	v_cmp_eq_u32_e32 vcc_lo, 11, v0
	v_dual_cndmask_b32 v34, v34, v25 :: v_dual_cndmask_b32 v35, v35, v24
	v_cmp_eq_u32_e32 vcc_lo, 12, v0
	s_delay_alu instid0(VALU_DEP_2) | instskip(SKIP_4) | instid1(VALU_DEP_2)
	v_dual_cndmask_b32 v36, v34, v27 :: v_dual_cndmask_b32 v37, v35, v26
	v_cmp_eq_u32_e32 vcc_lo, 13, v0
	ds_load_b64 v[34:35], v100
	v_dual_cndmask_b32 v36, v36, v29 :: v_dual_cndmask_b32 v37, v37, v28
	v_cmp_eq_u32_e32 vcc_lo, 14, v0
	v_cndmask_b32_e32 v36, v36, v31, vcc_lo
	s_delay_alu instid0(VALU_DEP_3) | instskip(SKIP_1) | instid1(VALU_DEP_3)
	v_cndmask_b32_e32 v40, v37, v30, vcc_lo
	v_cmp_eq_u32_e32 vcc_lo, 15, v0
	v_cndmask_b32_e32 v37, v36, v33, vcc_lo
	s_delay_alu instid0(VALU_DEP_3) | instskip(SKIP_1) | instid1(VALU_DEP_1)
	v_cndmask_b32_e32 v36, v40, v32, vcc_lo
	s_waitcnt lgkmcnt(0)
	v_mul_f64 v[34:35], v[36:37], v[34:35]
	s_cbranch_execz .LBB79_256
	s_branch .LBB79_257
.LBB79_255:
                                        ; implicit-def: $vgpr34_vgpr35
.LBB79_256:
	ds_load_b64 v[34:35], v100
.LBB79_257:
	s_mov_b32 s4, exec_lo
	v_cmpx_ne_u32_e32 3, v0
	s_cbranch_execz .LBB79_261
; %bb.258:
	v_lshl_add_u32 v40, v0, 3, 0x88
	v_dual_mov_b32 v37, v1 :: v_dual_mov_b32 v36, v0
	s_mov_b32 s5, 0
.LBB79_259:                             ; =>This Inner Loop Header: Depth=1
	s_delay_alu instid0(VALU_DEP_1) | instskip(NEXT) | instid1(VALU_DEP_2)
	v_add_co_u32 v36, vcc_lo, v36, 1
	v_add_co_ci_u32_e32 v37, vcc_lo, 0, v37, vcc_lo
	s_delay_alu instid0(VALU_DEP_2) | instskip(SKIP_3) | instid1(VALU_DEP_2)
	v_cmp_eq_u32_e32 vcc_lo, 1, v36
	v_cmp_eq_u32_e64 s2, 2, v36
	v_dual_cndmask_b32 v41, v3, v5 :: v_dual_cndmask_b32 v42, v2, v4
	v_cmp_eq_u32_e32 vcc_lo, 3, v36
	v_cndmask_b32_e64 v41, v41, v7, s2
	s_delay_alu instid0(VALU_DEP_3) | instskip(SKIP_1) | instid1(VALU_DEP_2)
	v_cndmask_b32_e64 v42, v42, v6, s2
	v_cmp_eq_u32_e64 s2, 4, v36
	v_dual_cndmask_b32 v41, v41, v9 :: v_dual_cndmask_b32 v42, v42, v8
	v_cmp_eq_u32_e32 vcc_lo, 5, v36
	s_delay_alu instid0(VALU_DEP_2) | instskip(NEXT) | instid1(VALU_DEP_3)
	v_cndmask_b32_e64 v41, v41, v11, s2
	v_cndmask_b32_e64 v42, v42, v10, s2
	v_cmp_eq_u32_e64 s2, 6, v36
	s_delay_alu instid0(VALU_DEP_2) | instskip(SKIP_1) | instid1(VALU_DEP_2)
	v_dual_cndmask_b32 v41, v41, v13 :: v_dual_cndmask_b32 v42, v42, v12
	v_cmp_eq_u32_e32 vcc_lo, 7, v36
	v_cndmask_b32_e64 v41, v41, v15, s2
	s_delay_alu instid0(VALU_DEP_3) | instskip(SKIP_1) | instid1(VALU_DEP_2)
	v_cndmask_b32_e64 v42, v42, v14, s2
	v_cmp_eq_u32_e64 s2, 8, v36
	v_dual_cndmask_b32 v41, v41, v17 :: v_dual_cndmask_b32 v42, v42, v16
	v_cmp_eq_u32_e32 vcc_lo, 9, v36
	s_delay_alu instid0(VALU_DEP_2) | instskip(NEXT) | instid1(VALU_DEP_3)
	v_cndmask_b32_e64 v41, v41, v19, s2
	v_cndmask_b32_e64 v42, v42, v18, s2
	v_cmp_eq_u32_e64 s2, 10, v36
	s_delay_alu instid0(VALU_DEP_2) | instskip(SKIP_1) | instid1(VALU_DEP_2)
	v_dual_cndmask_b32 v41, v41, v21 :: v_dual_cndmask_b32 v42, v42, v20
	v_cmp_eq_u32_e32 vcc_lo, 11, v36
	v_cndmask_b32_e64 v41, v41, v23, s2
	s_delay_alu instid0(VALU_DEP_3) | instskip(SKIP_1) | instid1(VALU_DEP_2)
	v_cndmask_b32_e64 v42, v42, v22, s2
	v_cmp_eq_u32_e64 s2, 12, v36
	v_dual_cndmask_b32 v43, v41, v25 :: v_dual_cndmask_b32 v44, v42, v24
	ds_load_b64 v[41:42], v40
	v_cmp_eq_u32_e32 vcc_lo, 13, v36
	v_add_nc_u32_e32 v40, 8, v40
	v_cndmask_b32_e64 v43, v43, v27, s2
	v_cndmask_b32_e64 v44, v44, v26, s2
	v_cmp_eq_u32_e64 s2, 14, v36
	s_delay_alu instid0(VALU_DEP_2) | instskip(SKIP_1) | instid1(VALU_DEP_2)
	v_dual_cndmask_b32 v43, v43, v29 :: v_dual_cndmask_b32 v44, v44, v28
	v_cmp_eq_u32_e32 vcc_lo, 15, v36
	v_cndmask_b32_e64 v43, v43, v31, s2
	s_delay_alu instid0(VALU_DEP_3) | instskip(NEXT) | instid1(VALU_DEP_1)
	v_cndmask_b32_e64 v45, v44, v30, s2
	v_dual_cndmask_b32 v44, v43, v33 :: v_dual_cndmask_b32 v43, v45, v32
	v_cmp_lt_u32_e32 vcc_lo, 2, v36
	s_waitcnt lgkmcnt(0)
	s_delay_alu instid0(VALU_DEP_2) | instskip(SKIP_1) | instid1(SALU_CYCLE_1)
	v_fma_f64 v[34:35], v[43:44], v[41:42], v[34:35]
	s_or_b32 s5, vcc_lo, s5
	s_and_not1_b32 exec_lo, exec_lo, s5
	s_cbranch_execnz .LBB79_259
; %bb.260:
	s_or_b32 exec_lo, exec_lo, s5
.LBB79_261:
	s_delay_alu instid0(SALU_CYCLE_1)
	s_or_b32 exec_lo, exec_lo, s4
	v_mov_b32_e32 v10, 0
	ds_load_b64 v[10:11], v10 offset:32
	s_waitcnt lgkmcnt(0)
	v_mul_f64 v[10:11], v[34:35], v[10:11]
.LBB79_262:
	s_or_b32 exec_lo, exec_lo, s3
	v_cmp_gt_u32_e64 s2, 5, v0
	ds_store_b64 v100, v[12:13]
	s_waitcnt lgkmcnt(0)
	s_barrier
	buffer_gl0_inv
	s_and_saveexec_b32 s4, s2
	s_cbranch_execz .LBB79_272
; %bb.263:
	v_cmp_ne_u32_e32 vcc_lo, 1, v38
	s_cbranch_vccnz .LBB79_265
; %bb.264:
	v_cmp_eq_u32_e32 vcc_lo, 1, v0
	v_dual_cndmask_b32 v34, v3, v5 :: v_dual_cndmask_b32 v35, v2, v4
	v_cmp_eq_u32_e32 vcc_lo, 2, v0
	s_delay_alu instid0(VALU_DEP_2) | instskip(SKIP_1) | instid1(VALU_DEP_2)
	v_dual_cndmask_b32 v34, v34, v7 :: v_dual_cndmask_b32 v35, v35, v6
	v_cmp_eq_u32_e32 vcc_lo, 3, v0
	v_dual_cndmask_b32 v34, v34, v9 :: v_dual_cndmask_b32 v35, v35, v8
	v_cmp_eq_u32_e32 vcc_lo, 4, v0
	s_delay_alu instid0(VALU_DEP_2) | instskip(SKIP_1) | instid1(VALU_DEP_2)
	v_dual_cndmask_b32 v34, v34, v11 :: v_dual_cndmask_b32 v35, v35, v10
	v_cmp_eq_u32_e32 vcc_lo, 5, v0
	v_dual_cndmask_b32 v34, v34, v13 :: v_dual_cndmask_b32 v35, v35, v12
	v_cmp_eq_u32_e32 vcc_lo, 6, v0
	s_delay_alu instid0(VALU_DEP_2) | instskip(SKIP_1) | instid1(VALU_DEP_2)
	v_dual_cndmask_b32 v34, v34, v15 :: v_dual_cndmask_b32 v35, v35, v14
	v_cmp_eq_u32_e32 vcc_lo, 7, v0
	v_dual_cndmask_b32 v34, v34, v17 :: v_dual_cndmask_b32 v35, v35, v16
	v_cmp_eq_u32_e32 vcc_lo, 8, v0
	s_delay_alu instid0(VALU_DEP_2) | instskip(SKIP_1) | instid1(VALU_DEP_2)
	v_dual_cndmask_b32 v34, v34, v19 :: v_dual_cndmask_b32 v35, v35, v18
	v_cmp_eq_u32_e32 vcc_lo, 9, v0
	v_dual_cndmask_b32 v34, v34, v21 :: v_dual_cndmask_b32 v35, v35, v20
	v_cmp_eq_u32_e32 vcc_lo, 10, v0
	s_delay_alu instid0(VALU_DEP_2) | instskip(SKIP_1) | instid1(VALU_DEP_2)
	v_dual_cndmask_b32 v34, v34, v23 :: v_dual_cndmask_b32 v35, v35, v22
	v_cmp_eq_u32_e32 vcc_lo, 11, v0
	v_dual_cndmask_b32 v34, v34, v25 :: v_dual_cndmask_b32 v35, v35, v24
	v_cmp_eq_u32_e32 vcc_lo, 12, v0
	s_delay_alu instid0(VALU_DEP_2) | instskip(SKIP_4) | instid1(VALU_DEP_2)
	v_dual_cndmask_b32 v36, v34, v27 :: v_dual_cndmask_b32 v37, v35, v26
	v_cmp_eq_u32_e32 vcc_lo, 13, v0
	ds_load_b64 v[34:35], v100
	v_dual_cndmask_b32 v36, v36, v29 :: v_dual_cndmask_b32 v37, v37, v28
	v_cmp_eq_u32_e32 vcc_lo, 14, v0
	v_cndmask_b32_e32 v36, v36, v31, vcc_lo
	s_delay_alu instid0(VALU_DEP_3) | instskip(SKIP_1) | instid1(VALU_DEP_3)
	v_cndmask_b32_e32 v40, v37, v30, vcc_lo
	v_cmp_eq_u32_e32 vcc_lo, 15, v0
	v_cndmask_b32_e32 v37, v36, v33, vcc_lo
	s_delay_alu instid0(VALU_DEP_3) | instskip(SKIP_1) | instid1(VALU_DEP_1)
	v_cndmask_b32_e32 v36, v40, v32, vcc_lo
	s_waitcnt lgkmcnt(0)
	v_mul_f64 v[34:35], v[36:37], v[34:35]
	s_cbranch_execz .LBB79_266
	s_branch .LBB79_267
.LBB79_265:
                                        ; implicit-def: $vgpr34_vgpr35
.LBB79_266:
	ds_load_b64 v[34:35], v100
.LBB79_267:
	s_mov_b32 s5, exec_lo
	v_cmpx_ne_u32_e32 4, v0
	s_cbranch_execz .LBB79_271
; %bb.268:
	v_lshl_add_u32 v40, v0, 3, 0x88
	v_dual_mov_b32 v37, v1 :: v_dual_mov_b32 v36, v0
	s_mov_b32 s6, 0
.LBB79_269:                             ; =>This Inner Loop Header: Depth=1
	s_delay_alu instid0(VALU_DEP_1) | instskip(NEXT) | instid1(VALU_DEP_2)
	v_add_co_u32 v36, vcc_lo, v36, 1
	v_add_co_ci_u32_e32 v37, vcc_lo, 0, v37, vcc_lo
	s_delay_alu instid0(VALU_DEP_2) | instskip(SKIP_3) | instid1(VALU_DEP_2)
	v_cmp_eq_u32_e32 vcc_lo, 1, v36
	v_cmp_eq_u32_e64 s3, 2, v36
	v_dual_cndmask_b32 v41, v3, v5 :: v_dual_cndmask_b32 v42, v2, v4
	v_cmp_eq_u32_e32 vcc_lo, 3, v36
	v_cndmask_b32_e64 v41, v41, v7, s3
	s_delay_alu instid0(VALU_DEP_3) | instskip(SKIP_1) | instid1(VALU_DEP_2)
	v_cndmask_b32_e64 v42, v42, v6, s3
	v_cmp_eq_u32_e64 s3, 4, v36
	v_dual_cndmask_b32 v41, v41, v9 :: v_dual_cndmask_b32 v42, v42, v8
	v_cmp_eq_u32_e32 vcc_lo, 5, v36
	s_delay_alu instid0(VALU_DEP_2) | instskip(NEXT) | instid1(VALU_DEP_3)
	v_cndmask_b32_e64 v41, v41, v11, s3
	v_cndmask_b32_e64 v42, v42, v10, s3
	v_cmp_eq_u32_e64 s3, 6, v36
	s_delay_alu instid0(VALU_DEP_2) | instskip(SKIP_1) | instid1(VALU_DEP_2)
	v_dual_cndmask_b32 v41, v41, v13 :: v_dual_cndmask_b32 v42, v42, v12
	v_cmp_eq_u32_e32 vcc_lo, 7, v36
	v_cndmask_b32_e64 v41, v41, v15, s3
	s_delay_alu instid0(VALU_DEP_3) | instskip(SKIP_1) | instid1(VALU_DEP_2)
	v_cndmask_b32_e64 v42, v42, v14, s3
	v_cmp_eq_u32_e64 s3, 8, v36
	v_dual_cndmask_b32 v41, v41, v17 :: v_dual_cndmask_b32 v42, v42, v16
	v_cmp_eq_u32_e32 vcc_lo, 9, v36
	s_delay_alu instid0(VALU_DEP_2) | instskip(NEXT) | instid1(VALU_DEP_3)
	v_cndmask_b32_e64 v41, v41, v19, s3
	v_cndmask_b32_e64 v42, v42, v18, s3
	v_cmp_eq_u32_e64 s3, 10, v36
	s_delay_alu instid0(VALU_DEP_2) | instskip(SKIP_1) | instid1(VALU_DEP_2)
	v_dual_cndmask_b32 v41, v41, v21 :: v_dual_cndmask_b32 v42, v42, v20
	v_cmp_eq_u32_e32 vcc_lo, 11, v36
	v_cndmask_b32_e64 v41, v41, v23, s3
	s_delay_alu instid0(VALU_DEP_3) | instskip(SKIP_1) | instid1(VALU_DEP_2)
	v_cndmask_b32_e64 v42, v42, v22, s3
	v_cmp_eq_u32_e64 s3, 12, v36
	v_dual_cndmask_b32 v43, v41, v25 :: v_dual_cndmask_b32 v44, v42, v24
	ds_load_b64 v[41:42], v40
	v_cmp_eq_u32_e32 vcc_lo, 13, v36
	v_add_nc_u32_e32 v40, 8, v40
	v_cndmask_b32_e64 v43, v43, v27, s3
	v_cndmask_b32_e64 v44, v44, v26, s3
	v_cmp_eq_u32_e64 s3, 14, v36
	s_delay_alu instid0(VALU_DEP_2) | instskip(SKIP_1) | instid1(VALU_DEP_2)
	v_dual_cndmask_b32 v43, v43, v29 :: v_dual_cndmask_b32 v44, v44, v28
	v_cmp_eq_u32_e32 vcc_lo, 15, v36
	v_cndmask_b32_e64 v43, v43, v31, s3
	s_delay_alu instid0(VALU_DEP_3) | instskip(NEXT) | instid1(VALU_DEP_1)
	v_cndmask_b32_e64 v45, v44, v30, s3
	v_dual_cndmask_b32 v44, v43, v33 :: v_dual_cndmask_b32 v43, v45, v32
	v_cmp_lt_u32_e32 vcc_lo, 3, v36
	s_waitcnt lgkmcnt(0)
	s_delay_alu instid0(VALU_DEP_2) | instskip(SKIP_1) | instid1(SALU_CYCLE_1)
	v_fma_f64 v[34:35], v[43:44], v[41:42], v[34:35]
	s_or_b32 s6, vcc_lo, s6
	s_and_not1_b32 exec_lo, exec_lo, s6
	s_cbranch_execnz .LBB79_269
; %bb.270:
	s_or_b32 exec_lo, exec_lo, s6
.LBB79_271:
	s_delay_alu instid0(SALU_CYCLE_1)
	s_or_b32 exec_lo, exec_lo, s5
	v_mov_b32_e32 v12, 0
	ds_load_b64 v[12:13], v12 offset:40
	s_waitcnt lgkmcnt(0)
	v_mul_f64 v[12:13], v[34:35], v[12:13]
.LBB79_272:
	s_or_b32 exec_lo, exec_lo, s4
	s_delay_alu instid0(SALU_CYCLE_1)
	s_mov_b32 s4, exec_lo
	ds_store_b64 v100, v[14:15]
	s_waitcnt lgkmcnt(0)
	s_barrier
	buffer_gl0_inv
	v_cmpx_gt_u32_e32 6, v0
	s_cbranch_execz .LBB79_282
; %bb.273:
	v_cmp_ne_u32_e32 vcc_lo, 1, v38
	s_cbranch_vccnz .LBB79_275
; %bb.274:
	v_cmp_eq_u32_e32 vcc_lo, 1, v0
	v_dual_cndmask_b32 v34, v3, v5 :: v_dual_cndmask_b32 v35, v2, v4
	v_cmp_eq_u32_e32 vcc_lo, 2, v0
	s_delay_alu instid0(VALU_DEP_2) | instskip(SKIP_1) | instid1(VALU_DEP_2)
	v_dual_cndmask_b32 v34, v34, v7 :: v_dual_cndmask_b32 v35, v35, v6
	v_cmp_eq_u32_e32 vcc_lo, 3, v0
	v_dual_cndmask_b32 v34, v34, v9 :: v_dual_cndmask_b32 v35, v35, v8
	v_cmp_eq_u32_e32 vcc_lo, 4, v0
	s_delay_alu instid0(VALU_DEP_2) | instskip(SKIP_1) | instid1(VALU_DEP_2)
	v_dual_cndmask_b32 v34, v34, v11 :: v_dual_cndmask_b32 v35, v35, v10
	;; [unrolled: 5-line block ×5, first 2 shown]
	v_cmp_eq_u32_e32 vcc_lo, 11, v0
	v_dual_cndmask_b32 v34, v34, v25 :: v_dual_cndmask_b32 v35, v35, v24
	v_cmp_eq_u32_e32 vcc_lo, 12, v0
	s_delay_alu instid0(VALU_DEP_2) | instskip(SKIP_4) | instid1(VALU_DEP_2)
	v_dual_cndmask_b32 v36, v34, v27 :: v_dual_cndmask_b32 v37, v35, v26
	v_cmp_eq_u32_e32 vcc_lo, 13, v0
	ds_load_b64 v[34:35], v100
	v_dual_cndmask_b32 v36, v36, v29 :: v_dual_cndmask_b32 v37, v37, v28
	v_cmp_eq_u32_e32 vcc_lo, 14, v0
	v_cndmask_b32_e32 v36, v36, v31, vcc_lo
	s_delay_alu instid0(VALU_DEP_3) | instskip(SKIP_1) | instid1(VALU_DEP_3)
	v_cndmask_b32_e32 v40, v37, v30, vcc_lo
	v_cmp_eq_u32_e32 vcc_lo, 15, v0
	v_cndmask_b32_e32 v37, v36, v33, vcc_lo
	s_delay_alu instid0(VALU_DEP_3) | instskip(SKIP_1) | instid1(VALU_DEP_1)
	v_cndmask_b32_e32 v36, v40, v32, vcc_lo
	s_waitcnt lgkmcnt(0)
	v_mul_f64 v[34:35], v[36:37], v[34:35]
	s_cbranch_execz .LBB79_276
	s_branch .LBB79_277
.LBB79_275:
                                        ; implicit-def: $vgpr34_vgpr35
.LBB79_276:
	ds_load_b64 v[34:35], v100
.LBB79_277:
	s_mov_b32 s5, exec_lo
	v_cmpx_ne_u32_e32 5, v0
	s_cbranch_execz .LBB79_281
; %bb.278:
	v_lshl_add_u32 v40, v0, 3, 0x88
	v_dual_mov_b32 v37, v1 :: v_dual_mov_b32 v36, v0
	s_mov_b32 s6, 0
.LBB79_279:                             ; =>This Inner Loop Header: Depth=1
	s_delay_alu instid0(VALU_DEP_1) | instskip(NEXT) | instid1(VALU_DEP_2)
	v_add_co_u32 v36, vcc_lo, v36, 1
	v_add_co_ci_u32_e32 v37, vcc_lo, 0, v37, vcc_lo
	s_delay_alu instid0(VALU_DEP_2) | instskip(SKIP_3) | instid1(VALU_DEP_2)
	v_cmp_eq_u32_e32 vcc_lo, 1, v36
	v_cmp_eq_u32_e64 s3, 2, v36
	v_dual_cndmask_b32 v41, v3, v5 :: v_dual_cndmask_b32 v42, v2, v4
	v_cmp_eq_u32_e32 vcc_lo, 3, v36
	v_cndmask_b32_e64 v41, v41, v7, s3
	s_delay_alu instid0(VALU_DEP_3) | instskip(SKIP_1) | instid1(VALU_DEP_2)
	v_cndmask_b32_e64 v42, v42, v6, s3
	v_cmp_eq_u32_e64 s3, 4, v36
	v_dual_cndmask_b32 v41, v41, v9 :: v_dual_cndmask_b32 v42, v42, v8
	v_cmp_eq_u32_e32 vcc_lo, 5, v36
	s_delay_alu instid0(VALU_DEP_2) | instskip(NEXT) | instid1(VALU_DEP_3)
	v_cndmask_b32_e64 v41, v41, v11, s3
	v_cndmask_b32_e64 v42, v42, v10, s3
	v_cmp_eq_u32_e64 s3, 6, v36
	s_delay_alu instid0(VALU_DEP_2) | instskip(SKIP_1) | instid1(VALU_DEP_2)
	v_dual_cndmask_b32 v41, v41, v13 :: v_dual_cndmask_b32 v42, v42, v12
	v_cmp_eq_u32_e32 vcc_lo, 7, v36
	v_cndmask_b32_e64 v41, v41, v15, s3
	s_delay_alu instid0(VALU_DEP_3) | instskip(SKIP_1) | instid1(VALU_DEP_2)
	v_cndmask_b32_e64 v42, v42, v14, s3
	v_cmp_eq_u32_e64 s3, 8, v36
	v_dual_cndmask_b32 v41, v41, v17 :: v_dual_cndmask_b32 v42, v42, v16
	v_cmp_eq_u32_e32 vcc_lo, 9, v36
	s_delay_alu instid0(VALU_DEP_2) | instskip(NEXT) | instid1(VALU_DEP_3)
	v_cndmask_b32_e64 v41, v41, v19, s3
	v_cndmask_b32_e64 v42, v42, v18, s3
	v_cmp_eq_u32_e64 s3, 10, v36
	s_delay_alu instid0(VALU_DEP_2) | instskip(SKIP_1) | instid1(VALU_DEP_2)
	v_dual_cndmask_b32 v41, v41, v21 :: v_dual_cndmask_b32 v42, v42, v20
	v_cmp_eq_u32_e32 vcc_lo, 11, v36
	v_cndmask_b32_e64 v41, v41, v23, s3
	s_delay_alu instid0(VALU_DEP_3) | instskip(SKIP_1) | instid1(VALU_DEP_2)
	v_cndmask_b32_e64 v42, v42, v22, s3
	v_cmp_eq_u32_e64 s3, 12, v36
	v_dual_cndmask_b32 v43, v41, v25 :: v_dual_cndmask_b32 v44, v42, v24
	ds_load_b64 v[41:42], v40
	v_cmp_eq_u32_e32 vcc_lo, 13, v36
	v_add_nc_u32_e32 v40, 8, v40
	v_cndmask_b32_e64 v43, v43, v27, s3
	v_cndmask_b32_e64 v44, v44, v26, s3
	v_cmp_eq_u32_e64 s3, 14, v36
	s_delay_alu instid0(VALU_DEP_2) | instskip(SKIP_1) | instid1(VALU_DEP_2)
	v_dual_cndmask_b32 v43, v43, v29 :: v_dual_cndmask_b32 v44, v44, v28
	v_cmp_eq_u32_e32 vcc_lo, 15, v36
	v_cndmask_b32_e64 v43, v43, v31, s3
	s_delay_alu instid0(VALU_DEP_3) | instskip(NEXT) | instid1(VALU_DEP_1)
	v_cndmask_b32_e64 v45, v44, v30, s3
	v_dual_cndmask_b32 v44, v43, v33 :: v_dual_cndmask_b32 v43, v45, v32
	v_cmp_lt_u32_e32 vcc_lo, 4, v36
	s_waitcnt lgkmcnt(0)
	s_delay_alu instid0(VALU_DEP_2) | instskip(SKIP_1) | instid1(SALU_CYCLE_1)
	v_fma_f64 v[34:35], v[43:44], v[41:42], v[34:35]
	s_or_b32 s6, vcc_lo, s6
	s_and_not1_b32 exec_lo, exec_lo, s6
	s_cbranch_execnz .LBB79_279
; %bb.280:
	s_or_b32 exec_lo, exec_lo, s6
.LBB79_281:
	s_delay_alu instid0(SALU_CYCLE_1)
	s_or_b32 exec_lo, exec_lo, s5
	v_mov_b32_e32 v14, 0
	ds_load_b64 v[14:15], v14 offset:48
	s_waitcnt lgkmcnt(0)
	v_mul_f64 v[14:15], v[34:35], v[14:15]
.LBB79_282:
	s_or_b32 exec_lo, exec_lo, s4
	v_cmp_gt_u32_e64 s3, 7, v0
	ds_store_b64 v100, v[16:17]
	s_waitcnt lgkmcnt(0)
	s_barrier
	buffer_gl0_inv
	s_and_saveexec_b32 s5, s3
	s_cbranch_execz .LBB79_292
; %bb.283:
	v_cmp_ne_u32_e32 vcc_lo, 1, v38
	s_cbranch_vccnz .LBB79_285
; %bb.284:
	v_cmp_eq_u32_e32 vcc_lo, 1, v0
	v_dual_cndmask_b32 v34, v3, v5 :: v_dual_cndmask_b32 v35, v2, v4
	v_cmp_eq_u32_e32 vcc_lo, 2, v0
	s_delay_alu instid0(VALU_DEP_2) | instskip(SKIP_1) | instid1(VALU_DEP_2)
	v_dual_cndmask_b32 v34, v34, v7 :: v_dual_cndmask_b32 v35, v35, v6
	v_cmp_eq_u32_e32 vcc_lo, 3, v0
	v_dual_cndmask_b32 v34, v34, v9 :: v_dual_cndmask_b32 v35, v35, v8
	v_cmp_eq_u32_e32 vcc_lo, 4, v0
	s_delay_alu instid0(VALU_DEP_2) | instskip(SKIP_1) | instid1(VALU_DEP_2)
	v_dual_cndmask_b32 v34, v34, v11 :: v_dual_cndmask_b32 v35, v35, v10
	v_cmp_eq_u32_e32 vcc_lo, 5, v0
	v_dual_cndmask_b32 v34, v34, v13 :: v_dual_cndmask_b32 v35, v35, v12
	v_cmp_eq_u32_e32 vcc_lo, 6, v0
	s_delay_alu instid0(VALU_DEP_2) | instskip(SKIP_1) | instid1(VALU_DEP_2)
	v_dual_cndmask_b32 v34, v34, v15 :: v_dual_cndmask_b32 v35, v35, v14
	v_cmp_eq_u32_e32 vcc_lo, 7, v0
	v_dual_cndmask_b32 v34, v34, v17 :: v_dual_cndmask_b32 v35, v35, v16
	v_cmp_eq_u32_e32 vcc_lo, 8, v0
	s_delay_alu instid0(VALU_DEP_2) | instskip(SKIP_1) | instid1(VALU_DEP_2)
	v_dual_cndmask_b32 v34, v34, v19 :: v_dual_cndmask_b32 v35, v35, v18
	v_cmp_eq_u32_e32 vcc_lo, 9, v0
	v_dual_cndmask_b32 v34, v34, v21 :: v_dual_cndmask_b32 v35, v35, v20
	v_cmp_eq_u32_e32 vcc_lo, 10, v0
	s_delay_alu instid0(VALU_DEP_2) | instskip(SKIP_1) | instid1(VALU_DEP_2)
	v_dual_cndmask_b32 v34, v34, v23 :: v_dual_cndmask_b32 v35, v35, v22
	v_cmp_eq_u32_e32 vcc_lo, 11, v0
	v_dual_cndmask_b32 v34, v34, v25 :: v_dual_cndmask_b32 v35, v35, v24
	v_cmp_eq_u32_e32 vcc_lo, 12, v0
	s_delay_alu instid0(VALU_DEP_2) | instskip(SKIP_4) | instid1(VALU_DEP_2)
	v_dual_cndmask_b32 v36, v34, v27 :: v_dual_cndmask_b32 v37, v35, v26
	v_cmp_eq_u32_e32 vcc_lo, 13, v0
	ds_load_b64 v[34:35], v100
	v_dual_cndmask_b32 v36, v36, v29 :: v_dual_cndmask_b32 v37, v37, v28
	v_cmp_eq_u32_e32 vcc_lo, 14, v0
	v_cndmask_b32_e32 v36, v36, v31, vcc_lo
	s_delay_alu instid0(VALU_DEP_3) | instskip(SKIP_1) | instid1(VALU_DEP_3)
	v_cndmask_b32_e32 v40, v37, v30, vcc_lo
	v_cmp_eq_u32_e32 vcc_lo, 15, v0
	v_cndmask_b32_e32 v37, v36, v33, vcc_lo
	s_delay_alu instid0(VALU_DEP_3) | instskip(SKIP_1) | instid1(VALU_DEP_1)
	v_cndmask_b32_e32 v36, v40, v32, vcc_lo
	s_waitcnt lgkmcnt(0)
	v_mul_f64 v[34:35], v[36:37], v[34:35]
	s_cbranch_execz .LBB79_286
	s_branch .LBB79_287
.LBB79_285:
                                        ; implicit-def: $vgpr34_vgpr35
.LBB79_286:
	ds_load_b64 v[34:35], v100
.LBB79_287:
	s_mov_b32 s6, exec_lo
	v_cmpx_ne_u32_e32 6, v0
	s_cbranch_execz .LBB79_291
; %bb.288:
	v_lshl_add_u32 v40, v0, 3, 0x88
	v_dual_mov_b32 v37, v1 :: v_dual_mov_b32 v36, v0
	s_mov_b32 s7, 0
.LBB79_289:                             ; =>This Inner Loop Header: Depth=1
	s_delay_alu instid0(VALU_DEP_1) | instskip(NEXT) | instid1(VALU_DEP_2)
	v_add_co_u32 v36, vcc_lo, v36, 1
	v_add_co_ci_u32_e32 v37, vcc_lo, 0, v37, vcc_lo
	s_delay_alu instid0(VALU_DEP_2) | instskip(SKIP_3) | instid1(VALU_DEP_2)
	v_cmp_eq_u32_e32 vcc_lo, 1, v36
	v_cmp_eq_u32_e64 s4, 2, v36
	v_dual_cndmask_b32 v41, v3, v5 :: v_dual_cndmask_b32 v42, v2, v4
	v_cmp_eq_u32_e32 vcc_lo, 3, v36
	v_cndmask_b32_e64 v41, v41, v7, s4
	s_delay_alu instid0(VALU_DEP_3) | instskip(SKIP_1) | instid1(VALU_DEP_2)
	v_cndmask_b32_e64 v42, v42, v6, s4
	v_cmp_eq_u32_e64 s4, 4, v36
	v_dual_cndmask_b32 v41, v41, v9 :: v_dual_cndmask_b32 v42, v42, v8
	v_cmp_eq_u32_e32 vcc_lo, 5, v36
	s_delay_alu instid0(VALU_DEP_2) | instskip(NEXT) | instid1(VALU_DEP_3)
	v_cndmask_b32_e64 v41, v41, v11, s4
	v_cndmask_b32_e64 v42, v42, v10, s4
	v_cmp_eq_u32_e64 s4, 6, v36
	s_delay_alu instid0(VALU_DEP_2) | instskip(SKIP_1) | instid1(VALU_DEP_2)
	v_dual_cndmask_b32 v41, v41, v13 :: v_dual_cndmask_b32 v42, v42, v12
	v_cmp_eq_u32_e32 vcc_lo, 7, v36
	v_cndmask_b32_e64 v41, v41, v15, s4
	s_delay_alu instid0(VALU_DEP_3) | instskip(SKIP_1) | instid1(VALU_DEP_2)
	v_cndmask_b32_e64 v42, v42, v14, s4
	v_cmp_eq_u32_e64 s4, 8, v36
	v_dual_cndmask_b32 v41, v41, v17 :: v_dual_cndmask_b32 v42, v42, v16
	v_cmp_eq_u32_e32 vcc_lo, 9, v36
	s_delay_alu instid0(VALU_DEP_2) | instskip(NEXT) | instid1(VALU_DEP_3)
	v_cndmask_b32_e64 v41, v41, v19, s4
	v_cndmask_b32_e64 v42, v42, v18, s4
	v_cmp_eq_u32_e64 s4, 10, v36
	s_delay_alu instid0(VALU_DEP_2) | instskip(SKIP_1) | instid1(VALU_DEP_2)
	v_dual_cndmask_b32 v41, v41, v21 :: v_dual_cndmask_b32 v42, v42, v20
	v_cmp_eq_u32_e32 vcc_lo, 11, v36
	v_cndmask_b32_e64 v41, v41, v23, s4
	s_delay_alu instid0(VALU_DEP_3) | instskip(SKIP_1) | instid1(VALU_DEP_2)
	v_cndmask_b32_e64 v42, v42, v22, s4
	v_cmp_eq_u32_e64 s4, 12, v36
	v_dual_cndmask_b32 v43, v41, v25 :: v_dual_cndmask_b32 v44, v42, v24
	ds_load_b64 v[41:42], v40
	v_cmp_eq_u32_e32 vcc_lo, 13, v36
	v_add_nc_u32_e32 v40, 8, v40
	v_cndmask_b32_e64 v43, v43, v27, s4
	v_cndmask_b32_e64 v44, v44, v26, s4
	v_cmp_eq_u32_e64 s4, 14, v36
	s_delay_alu instid0(VALU_DEP_2) | instskip(SKIP_1) | instid1(VALU_DEP_2)
	v_dual_cndmask_b32 v43, v43, v29 :: v_dual_cndmask_b32 v44, v44, v28
	v_cmp_eq_u32_e32 vcc_lo, 15, v36
	v_cndmask_b32_e64 v43, v43, v31, s4
	s_delay_alu instid0(VALU_DEP_3) | instskip(NEXT) | instid1(VALU_DEP_1)
	v_cndmask_b32_e64 v45, v44, v30, s4
	v_dual_cndmask_b32 v44, v43, v33 :: v_dual_cndmask_b32 v43, v45, v32
	v_cmp_lt_u32_e32 vcc_lo, 5, v36
	s_waitcnt lgkmcnt(0)
	s_delay_alu instid0(VALU_DEP_2) | instskip(SKIP_1) | instid1(SALU_CYCLE_1)
	v_fma_f64 v[34:35], v[43:44], v[41:42], v[34:35]
	s_or_b32 s7, vcc_lo, s7
	s_and_not1_b32 exec_lo, exec_lo, s7
	s_cbranch_execnz .LBB79_289
; %bb.290:
	s_or_b32 exec_lo, exec_lo, s7
.LBB79_291:
	s_delay_alu instid0(SALU_CYCLE_1)
	s_or_b32 exec_lo, exec_lo, s6
	v_mov_b32_e32 v16, 0
	ds_load_b64 v[16:17], v16 offset:56
	s_waitcnt lgkmcnt(0)
	v_mul_f64 v[16:17], v[34:35], v[16:17]
.LBB79_292:
	s_or_b32 exec_lo, exec_lo, s5
	s_delay_alu instid0(SALU_CYCLE_1)
	s_mov_b32 s5, exec_lo
	ds_store_b64 v100, v[18:19]
	s_waitcnt lgkmcnt(0)
	s_barrier
	buffer_gl0_inv
	v_cmpx_gt_u32_e32 8, v0
	s_cbranch_execz .LBB79_302
; %bb.293:
	v_cmp_ne_u32_e32 vcc_lo, 1, v38
	s_cbranch_vccnz .LBB79_295
; %bb.294:
	v_cmp_eq_u32_e32 vcc_lo, 1, v0
	v_dual_cndmask_b32 v34, v3, v5 :: v_dual_cndmask_b32 v35, v2, v4
	v_cmp_eq_u32_e32 vcc_lo, 2, v0
	s_delay_alu instid0(VALU_DEP_2) | instskip(SKIP_1) | instid1(VALU_DEP_2)
	v_dual_cndmask_b32 v34, v34, v7 :: v_dual_cndmask_b32 v35, v35, v6
	v_cmp_eq_u32_e32 vcc_lo, 3, v0
	v_dual_cndmask_b32 v34, v34, v9 :: v_dual_cndmask_b32 v35, v35, v8
	v_cmp_eq_u32_e32 vcc_lo, 4, v0
	s_delay_alu instid0(VALU_DEP_2) | instskip(SKIP_1) | instid1(VALU_DEP_2)
	v_dual_cndmask_b32 v34, v34, v11 :: v_dual_cndmask_b32 v35, v35, v10
	;; [unrolled: 5-line block ×5, first 2 shown]
	v_cmp_eq_u32_e32 vcc_lo, 11, v0
	v_dual_cndmask_b32 v34, v34, v25 :: v_dual_cndmask_b32 v35, v35, v24
	v_cmp_eq_u32_e32 vcc_lo, 12, v0
	s_delay_alu instid0(VALU_DEP_2) | instskip(SKIP_4) | instid1(VALU_DEP_2)
	v_dual_cndmask_b32 v36, v34, v27 :: v_dual_cndmask_b32 v37, v35, v26
	v_cmp_eq_u32_e32 vcc_lo, 13, v0
	ds_load_b64 v[34:35], v100
	v_dual_cndmask_b32 v36, v36, v29 :: v_dual_cndmask_b32 v37, v37, v28
	v_cmp_eq_u32_e32 vcc_lo, 14, v0
	v_cndmask_b32_e32 v36, v36, v31, vcc_lo
	s_delay_alu instid0(VALU_DEP_3) | instskip(SKIP_1) | instid1(VALU_DEP_3)
	v_cndmask_b32_e32 v40, v37, v30, vcc_lo
	v_cmp_eq_u32_e32 vcc_lo, 15, v0
	v_cndmask_b32_e32 v37, v36, v33, vcc_lo
	s_delay_alu instid0(VALU_DEP_3) | instskip(SKIP_1) | instid1(VALU_DEP_1)
	v_cndmask_b32_e32 v36, v40, v32, vcc_lo
	s_waitcnt lgkmcnt(0)
	v_mul_f64 v[34:35], v[36:37], v[34:35]
	s_cbranch_execz .LBB79_296
	s_branch .LBB79_297
.LBB79_295:
                                        ; implicit-def: $vgpr34_vgpr35
.LBB79_296:
	ds_load_b64 v[34:35], v100
.LBB79_297:
	s_mov_b32 s6, exec_lo
	v_cmpx_ne_u32_e32 7, v0
	s_cbranch_execz .LBB79_301
; %bb.298:
	v_lshl_add_u32 v40, v0, 3, 0x88
	v_dual_mov_b32 v37, v1 :: v_dual_mov_b32 v36, v0
	s_mov_b32 s7, 0
.LBB79_299:                             ; =>This Inner Loop Header: Depth=1
	s_delay_alu instid0(VALU_DEP_1) | instskip(NEXT) | instid1(VALU_DEP_2)
	v_add_co_u32 v36, vcc_lo, v36, 1
	v_add_co_ci_u32_e32 v37, vcc_lo, 0, v37, vcc_lo
	s_delay_alu instid0(VALU_DEP_2) | instskip(SKIP_3) | instid1(VALU_DEP_2)
	v_cmp_eq_u32_e32 vcc_lo, 1, v36
	v_cmp_eq_u32_e64 s4, 2, v36
	v_dual_cndmask_b32 v41, v3, v5 :: v_dual_cndmask_b32 v42, v2, v4
	v_cmp_eq_u32_e32 vcc_lo, 3, v36
	v_cndmask_b32_e64 v41, v41, v7, s4
	s_delay_alu instid0(VALU_DEP_3) | instskip(SKIP_1) | instid1(VALU_DEP_2)
	v_cndmask_b32_e64 v42, v42, v6, s4
	v_cmp_eq_u32_e64 s4, 4, v36
	v_dual_cndmask_b32 v41, v41, v9 :: v_dual_cndmask_b32 v42, v42, v8
	v_cmp_eq_u32_e32 vcc_lo, 5, v36
	s_delay_alu instid0(VALU_DEP_2) | instskip(NEXT) | instid1(VALU_DEP_3)
	v_cndmask_b32_e64 v41, v41, v11, s4
	v_cndmask_b32_e64 v42, v42, v10, s4
	v_cmp_eq_u32_e64 s4, 6, v36
	s_delay_alu instid0(VALU_DEP_2) | instskip(SKIP_1) | instid1(VALU_DEP_2)
	v_dual_cndmask_b32 v41, v41, v13 :: v_dual_cndmask_b32 v42, v42, v12
	v_cmp_eq_u32_e32 vcc_lo, 7, v36
	v_cndmask_b32_e64 v41, v41, v15, s4
	s_delay_alu instid0(VALU_DEP_3) | instskip(SKIP_1) | instid1(VALU_DEP_2)
	v_cndmask_b32_e64 v42, v42, v14, s4
	v_cmp_eq_u32_e64 s4, 8, v36
	v_dual_cndmask_b32 v41, v41, v17 :: v_dual_cndmask_b32 v42, v42, v16
	v_cmp_eq_u32_e32 vcc_lo, 9, v36
	s_delay_alu instid0(VALU_DEP_2) | instskip(NEXT) | instid1(VALU_DEP_3)
	v_cndmask_b32_e64 v41, v41, v19, s4
	v_cndmask_b32_e64 v42, v42, v18, s4
	v_cmp_eq_u32_e64 s4, 10, v36
	s_delay_alu instid0(VALU_DEP_2) | instskip(SKIP_1) | instid1(VALU_DEP_2)
	v_dual_cndmask_b32 v41, v41, v21 :: v_dual_cndmask_b32 v42, v42, v20
	v_cmp_eq_u32_e32 vcc_lo, 11, v36
	v_cndmask_b32_e64 v41, v41, v23, s4
	s_delay_alu instid0(VALU_DEP_3) | instskip(SKIP_1) | instid1(VALU_DEP_2)
	v_cndmask_b32_e64 v42, v42, v22, s4
	v_cmp_eq_u32_e64 s4, 12, v36
	v_dual_cndmask_b32 v43, v41, v25 :: v_dual_cndmask_b32 v44, v42, v24
	ds_load_b64 v[41:42], v40
	v_cmp_eq_u32_e32 vcc_lo, 13, v36
	v_add_nc_u32_e32 v40, 8, v40
	v_cndmask_b32_e64 v43, v43, v27, s4
	v_cndmask_b32_e64 v44, v44, v26, s4
	v_cmp_eq_u32_e64 s4, 14, v36
	s_delay_alu instid0(VALU_DEP_2) | instskip(SKIP_1) | instid1(VALU_DEP_2)
	v_dual_cndmask_b32 v43, v43, v29 :: v_dual_cndmask_b32 v44, v44, v28
	v_cmp_eq_u32_e32 vcc_lo, 15, v36
	v_cndmask_b32_e64 v43, v43, v31, s4
	s_delay_alu instid0(VALU_DEP_3) | instskip(NEXT) | instid1(VALU_DEP_1)
	v_cndmask_b32_e64 v45, v44, v30, s4
	v_dual_cndmask_b32 v44, v43, v33 :: v_dual_cndmask_b32 v43, v45, v32
	v_cmp_lt_u32_e32 vcc_lo, 6, v36
	s_waitcnt lgkmcnt(0)
	s_delay_alu instid0(VALU_DEP_2) | instskip(SKIP_1) | instid1(SALU_CYCLE_1)
	v_fma_f64 v[34:35], v[43:44], v[41:42], v[34:35]
	s_or_b32 s7, vcc_lo, s7
	s_and_not1_b32 exec_lo, exec_lo, s7
	s_cbranch_execnz .LBB79_299
; %bb.300:
	s_or_b32 exec_lo, exec_lo, s7
.LBB79_301:
	s_delay_alu instid0(SALU_CYCLE_1)
	s_or_b32 exec_lo, exec_lo, s6
	v_mov_b32_e32 v18, 0
	ds_load_b64 v[18:19], v18 offset:64
	s_waitcnt lgkmcnt(0)
	v_mul_f64 v[18:19], v[34:35], v[18:19]
.LBB79_302:
	s_or_b32 exec_lo, exec_lo, s5
	s_delay_alu instid0(SALU_CYCLE_1)
	s_mov_b32 s4, exec_lo
	ds_store_b64 v100, v[20:21]
	s_waitcnt lgkmcnt(0)
	s_barrier
	buffer_gl0_inv
	v_cmpx_gt_u32_e32 9, v0
	s_cbranch_execz .LBB79_324
; %bb.303:
	v_cmp_ne_u32_e32 vcc_lo, 1, v38
	s_cbranch_vccnz .LBB79_305
; %bb.304:
	v_cmp_eq_u32_e32 vcc_lo, 1, v0
	v_dual_cndmask_b32 v34, v3, v5 :: v_dual_cndmask_b32 v35, v2, v4
	v_cmp_eq_u32_e32 vcc_lo, 2, v0
	s_delay_alu instid0(VALU_DEP_2) | instskip(SKIP_1) | instid1(VALU_DEP_2)
	v_dual_cndmask_b32 v34, v34, v7 :: v_dual_cndmask_b32 v35, v35, v6
	v_cmp_eq_u32_e32 vcc_lo, 3, v0
	v_dual_cndmask_b32 v34, v34, v9 :: v_dual_cndmask_b32 v35, v35, v8
	v_cmp_eq_u32_e32 vcc_lo, 4, v0
	s_delay_alu instid0(VALU_DEP_2) | instskip(SKIP_1) | instid1(VALU_DEP_2)
	v_dual_cndmask_b32 v34, v34, v11 :: v_dual_cndmask_b32 v35, v35, v10
	;; [unrolled: 5-line block ×5, first 2 shown]
	v_cmp_eq_u32_e32 vcc_lo, 11, v0
	v_dual_cndmask_b32 v34, v34, v25 :: v_dual_cndmask_b32 v35, v35, v24
	v_cmp_eq_u32_e32 vcc_lo, 12, v0
	s_delay_alu instid0(VALU_DEP_2) | instskip(SKIP_4) | instid1(VALU_DEP_2)
	v_dual_cndmask_b32 v36, v34, v27 :: v_dual_cndmask_b32 v37, v35, v26
	v_cmp_eq_u32_e32 vcc_lo, 13, v0
	ds_load_b64 v[34:35], v100
	v_dual_cndmask_b32 v36, v36, v29 :: v_dual_cndmask_b32 v37, v37, v28
	v_cmp_eq_u32_e32 vcc_lo, 14, v0
	v_cndmask_b32_e32 v36, v36, v31, vcc_lo
	s_delay_alu instid0(VALU_DEP_3) | instskip(SKIP_1) | instid1(VALU_DEP_3)
	v_cndmask_b32_e32 v40, v37, v30, vcc_lo
	v_cmp_eq_u32_e32 vcc_lo, 15, v0
	v_cndmask_b32_e32 v37, v36, v33, vcc_lo
	s_delay_alu instid0(VALU_DEP_3) | instskip(SKIP_1) | instid1(VALU_DEP_1)
	v_cndmask_b32_e32 v36, v40, v32, vcc_lo
	s_waitcnt lgkmcnt(0)
	v_mul_f64 v[34:35], v[36:37], v[34:35]
	s_cbranch_execz .LBB79_306
	s_branch .LBB79_307
.LBB79_305:
                                        ; implicit-def: $vgpr34_vgpr35
.LBB79_306:
	ds_load_b64 v[34:35], v100
.LBB79_307:
	s_mov_b32 s5, exec_lo
	v_cmpx_ne_u32_e32 8, v0
	s_cbranch_execz .LBB79_323
; %bb.308:
	v_cmp_eq_u32_e32 vcc_lo, 1, v39
	v_dual_cndmask_b32 v36, v3, v5 :: v_dual_cndmask_b32 v37, v2, v4
	v_cmp_eq_u32_e32 vcc_lo, 2, v39
	s_delay_alu instid0(VALU_DEP_2) | instskip(SKIP_1) | instid1(VALU_DEP_2)
	v_dual_cndmask_b32 v36, v36, v7 :: v_dual_cndmask_b32 v37, v37, v6
	v_cmp_eq_u32_e32 vcc_lo, 3, v39
	v_dual_cndmask_b32 v36, v36, v9 :: v_dual_cndmask_b32 v37, v37, v8
	v_cmp_eq_u32_e32 vcc_lo, 4, v39
	s_delay_alu instid0(VALU_DEP_2) | instskip(SKIP_1) | instid1(VALU_DEP_2)
	v_dual_cndmask_b32 v36, v36, v11 :: v_dual_cndmask_b32 v37, v37, v10
	;; [unrolled: 5-line block ×5, first 2 shown]
	v_cmp_eq_u32_e32 vcc_lo, 11, v39
	v_dual_cndmask_b32 v36, v36, v25 :: v_dual_cndmask_b32 v37, v37, v24
	v_cmp_eq_u32_e32 vcc_lo, 12, v39
	s_delay_alu instid0(VALU_DEP_2) | instskip(SKIP_4) | instid1(VALU_DEP_2)
	v_dual_cndmask_b32 v40, v36, v27 :: v_dual_cndmask_b32 v41, v37, v26
	v_cmp_eq_u32_e32 vcc_lo, 13, v39
	ds_load_b64 v[36:37], v100 offset:8
	v_dual_cndmask_b32 v40, v40, v29 :: v_dual_cndmask_b32 v41, v41, v28
	v_cmp_eq_u32_e32 vcc_lo, 14, v39
	v_dual_cndmask_b32 v40, v40, v31 :: v_dual_cndmask_b32 v41, v41, v30
	v_cmp_eq_u32_e32 vcc_lo, 15, v39
	s_delay_alu instid0(VALU_DEP_2) | instskip(SKIP_1) | instid1(VALU_DEP_1)
	v_dual_cndmask_b32 v40, v40, v33 :: v_dual_cndmask_b32 v39, v41, v32
	s_waitcnt lgkmcnt(0)
	v_fma_f64 v[34:35], v[39:40], v[36:37], v[34:35]
	s_and_saveexec_b32 s6, s3
	s_cbranch_execz .LBB79_322
; %bb.309:
	v_add_nc_u32_e32 v39, 2, v0
	s_mov_b32 s3, exec_lo
	s_delay_alu instid0(VALU_DEP_1) | instskip(SKIP_2) | instid1(VALU_DEP_2)
	v_cmp_eq_u32_e32 vcc_lo, 1, v39
	v_dual_cndmask_b32 v36, v3, v5 :: v_dual_cndmask_b32 v37, v2, v4
	v_cmp_eq_u32_e32 vcc_lo, 2, v39
	v_dual_cndmask_b32 v36, v36, v7 :: v_dual_cndmask_b32 v37, v37, v6
	v_cmp_eq_u32_e32 vcc_lo, 3, v39
	s_delay_alu instid0(VALU_DEP_2) | instskip(SKIP_1) | instid1(VALU_DEP_2)
	v_dual_cndmask_b32 v36, v36, v9 :: v_dual_cndmask_b32 v37, v37, v8
	v_cmp_eq_u32_e32 vcc_lo, 4, v39
	v_dual_cndmask_b32 v36, v36, v11 :: v_dual_cndmask_b32 v37, v37, v10
	v_cmp_eq_u32_e32 vcc_lo, 5, v39
	s_delay_alu instid0(VALU_DEP_2) | instskip(SKIP_1) | instid1(VALU_DEP_2)
	;; [unrolled: 5-line block ×5, first 2 shown]
	v_dual_cndmask_b32 v36, v36, v25 :: v_dual_cndmask_b32 v37, v37, v24
	v_cmp_eq_u32_e32 vcc_lo, 12, v39
	v_dual_cndmask_b32 v40, v36, v27 :: v_dual_cndmask_b32 v41, v37, v26
	v_cmp_eq_u32_e32 vcc_lo, 13, v39
	ds_load_b64 v[36:37], v100 offset:16
	v_dual_cndmask_b32 v40, v40, v29 :: v_dual_cndmask_b32 v41, v41, v28
	v_cmp_eq_u32_e32 vcc_lo, 14, v39
	s_delay_alu instid0(VALU_DEP_2) | instskip(SKIP_1) | instid1(VALU_DEP_2)
	v_dual_cndmask_b32 v40, v40, v31 :: v_dual_cndmask_b32 v41, v41, v30
	v_cmp_eq_u32_e32 vcc_lo, 15, v39
	v_dual_cndmask_b32 v40, v40, v33 :: v_dual_cndmask_b32 v39, v41, v32
	s_waitcnt lgkmcnt(0)
	s_delay_alu instid0(VALU_DEP_1)
	v_fma_f64 v[34:35], v[39:40], v[36:37], v[34:35]
	v_cmpx_ne_u32_e32 6, v0
	s_cbranch_execz .LBB79_321
; %bb.310:
	v_add_nc_u32_e32 v39, 3, v0
	s_delay_alu instid0(VALU_DEP_1) | instskip(SKIP_2) | instid1(VALU_DEP_2)
	v_cmp_eq_u32_e32 vcc_lo, 1, v39
	v_dual_cndmask_b32 v36, v3, v5 :: v_dual_cndmask_b32 v37, v2, v4
	v_cmp_eq_u32_e32 vcc_lo, 2, v39
	v_dual_cndmask_b32 v36, v36, v7 :: v_dual_cndmask_b32 v37, v37, v6
	v_cmp_eq_u32_e32 vcc_lo, 3, v39
	s_delay_alu instid0(VALU_DEP_2) | instskip(SKIP_1) | instid1(VALU_DEP_2)
	v_dual_cndmask_b32 v36, v36, v9 :: v_dual_cndmask_b32 v37, v37, v8
	v_cmp_eq_u32_e32 vcc_lo, 4, v39
	v_dual_cndmask_b32 v36, v36, v11 :: v_dual_cndmask_b32 v37, v37, v10
	v_cmp_eq_u32_e32 vcc_lo, 5, v39
	s_delay_alu instid0(VALU_DEP_2) | instskip(SKIP_1) | instid1(VALU_DEP_2)
	;; [unrolled: 5-line block ×5, first 2 shown]
	v_dual_cndmask_b32 v36, v36, v25 :: v_dual_cndmask_b32 v37, v37, v24
	v_cmp_eq_u32_e32 vcc_lo, 12, v39
	v_dual_cndmask_b32 v40, v36, v27 :: v_dual_cndmask_b32 v41, v37, v26
	v_cmp_eq_u32_e32 vcc_lo, 13, v39
	ds_load_b64 v[36:37], v100 offset:24
	v_dual_cndmask_b32 v40, v40, v29 :: v_dual_cndmask_b32 v41, v41, v28
	v_cmp_eq_u32_e32 vcc_lo, 14, v39
	s_delay_alu instid0(VALU_DEP_2) | instskip(SKIP_1) | instid1(VALU_DEP_2)
	v_dual_cndmask_b32 v40, v40, v31 :: v_dual_cndmask_b32 v41, v41, v30
	v_cmp_eq_u32_e32 vcc_lo, 15, v39
	v_dual_cndmask_b32 v40, v40, v33 :: v_dual_cndmask_b32 v39, v41, v32
	s_waitcnt lgkmcnt(0)
	s_delay_alu instid0(VALU_DEP_1)
	v_fma_f64 v[34:35], v[39:40], v[36:37], v[34:35]
	s_and_saveexec_b32 s7, s2
	s_cbranch_execz .LBB79_320
; %bb.311:
	v_add_nc_u32_e32 v39, 4, v0
	s_mov_b32 s2, exec_lo
	s_delay_alu instid0(VALU_DEP_1) | instskip(SKIP_2) | instid1(VALU_DEP_2)
	v_cmp_eq_u32_e32 vcc_lo, 1, v39
	v_dual_cndmask_b32 v36, v3, v5 :: v_dual_cndmask_b32 v37, v2, v4
	v_cmp_eq_u32_e32 vcc_lo, 2, v39
	v_dual_cndmask_b32 v36, v36, v7 :: v_dual_cndmask_b32 v37, v37, v6
	v_cmp_eq_u32_e32 vcc_lo, 3, v39
	s_delay_alu instid0(VALU_DEP_2) | instskip(SKIP_1) | instid1(VALU_DEP_2)
	v_dual_cndmask_b32 v36, v36, v9 :: v_dual_cndmask_b32 v37, v37, v8
	v_cmp_eq_u32_e32 vcc_lo, 4, v39
	v_dual_cndmask_b32 v36, v36, v11 :: v_dual_cndmask_b32 v37, v37, v10
	v_cmp_eq_u32_e32 vcc_lo, 5, v39
	s_delay_alu instid0(VALU_DEP_2) | instskip(SKIP_1) | instid1(VALU_DEP_2)
	;; [unrolled: 5-line block ×5, first 2 shown]
	v_dual_cndmask_b32 v36, v36, v25 :: v_dual_cndmask_b32 v37, v37, v24
	v_cmp_eq_u32_e32 vcc_lo, 12, v39
	v_dual_cndmask_b32 v40, v36, v27 :: v_dual_cndmask_b32 v41, v37, v26
	v_cmp_eq_u32_e32 vcc_lo, 13, v39
	ds_load_b64 v[36:37], v100 offset:32
	v_dual_cndmask_b32 v40, v40, v29 :: v_dual_cndmask_b32 v41, v41, v28
	v_cmp_eq_u32_e32 vcc_lo, 14, v39
	s_delay_alu instid0(VALU_DEP_2) | instskip(SKIP_1) | instid1(VALU_DEP_2)
	v_dual_cndmask_b32 v40, v40, v31 :: v_dual_cndmask_b32 v41, v41, v30
	v_cmp_eq_u32_e32 vcc_lo, 15, v39
	v_dual_cndmask_b32 v40, v40, v33 :: v_dual_cndmask_b32 v39, v41, v32
	s_waitcnt lgkmcnt(0)
	s_delay_alu instid0(VALU_DEP_1)
	v_fma_f64 v[34:35], v[39:40], v[36:37], v[34:35]
	v_cmpx_ne_u32_e32 4, v0
	s_cbranch_execz .LBB79_319
; %bb.312:
	v_add_nc_u32_e32 v39, 5, v0
	s_delay_alu instid0(VALU_DEP_1) | instskip(SKIP_2) | instid1(VALU_DEP_2)
	v_cmp_eq_u32_e32 vcc_lo, 1, v39
	v_dual_cndmask_b32 v36, v3, v5 :: v_dual_cndmask_b32 v37, v2, v4
	v_cmp_eq_u32_e32 vcc_lo, 2, v39
	v_dual_cndmask_b32 v36, v36, v7 :: v_dual_cndmask_b32 v37, v37, v6
	v_cmp_eq_u32_e32 vcc_lo, 3, v39
	s_delay_alu instid0(VALU_DEP_2) | instskip(SKIP_1) | instid1(VALU_DEP_2)
	v_dual_cndmask_b32 v36, v36, v9 :: v_dual_cndmask_b32 v37, v37, v8
	v_cmp_eq_u32_e32 vcc_lo, 4, v39
	v_dual_cndmask_b32 v36, v36, v11 :: v_dual_cndmask_b32 v37, v37, v10
	v_cmp_eq_u32_e32 vcc_lo, 5, v39
	s_delay_alu instid0(VALU_DEP_2) | instskip(SKIP_1) | instid1(VALU_DEP_2)
	;; [unrolled: 5-line block ×5, first 2 shown]
	v_dual_cndmask_b32 v36, v36, v25 :: v_dual_cndmask_b32 v37, v37, v24
	v_cmp_eq_u32_e32 vcc_lo, 12, v39
	v_dual_cndmask_b32 v40, v36, v27 :: v_dual_cndmask_b32 v41, v37, v26
	v_cmp_eq_u32_e32 vcc_lo, 13, v39
	ds_load_b64 v[36:37], v100 offset:40
	v_dual_cndmask_b32 v40, v40, v29 :: v_dual_cndmask_b32 v41, v41, v28
	v_cmp_eq_u32_e32 vcc_lo, 14, v39
	s_delay_alu instid0(VALU_DEP_2) | instskip(SKIP_1) | instid1(VALU_DEP_2)
	v_dual_cndmask_b32 v40, v40, v31 :: v_dual_cndmask_b32 v41, v41, v30
	v_cmp_eq_u32_e32 vcc_lo, 15, v39
	v_dual_cndmask_b32 v40, v40, v33 :: v_dual_cndmask_b32 v39, v41, v32
	s_waitcnt lgkmcnt(0)
	s_delay_alu instid0(VALU_DEP_1)
	v_fma_f64 v[34:35], v[39:40], v[36:37], v[34:35]
	s_and_saveexec_b32 s8, s1
	s_cbranch_execz .LBB79_318
; %bb.313:
	v_add_nc_u32_e32 v39, 6, v0
	s_mov_b32 s1, exec_lo
	s_delay_alu instid0(VALU_DEP_1) | instskip(SKIP_2) | instid1(VALU_DEP_2)
	v_cmp_eq_u32_e32 vcc_lo, 1, v39
	v_dual_cndmask_b32 v36, v3, v5 :: v_dual_cndmask_b32 v37, v2, v4
	v_cmp_eq_u32_e32 vcc_lo, 2, v39
	v_dual_cndmask_b32 v36, v36, v7 :: v_dual_cndmask_b32 v37, v37, v6
	v_cmp_eq_u32_e32 vcc_lo, 3, v39
	s_delay_alu instid0(VALU_DEP_2) | instskip(SKIP_1) | instid1(VALU_DEP_2)
	v_dual_cndmask_b32 v36, v36, v9 :: v_dual_cndmask_b32 v37, v37, v8
	v_cmp_eq_u32_e32 vcc_lo, 4, v39
	v_dual_cndmask_b32 v36, v36, v11 :: v_dual_cndmask_b32 v37, v37, v10
	v_cmp_eq_u32_e32 vcc_lo, 5, v39
	s_delay_alu instid0(VALU_DEP_2) | instskip(SKIP_1) | instid1(VALU_DEP_2)
	;; [unrolled: 5-line block ×5, first 2 shown]
	v_dual_cndmask_b32 v36, v36, v25 :: v_dual_cndmask_b32 v37, v37, v24
	v_cmp_eq_u32_e32 vcc_lo, 12, v39
	v_dual_cndmask_b32 v40, v36, v27 :: v_dual_cndmask_b32 v41, v37, v26
	v_cmp_eq_u32_e32 vcc_lo, 13, v39
	ds_load_b64 v[36:37], v100 offset:48
	v_dual_cndmask_b32 v40, v40, v29 :: v_dual_cndmask_b32 v41, v41, v28
	v_cmp_eq_u32_e32 vcc_lo, 14, v39
	s_delay_alu instid0(VALU_DEP_2) | instskip(SKIP_1) | instid1(VALU_DEP_2)
	v_dual_cndmask_b32 v40, v40, v31 :: v_dual_cndmask_b32 v41, v41, v30
	v_cmp_eq_u32_e32 vcc_lo, 15, v39
	v_dual_cndmask_b32 v40, v40, v33 :: v_dual_cndmask_b32 v39, v41, v32
	s_waitcnt lgkmcnt(0)
	s_delay_alu instid0(VALU_DEP_1)
	v_fma_f64 v[34:35], v[39:40], v[36:37], v[34:35]
	v_cmpx_ne_u32_e32 2, v0
	s_cbranch_execz .LBB79_317
; %bb.314:
	v_add_nc_u32_e32 v36, 7, v0
	s_delay_alu instid0(VALU_DEP_1) | instskip(SKIP_3) | instid1(VALU_DEP_3)
	v_cmp_eq_u32_e32 vcc_lo, 1, v36
	v_cndmask_b32_e32 v37, v3, v5, vcc_lo
	v_cndmask_b32_e32 v39, v2, v4, vcc_lo
	v_cmp_eq_u32_e32 vcc_lo, 2, v36
	v_cndmask_b32_e32 v37, v37, v7, vcc_lo
	s_delay_alu instid0(VALU_DEP_3) | instskip(SKIP_1) | instid1(VALU_DEP_3)
	v_cndmask_b32_e32 v39, v39, v6, vcc_lo
	v_cmp_eq_u32_e32 vcc_lo, 3, v36
	v_cndmask_b32_e32 v37, v37, v9, vcc_lo
	s_delay_alu instid0(VALU_DEP_3) | instskip(SKIP_1) | instid1(VALU_DEP_3)
	;; [unrolled: 4-line block ×6, first 2 shown]
	v_cndmask_b32_e32 v39, v39, v16, vcc_lo
	v_cmp_eq_u32_e32 vcc_lo, 8, v36
	v_cndmask_b32_e32 v37, v37, v19, vcc_lo
	s_delay_alu instid0(VALU_DEP_3) | instskip(SKIP_1) | instid1(VALU_DEP_2)
	v_cndmask_b32_e32 v39, v39, v18, vcc_lo
	v_cmp_eq_u32_e32 vcc_lo, 9, v36
	v_dual_cndmask_b32 v21, v37, v21 :: v_dual_cndmask_b32 v20, v39, v20
	v_cmp_eq_u32_e32 vcc_lo, 10, v36
	s_delay_alu instid0(VALU_DEP_2) | instskip(SKIP_1) | instid1(VALU_DEP_2)
	v_dual_cndmask_b32 v21, v21, v23 :: v_dual_cndmask_b32 v20, v20, v22
	v_cmp_eq_u32_e32 vcc_lo, 11, v36
	v_dual_cndmask_b32 v21, v21, v25 :: v_dual_cndmask_b32 v20, v20, v24
	v_cmp_eq_u32_e32 vcc_lo, 12, v36
	s_delay_alu instid0(VALU_DEP_2) | instskip(NEXT) | instid1(VALU_DEP_3)
	v_cndmask_b32_e32 v37, v21, v27, vcc_lo
	v_cndmask_b32_e32 v39, v20, v26, vcc_lo
	v_cmp_eq_u32_e32 vcc_lo, 13, v36
	ds_load_b64 v[20:21], v100 offset:56
	v_cndmask_b32_e32 v37, v37, v29, vcc_lo
	v_cndmask_b32_e32 v39, v39, v28, vcc_lo
	v_cmp_eq_u32_e32 vcc_lo, 14, v36
	s_delay_alu instid0(VALU_DEP_3) | instskip(NEXT) | instid1(VALU_DEP_3)
	v_cndmask_b32_e32 v37, v37, v31, vcc_lo
	v_cndmask_b32_e32 v39, v39, v30, vcc_lo
	v_cmp_eq_u32_e32 vcc_lo, 15, v36
	s_delay_alu instid0(VALU_DEP_2) | instskip(SKIP_1) | instid1(VALU_DEP_1)
	v_dual_cndmask_b32 v36, v39, v32 :: v_dual_cndmask_b32 v37, v37, v33
	s_waitcnt lgkmcnt(0)
	v_fma_f64 v[34:35], v[36:37], v[20:21], v[34:35]
	s_and_saveexec_b32 s9, s0
	s_cbranch_execz .LBB79_316
; %bb.315:
	ds_load_b64 v[20:21], v100 offset:64
	s_waitcnt lgkmcnt(0)
	v_fma_f64 v[34:35], v[18:19], v[20:21], v[34:35]
.LBB79_316:
	s_or_b32 exec_lo, exec_lo, s9
.LBB79_317:
	s_delay_alu instid0(SALU_CYCLE_1)
	s_or_b32 exec_lo, exec_lo, s1
.LBB79_318:
	s_delay_alu instid0(SALU_CYCLE_1)
	s_or_b32 exec_lo, exec_lo, s8
.LBB79_319:
	s_delay_alu instid0(SALU_CYCLE_1)
	s_or_b32 exec_lo, exec_lo, s2
.LBB79_320:
	s_delay_alu instid0(SALU_CYCLE_1)
	s_or_b32 exec_lo, exec_lo, s7
.LBB79_321:
	s_delay_alu instid0(SALU_CYCLE_1)
	s_or_b32 exec_lo, exec_lo, s3
.LBB79_322:
	s_delay_alu instid0(SALU_CYCLE_1)
	s_or_b32 exec_lo, exec_lo, s6
.LBB79_323:
	s_delay_alu instid0(SALU_CYCLE_1)
	s_or_b32 exec_lo, exec_lo, s5
	v_mov_b32_e32 v20, 0
	ds_load_b64 v[20:21], v20 offset:72
	s_waitcnt lgkmcnt(0)
	v_mul_f64 v[20:21], v[34:35], v[20:21]
.LBB79_324:
	s_or_b32 exec_lo, exec_lo, s4
	s_delay_alu instid0(SALU_CYCLE_1)
	s_mov_b32 s1, exec_lo
	ds_store_b64 v100, v[22:23]
	s_waitcnt lgkmcnt(0)
	s_barrier
	buffer_gl0_inv
	v_cmpx_gt_u32_e32 10, v0
	s_cbranch_execz .LBB79_334
; %bb.325:
	v_cmp_ne_u32_e32 vcc_lo, 1, v38
	s_cbranch_vccnz .LBB79_327
; %bb.326:
	v_cmp_eq_u32_e32 vcc_lo, 1, v0
	v_dual_cndmask_b32 v34, v3, v5 :: v_dual_cndmask_b32 v35, v2, v4
	v_cmp_eq_u32_e32 vcc_lo, 2, v0
	s_delay_alu instid0(VALU_DEP_2) | instskip(SKIP_1) | instid1(VALU_DEP_2)
	v_dual_cndmask_b32 v34, v34, v7 :: v_dual_cndmask_b32 v35, v35, v6
	v_cmp_eq_u32_e32 vcc_lo, 3, v0
	v_dual_cndmask_b32 v34, v34, v9 :: v_dual_cndmask_b32 v35, v35, v8
	v_cmp_eq_u32_e32 vcc_lo, 4, v0
	s_delay_alu instid0(VALU_DEP_2) | instskip(SKIP_1) | instid1(VALU_DEP_2)
	v_dual_cndmask_b32 v34, v34, v11 :: v_dual_cndmask_b32 v35, v35, v10
	v_cmp_eq_u32_e32 vcc_lo, 5, v0
	v_dual_cndmask_b32 v34, v34, v13 :: v_dual_cndmask_b32 v35, v35, v12
	v_cmp_eq_u32_e32 vcc_lo, 6, v0
	s_delay_alu instid0(VALU_DEP_2) | instskip(SKIP_1) | instid1(VALU_DEP_2)
	v_dual_cndmask_b32 v34, v34, v15 :: v_dual_cndmask_b32 v35, v35, v14
	v_cmp_eq_u32_e32 vcc_lo, 7, v0
	v_dual_cndmask_b32 v34, v34, v17 :: v_dual_cndmask_b32 v35, v35, v16
	v_cmp_eq_u32_e32 vcc_lo, 8, v0
	s_delay_alu instid0(VALU_DEP_2) | instskip(SKIP_1) | instid1(VALU_DEP_2)
	v_dual_cndmask_b32 v34, v34, v19 :: v_dual_cndmask_b32 v35, v35, v18
	v_cmp_eq_u32_e32 vcc_lo, 9, v0
	v_dual_cndmask_b32 v34, v34, v21 :: v_dual_cndmask_b32 v35, v35, v20
	v_cmp_eq_u32_e32 vcc_lo, 10, v0
	s_delay_alu instid0(VALU_DEP_2) | instskip(SKIP_1) | instid1(VALU_DEP_2)
	v_dual_cndmask_b32 v34, v34, v23 :: v_dual_cndmask_b32 v35, v35, v22
	v_cmp_eq_u32_e32 vcc_lo, 11, v0
	v_dual_cndmask_b32 v34, v34, v25 :: v_dual_cndmask_b32 v35, v35, v24
	v_cmp_eq_u32_e32 vcc_lo, 12, v0
	s_delay_alu instid0(VALU_DEP_2) | instskip(SKIP_4) | instid1(VALU_DEP_2)
	v_dual_cndmask_b32 v36, v34, v27 :: v_dual_cndmask_b32 v37, v35, v26
	v_cmp_eq_u32_e32 vcc_lo, 13, v0
	ds_load_b64 v[34:35], v100
	v_dual_cndmask_b32 v36, v36, v29 :: v_dual_cndmask_b32 v37, v37, v28
	v_cmp_eq_u32_e32 vcc_lo, 14, v0
	v_dual_cndmask_b32 v36, v36, v31 :: v_dual_cndmask_b32 v39, v37, v30
	v_cmp_eq_u32_e32 vcc_lo, 15, v0
	s_delay_alu instid0(VALU_DEP_2) | instskip(SKIP_1) | instid1(VALU_DEP_1)
	v_dual_cndmask_b32 v37, v36, v33 :: v_dual_cndmask_b32 v36, v39, v32
	s_waitcnt lgkmcnt(0)
	v_mul_f64 v[34:35], v[36:37], v[34:35]
	s_cbranch_execz .LBB79_328
	s_branch .LBB79_329
.LBB79_327:
                                        ; implicit-def: $vgpr34_vgpr35
.LBB79_328:
	ds_load_b64 v[34:35], v100
.LBB79_329:
	s_mov_b32 s2, exec_lo
	v_cmpx_ne_u32_e32 9, v0
	s_cbranch_execz .LBB79_333
; %bb.330:
	v_lshl_add_u32 v39, v0, 3, 0x88
	v_dual_mov_b32 v37, v1 :: v_dual_mov_b32 v36, v0
	s_mov_b32 s3, 0
.LBB79_331:                             ; =>This Inner Loop Header: Depth=1
	s_delay_alu instid0(VALU_DEP_1) | instskip(NEXT) | instid1(VALU_DEP_2)
	v_add_co_u32 v36, vcc_lo, v36, 1
	v_add_co_ci_u32_e32 v37, vcc_lo, 0, v37, vcc_lo
	s_delay_alu instid0(VALU_DEP_2) | instskip(SKIP_3) | instid1(VALU_DEP_2)
	v_cmp_eq_u32_e32 vcc_lo, 1, v36
	v_cmp_eq_u32_e64 s0, 2, v36
	v_dual_cndmask_b32 v40, v3, v5 :: v_dual_cndmask_b32 v41, v2, v4
	v_cmp_eq_u32_e32 vcc_lo, 3, v36
	v_cndmask_b32_e64 v40, v40, v7, s0
	s_delay_alu instid0(VALU_DEP_3) | instskip(SKIP_1) | instid1(VALU_DEP_2)
	v_cndmask_b32_e64 v41, v41, v6, s0
	v_cmp_eq_u32_e64 s0, 4, v36
	v_dual_cndmask_b32 v40, v40, v9 :: v_dual_cndmask_b32 v41, v41, v8
	v_cmp_eq_u32_e32 vcc_lo, 5, v36
	s_delay_alu instid0(VALU_DEP_2) | instskip(NEXT) | instid1(VALU_DEP_3)
	v_cndmask_b32_e64 v40, v40, v11, s0
	v_cndmask_b32_e64 v41, v41, v10, s0
	v_cmp_eq_u32_e64 s0, 6, v36
	s_delay_alu instid0(VALU_DEP_2) | instskip(SKIP_1) | instid1(VALU_DEP_2)
	v_dual_cndmask_b32 v40, v40, v13 :: v_dual_cndmask_b32 v41, v41, v12
	v_cmp_eq_u32_e32 vcc_lo, 7, v36
	v_cndmask_b32_e64 v40, v40, v15, s0
	s_delay_alu instid0(VALU_DEP_3) | instskip(SKIP_1) | instid1(VALU_DEP_2)
	v_cndmask_b32_e64 v41, v41, v14, s0
	v_cmp_eq_u32_e64 s0, 8, v36
	v_dual_cndmask_b32 v40, v40, v17 :: v_dual_cndmask_b32 v41, v41, v16
	v_cmp_eq_u32_e32 vcc_lo, 9, v36
	s_delay_alu instid0(VALU_DEP_2) | instskip(NEXT) | instid1(VALU_DEP_3)
	v_cndmask_b32_e64 v40, v40, v19, s0
	v_cndmask_b32_e64 v41, v41, v18, s0
	v_cmp_eq_u32_e64 s0, 10, v36
	s_delay_alu instid0(VALU_DEP_2) | instskip(SKIP_1) | instid1(VALU_DEP_2)
	v_dual_cndmask_b32 v40, v40, v21 :: v_dual_cndmask_b32 v41, v41, v20
	v_cmp_eq_u32_e32 vcc_lo, 11, v36
	v_cndmask_b32_e64 v40, v40, v23, s0
	s_delay_alu instid0(VALU_DEP_3) | instskip(SKIP_1) | instid1(VALU_DEP_2)
	v_cndmask_b32_e64 v41, v41, v22, s0
	v_cmp_eq_u32_e64 s0, 12, v36
	v_dual_cndmask_b32 v42, v40, v25 :: v_dual_cndmask_b32 v43, v41, v24
	ds_load_b64 v[40:41], v39
	v_cmp_eq_u32_e32 vcc_lo, 13, v36
	v_add_nc_u32_e32 v39, 8, v39
	v_cndmask_b32_e64 v42, v42, v27, s0
	v_cndmask_b32_e64 v43, v43, v26, s0
	v_cmp_eq_u32_e64 s0, 14, v36
	s_delay_alu instid0(VALU_DEP_2) | instskip(SKIP_1) | instid1(VALU_DEP_2)
	v_dual_cndmask_b32 v42, v42, v29 :: v_dual_cndmask_b32 v43, v43, v28
	v_cmp_eq_u32_e32 vcc_lo, 15, v36
	v_cndmask_b32_e64 v42, v42, v31, s0
	s_delay_alu instid0(VALU_DEP_3) | instskip(NEXT) | instid1(VALU_DEP_1)
	v_cndmask_b32_e64 v44, v43, v30, s0
	v_dual_cndmask_b32 v43, v42, v33 :: v_dual_cndmask_b32 v42, v44, v32
	v_cmp_lt_u32_e32 vcc_lo, 8, v36
	s_waitcnt lgkmcnt(0)
	s_delay_alu instid0(VALU_DEP_2) | instskip(SKIP_1) | instid1(SALU_CYCLE_1)
	v_fma_f64 v[34:35], v[42:43], v[40:41], v[34:35]
	s_or_b32 s3, vcc_lo, s3
	s_and_not1_b32 exec_lo, exec_lo, s3
	s_cbranch_execnz .LBB79_331
; %bb.332:
	s_or_b32 exec_lo, exec_lo, s3
.LBB79_333:
	s_delay_alu instid0(SALU_CYCLE_1)
	s_or_b32 exec_lo, exec_lo, s2
	v_mov_b32_e32 v22, 0
	ds_load_b64 v[22:23], v22 offset:80
	s_waitcnt lgkmcnt(0)
	v_mul_f64 v[22:23], v[34:35], v[22:23]
.LBB79_334:
	s_or_b32 exec_lo, exec_lo, s1
	s_delay_alu instid0(SALU_CYCLE_1)
	s_mov_b32 s1, exec_lo
	ds_store_b64 v100, v[24:25]
	s_waitcnt lgkmcnt(0)
	s_barrier
	buffer_gl0_inv
	v_cmpx_gt_u32_e32 11, v0
	s_cbranch_execz .LBB79_344
; %bb.335:
	v_cmp_ne_u32_e32 vcc_lo, 1, v38
	s_cbranch_vccnz .LBB79_337
; %bb.336:
	v_cmp_eq_u32_e32 vcc_lo, 1, v0
	v_dual_cndmask_b32 v34, v3, v5 :: v_dual_cndmask_b32 v35, v2, v4
	v_cmp_eq_u32_e32 vcc_lo, 2, v0
	s_delay_alu instid0(VALU_DEP_2) | instskip(SKIP_1) | instid1(VALU_DEP_2)
	v_dual_cndmask_b32 v34, v34, v7 :: v_dual_cndmask_b32 v35, v35, v6
	v_cmp_eq_u32_e32 vcc_lo, 3, v0
	v_dual_cndmask_b32 v34, v34, v9 :: v_dual_cndmask_b32 v35, v35, v8
	v_cmp_eq_u32_e32 vcc_lo, 4, v0
	s_delay_alu instid0(VALU_DEP_2) | instskip(SKIP_1) | instid1(VALU_DEP_2)
	v_dual_cndmask_b32 v34, v34, v11 :: v_dual_cndmask_b32 v35, v35, v10
	;; [unrolled: 5-line block ×5, first 2 shown]
	v_cmp_eq_u32_e32 vcc_lo, 11, v0
	v_dual_cndmask_b32 v34, v34, v25 :: v_dual_cndmask_b32 v35, v35, v24
	v_cmp_eq_u32_e32 vcc_lo, 12, v0
	s_delay_alu instid0(VALU_DEP_2) | instskip(SKIP_4) | instid1(VALU_DEP_2)
	v_dual_cndmask_b32 v36, v34, v27 :: v_dual_cndmask_b32 v37, v35, v26
	v_cmp_eq_u32_e32 vcc_lo, 13, v0
	ds_load_b64 v[34:35], v100
	v_dual_cndmask_b32 v36, v36, v29 :: v_dual_cndmask_b32 v37, v37, v28
	v_cmp_eq_u32_e32 vcc_lo, 14, v0
	v_dual_cndmask_b32 v36, v36, v31 :: v_dual_cndmask_b32 v39, v37, v30
	v_cmp_eq_u32_e32 vcc_lo, 15, v0
	s_delay_alu instid0(VALU_DEP_2) | instskip(SKIP_1) | instid1(VALU_DEP_1)
	v_dual_cndmask_b32 v37, v36, v33 :: v_dual_cndmask_b32 v36, v39, v32
	s_waitcnt lgkmcnt(0)
	v_mul_f64 v[34:35], v[36:37], v[34:35]
	s_cbranch_execz .LBB79_338
	s_branch .LBB79_339
.LBB79_337:
                                        ; implicit-def: $vgpr34_vgpr35
.LBB79_338:
	ds_load_b64 v[34:35], v100
.LBB79_339:
	s_mov_b32 s2, exec_lo
	v_cmpx_ne_u32_e32 10, v0
	s_cbranch_execz .LBB79_343
; %bb.340:
	v_lshl_add_u32 v39, v0, 3, 0x88
	v_dual_mov_b32 v37, v1 :: v_dual_mov_b32 v36, v0
	s_mov_b32 s3, 0
.LBB79_341:                             ; =>This Inner Loop Header: Depth=1
	s_delay_alu instid0(VALU_DEP_1) | instskip(NEXT) | instid1(VALU_DEP_2)
	v_add_co_u32 v36, vcc_lo, v36, 1
	v_add_co_ci_u32_e32 v37, vcc_lo, 0, v37, vcc_lo
	s_delay_alu instid0(VALU_DEP_2) | instskip(SKIP_3) | instid1(VALU_DEP_2)
	v_cmp_eq_u32_e32 vcc_lo, 1, v36
	v_cmp_eq_u32_e64 s0, 2, v36
	v_dual_cndmask_b32 v40, v3, v5 :: v_dual_cndmask_b32 v41, v2, v4
	v_cmp_eq_u32_e32 vcc_lo, 3, v36
	v_cndmask_b32_e64 v40, v40, v7, s0
	s_delay_alu instid0(VALU_DEP_3) | instskip(SKIP_1) | instid1(VALU_DEP_2)
	v_cndmask_b32_e64 v41, v41, v6, s0
	v_cmp_eq_u32_e64 s0, 4, v36
	v_dual_cndmask_b32 v40, v40, v9 :: v_dual_cndmask_b32 v41, v41, v8
	v_cmp_eq_u32_e32 vcc_lo, 5, v36
	s_delay_alu instid0(VALU_DEP_2) | instskip(NEXT) | instid1(VALU_DEP_3)
	v_cndmask_b32_e64 v40, v40, v11, s0
	v_cndmask_b32_e64 v41, v41, v10, s0
	v_cmp_eq_u32_e64 s0, 6, v36
	s_delay_alu instid0(VALU_DEP_2) | instskip(SKIP_1) | instid1(VALU_DEP_2)
	v_dual_cndmask_b32 v40, v40, v13 :: v_dual_cndmask_b32 v41, v41, v12
	v_cmp_eq_u32_e32 vcc_lo, 7, v36
	v_cndmask_b32_e64 v40, v40, v15, s0
	s_delay_alu instid0(VALU_DEP_3) | instskip(SKIP_1) | instid1(VALU_DEP_2)
	v_cndmask_b32_e64 v41, v41, v14, s0
	v_cmp_eq_u32_e64 s0, 8, v36
	v_dual_cndmask_b32 v40, v40, v17 :: v_dual_cndmask_b32 v41, v41, v16
	v_cmp_eq_u32_e32 vcc_lo, 9, v36
	s_delay_alu instid0(VALU_DEP_2) | instskip(NEXT) | instid1(VALU_DEP_3)
	v_cndmask_b32_e64 v40, v40, v19, s0
	v_cndmask_b32_e64 v41, v41, v18, s0
	v_cmp_eq_u32_e64 s0, 10, v36
	s_delay_alu instid0(VALU_DEP_2) | instskip(SKIP_1) | instid1(VALU_DEP_2)
	v_dual_cndmask_b32 v40, v40, v21 :: v_dual_cndmask_b32 v41, v41, v20
	v_cmp_eq_u32_e32 vcc_lo, 11, v36
	v_cndmask_b32_e64 v40, v40, v23, s0
	s_delay_alu instid0(VALU_DEP_3) | instskip(SKIP_1) | instid1(VALU_DEP_2)
	v_cndmask_b32_e64 v41, v41, v22, s0
	v_cmp_eq_u32_e64 s0, 12, v36
	v_dual_cndmask_b32 v42, v40, v25 :: v_dual_cndmask_b32 v43, v41, v24
	ds_load_b64 v[40:41], v39
	v_cmp_eq_u32_e32 vcc_lo, 13, v36
	v_add_nc_u32_e32 v39, 8, v39
	v_cndmask_b32_e64 v42, v42, v27, s0
	v_cndmask_b32_e64 v43, v43, v26, s0
	v_cmp_eq_u32_e64 s0, 14, v36
	s_delay_alu instid0(VALU_DEP_2) | instskip(SKIP_1) | instid1(VALU_DEP_2)
	v_dual_cndmask_b32 v42, v42, v29 :: v_dual_cndmask_b32 v43, v43, v28
	v_cmp_eq_u32_e32 vcc_lo, 15, v36
	v_cndmask_b32_e64 v42, v42, v31, s0
	s_delay_alu instid0(VALU_DEP_3) | instskip(NEXT) | instid1(VALU_DEP_1)
	v_cndmask_b32_e64 v44, v43, v30, s0
	v_dual_cndmask_b32 v43, v42, v33 :: v_dual_cndmask_b32 v42, v44, v32
	v_cmp_lt_u32_e32 vcc_lo, 9, v36
	s_waitcnt lgkmcnt(0)
	s_delay_alu instid0(VALU_DEP_2) | instskip(SKIP_1) | instid1(SALU_CYCLE_1)
	v_fma_f64 v[34:35], v[42:43], v[40:41], v[34:35]
	s_or_b32 s3, vcc_lo, s3
	s_and_not1_b32 exec_lo, exec_lo, s3
	s_cbranch_execnz .LBB79_341
; %bb.342:
	s_or_b32 exec_lo, exec_lo, s3
.LBB79_343:
	s_delay_alu instid0(SALU_CYCLE_1)
	s_or_b32 exec_lo, exec_lo, s2
	v_mov_b32_e32 v24, 0
	ds_load_b64 v[24:25], v24 offset:88
	s_waitcnt lgkmcnt(0)
	v_mul_f64 v[24:25], v[34:35], v[24:25]
.LBB79_344:
	s_or_b32 exec_lo, exec_lo, s1
	s_delay_alu instid0(SALU_CYCLE_1)
	s_mov_b32 s1, exec_lo
	ds_store_b64 v100, v[26:27]
	s_waitcnt lgkmcnt(0)
	s_barrier
	buffer_gl0_inv
	v_cmpx_gt_u32_e32 12, v0
	s_cbranch_execz .LBB79_354
; %bb.345:
	v_cmp_ne_u32_e32 vcc_lo, 1, v38
	s_cbranch_vccnz .LBB79_347
; %bb.346:
	v_cmp_eq_u32_e32 vcc_lo, 1, v0
	v_dual_cndmask_b32 v34, v3, v5 :: v_dual_cndmask_b32 v35, v2, v4
	v_cmp_eq_u32_e32 vcc_lo, 2, v0
	s_delay_alu instid0(VALU_DEP_2) | instskip(SKIP_1) | instid1(VALU_DEP_2)
	v_dual_cndmask_b32 v34, v34, v7 :: v_dual_cndmask_b32 v35, v35, v6
	v_cmp_eq_u32_e32 vcc_lo, 3, v0
	v_dual_cndmask_b32 v34, v34, v9 :: v_dual_cndmask_b32 v35, v35, v8
	v_cmp_eq_u32_e32 vcc_lo, 4, v0
	s_delay_alu instid0(VALU_DEP_2) | instskip(SKIP_1) | instid1(VALU_DEP_2)
	v_dual_cndmask_b32 v34, v34, v11 :: v_dual_cndmask_b32 v35, v35, v10
	;; [unrolled: 5-line block ×5, first 2 shown]
	v_cmp_eq_u32_e32 vcc_lo, 11, v0
	v_dual_cndmask_b32 v34, v34, v25 :: v_dual_cndmask_b32 v35, v35, v24
	v_cmp_eq_u32_e32 vcc_lo, 12, v0
	s_delay_alu instid0(VALU_DEP_2) | instskip(SKIP_4) | instid1(VALU_DEP_2)
	v_dual_cndmask_b32 v36, v34, v27 :: v_dual_cndmask_b32 v37, v35, v26
	v_cmp_eq_u32_e32 vcc_lo, 13, v0
	ds_load_b64 v[34:35], v100
	v_dual_cndmask_b32 v36, v36, v29 :: v_dual_cndmask_b32 v37, v37, v28
	v_cmp_eq_u32_e32 vcc_lo, 14, v0
	v_dual_cndmask_b32 v36, v36, v31 :: v_dual_cndmask_b32 v39, v37, v30
	v_cmp_eq_u32_e32 vcc_lo, 15, v0
	s_delay_alu instid0(VALU_DEP_2) | instskip(SKIP_1) | instid1(VALU_DEP_1)
	v_dual_cndmask_b32 v37, v36, v33 :: v_dual_cndmask_b32 v36, v39, v32
	s_waitcnt lgkmcnt(0)
	v_mul_f64 v[34:35], v[36:37], v[34:35]
	s_cbranch_execz .LBB79_348
	s_branch .LBB79_349
.LBB79_347:
                                        ; implicit-def: $vgpr34_vgpr35
.LBB79_348:
	ds_load_b64 v[34:35], v100
.LBB79_349:
	s_mov_b32 s2, exec_lo
	v_cmpx_ne_u32_e32 11, v0
	s_cbranch_execz .LBB79_353
; %bb.350:
	v_lshl_add_u32 v39, v0, 3, 0x88
	v_dual_mov_b32 v37, v1 :: v_dual_mov_b32 v36, v0
	s_mov_b32 s3, 0
.LBB79_351:                             ; =>This Inner Loop Header: Depth=1
	s_delay_alu instid0(VALU_DEP_1) | instskip(NEXT) | instid1(VALU_DEP_2)
	v_add_co_u32 v36, vcc_lo, v36, 1
	v_add_co_ci_u32_e32 v37, vcc_lo, 0, v37, vcc_lo
	s_delay_alu instid0(VALU_DEP_2) | instskip(SKIP_3) | instid1(VALU_DEP_2)
	v_cmp_eq_u32_e32 vcc_lo, 1, v36
	v_cmp_eq_u32_e64 s0, 2, v36
	v_dual_cndmask_b32 v40, v3, v5 :: v_dual_cndmask_b32 v41, v2, v4
	v_cmp_eq_u32_e32 vcc_lo, 3, v36
	v_cndmask_b32_e64 v40, v40, v7, s0
	s_delay_alu instid0(VALU_DEP_3) | instskip(SKIP_1) | instid1(VALU_DEP_2)
	v_cndmask_b32_e64 v41, v41, v6, s0
	v_cmp_eq_u32_e64 s0, 4, v36
	v_dual_cndmask_b32 v40, v40, v9 :: v_dual_cndmask_b32 v41, v41, v8
	v_cmp_eq_u32_e32 vcc_lo, 5, v36
	s_delay_alu instid0(VALU_DEP_2) | instskip(NEXT) | instid1(VALU_DEP_3)
	v_cndmask_b32_e64 v40, v40, v11, s0
	v_cndmask_b32_e64 v41, v41, v10, s0
	v_cmp_eq_u32_e64 s0, 6, v36
	s_delay_alu instid0(VALU_DEP_2) | instskip(SKIP_1) | instid1(VALU_DEP_2)
	v_dual_cndmask_b32 v40, v40, v13 :: v_dual_cndmask_b32 v41, v41, v12
	v_cmp_eq_u32_e32 vcc_lo, 7, v36
	v_cndmask_b32_e64 v40, v40, v15, s0
	s_delay_alu instid0(VALU_DEP_3) | instskip(SKIP_1) | instid1(VALU_DEP_2)
	v_cndmask_b32_e64 v41, v41, v14, s0
	v_cmp_eq_u32_e64 s0, 8, v36
	v_dual_cndmask_b32 v40, v40, v17 :: v_dual_cndmask_b32 v41, v41, v16
	v_cmp_eq_u32_e32 vcc_lo, 9, v36
	s_delay_alu instid0(VALU_DEP_2) | instskip(NEXT) | instid1(VALU_DEP_3)
	v_cndmask_b32_e64 v40, v40, v19, s0
	v_cndmask_b32_e64 v41, v41, v18, s0
	v_cmp_eq_u32_e64 s0, 10, v36
	s_delay_alu instid0(VALU_DEP_2) | instskip(SKIP_1) | instid1(VALU_DEP_2)
	v_dual_cndmask_b32 v40, v40, v21 :: v_dual_cndmask_b32 v41, v41, v20
	v_cmp_eq_u32_e32 vcc_lo, 11, v36
	v_cndmask_b32_e64 v40, v40, v23, s0
	s_delay_alu instid0(VALU_DEP_3) | instskip(SKIP_1) | instid1(VALU_DEP_2)
	v_cndmask_b32_e64 v41, v41, v22, s0
	v_cmp_eq_u32_e64 s0, 12, v36
	v_dual_cndmask_b32 v42, v40, v25 :: v_dual_cndmask_b32 v43, v41, v24
	ds_load_b64 v[40:41], v39
	v_cmp_eq_u32_e32 vcc_lo, 13, v36
	v_add_nc_u32_e32 v39, 8, v39
	v_cndmask_b32_e64 v42, v42, v27, s0
	v_cndmask_b32_e64 v43, v43, v26, s0
	v_cmp_eq_u32_e64 s0, 14, v36
	s_delay_alu instid0(VALU_DEP_2) | instskip(SKIP_1) | instid1(VALU_DEP_2)
	v_dual_cndmask_b32 v42, v42, v29 :: v_dual_cndmask_b32 v43, v43, v28
	v_cmp_eq_u32_e32 vcc_lo, 15, v36
	v_cndmask_b32_e64 v42, v42, v31, s0
	s_delay_alu instid0(VALU_DEP_3) | instskip(NEXT) | instid1(VALU_DEP_1)
	v_cndmask_b32_e64 v44, v43, v30, s0
	v_dual_cndmask_b32 v43, v42, v33 :: v_dual_cndmask_b32 v42, v44, v32
	v_cmp_lt_u32_e32 vcc_lo, 10, v36
	s_waitcnt lgkmcnt(0)
	s_delay_alu instid0(VALU_DEP_2) | instskip(SKIP_1) | instid1(SALU_CYCLE_1)
	v_fma_f64 v[34:35], v[42:43], v[40:41], v[34:35]
	s_or_b32 s3, vcc_lo, s3
	s_and_not1_b32 exec_lo, exec_lo, s3
	s_cbranch_execnz .LBB79_351
; %bb.352:
	s_or_b32 exec_lo, exec_lo, s3
.LBB79_353:
	s_delay_alu instid0(SALU_CYCLE_1)
	s_or_b32 exec_lo, exec_lo, s2
	v_mov_b32_e32 v26, 0
	ds_load_b64 v[26:27], v26 offset:96
	s_waitcnt lgkmcnt(0)
	v_mul_f64 v[26:27], v[34:35], v[26:27]
.LBB79_354:
	s_or_b32 exec_lo, exec_lo, s1
	s_delay_alu instid0(SALU_CYCLE_1)
	s_mov_b32 s1, exec_lo
	ds_store_b64 v100, v[28:29]
	s_waitcnt lgkmcnt(0)
	s_barrier
	buffer_gl0_inv
	v_cmpx_gt_u32_e32 13, v0
	s_cbranch_execz .LBB79_364
; %bb.355:
	v_cmp_ne_u32_e32 vcc_lo, 1, v38
	s_cbranch_vccnz .LBB79_357
; %bb.356:
	v_cmp_eq_u32_e32 vcc_lo, 1, v0
	v_dual_cndmask_b32 v34, v3, v5 :: v_dual_cndmask_b32 v35, v2, v4
	v_cmp_eq_u32_e32 vcc_lo, 2, v0
	s_delay_alu instid0(VALU_DEP_2) | instskip(SKIP_1) | instid1(VALU_DEP_2)
	v_dual_cndmask_b32 v34, v34, v7 :: v_dual_cndmask_b32 v35, v35, v6
	v_cmp_eq_u32_e32 vcc_lo, 3, v0
	v_dual_cndmask_b32 v34, v34, v9 :: v_dual_cndmask_b32 v35, v35, v8
	v_cmp_eq_u32_e32 vcc_lo, 4, v0
	s_delay_alu instid0(VALU_DEP_2) | instskip(SKIP_1) | instid1(VALU_DEP_2)
	v_dual_cndmask_b32 v34, v34, v11 :: v_dual_cndmask_b32 v35, v35, v10
	;; [unrolled: 5-line block ×5, first 2 shown]
	v_cmp_eq_u32_e32 vcc_lo, 11, v0
	v_dual_cndmask_b32 v34, v34, v25 :: v_dual_cndmask_b32 v35, v35, v24
	v_cmp_eq_u32_e32 vcc_lo, 12, v0
	s_delay_alu instid0(VALU_DEP_2) | instskip(SKIP_4) | instid1(VALU_DEP_2)
	v_dual_cndmask_b32 v36, v34, v27 :: v_dual_cndmask_b32 v37, v35, v26
	v_cmp_eq_u32_e32 vcc_lo, 13, v0
	ds_load_b64 v[34:35], v100
	v_dual_cndmask_b32 v36, v36, v29 :: v_dual_cndmask_b32 v37, v37, v28
	v_cmp_eq_u32_e32 vcc_lo, 14, v0
	v_dual_cndmask_b32 v36, v36, v31 :: v_dual_cndmask_b32 v39, v37, v30
	v_cmp_eq_u32_e32 vcc_lo, 15, v0
	s_delay_alu instid0(VALU_DEP_2) | instskip(SKIP_1) | instid1(VALU_DEP_1)
	v_dual_cndmask_b32 v37, v36, v33 :: v_dual_cndmask_b32 v36, v39, v32
	s_waitcnt lgkmcnt(0)
	v_mul_f64 v[34:35], v[36:37], v[34:35]
	s_cbranch_execz .LBB79_358
	s_branch .LBB79_359
.LBB79_357:
                                        ; implicit-def: $vgpr34_vgpr35
.LBB79_358:
	ds_load_b64 v[34:35], v100
.LBB79_359:
	s_mov_b32 s2, exec_lo
	v_cmpx_ne_u32_e32 12, v0
	s_cbranch_execz .LBB79_363
; %bb.360:
	v_lshl_add_u32 v39, v0, 3, 0x88
	v_dual_mov_b32 v37, v1 :: v_dual_mov_b32 v36, v0
	s_mov_b32 s3, 0
.LBB79_361:                             ; =>This Inner Loop Header: Depth=1
	s_delay_alu instid0(VALU_DEP_1) | instskip(NEXT) | instid1(VALU_DEP_2)
	v_add_co_u32 v36, vcc_lo, v36, 1
	v_add_co_ci_u32_e32 v37, vcc_lo, 0, v37, vcc_lo
	s_delay_alu instid0(VALU_DEP_2) | instskip(SKIP_3) | instid1(VALU_DEP_2)
	v_cmp_eq_u32_e32 vcc_lo, 1, v36
	v_cmp_eq_u32_e64 s0, 2, v36
	v_dual_cndmask_b32 v40, v3, v5 :: v_dual_cndmask_b32 v41, v2, v4
	v_cmp_eq_u32_e32 vcc_lo, 3, v36
	v_cndmask_b32_e64 v40, v40, v7, s0
	s_delay_alu instid0(VALU_DEP_3) | instskip(SKIP_1) | instid1(VALU_DEP_2)
	v_cndmask_b32_e64 v41, v41, v6, s0
	v_cmp_eq_u32_e64 s0, 4, v36
	v_dual_cndmask_b32 v40, v40, v9 :: v_dual_cndmask_b32 v41, v41, v8
	v_cmp_eq_u32_e32 vcc_lo, 5, v36
	s_delay_alu instid0(VALU_DEP_2) | instskip(NEXT) | instid1(VALU_DEP_3)
	v_cndmask_b32_e64 v40, v40, v11, s0
	v_cndmask_b32_e64 v41, v41, v10, s0
	v_cmp_eq_u32_e64 s0, 6, v36
	s_delay_alu instid0(VALU_DEP_2) | instskip(SKIP_1) | instid1(VALU_DEP_2)
	v_dual_cndmask_b32 v40, v40, v13 :: v_dual_cndmask_b32 v41, v41, v12
	v_cmp_eq_u32_e32 vcc_lo, 7, v36
	v_cndmask_b32_e64 v40, v40, v15, s0
	s_delay_alu instid0(VALU_DEP_3) | instskip(SKIP_1) | instid1(VALU_DEP_2)
	v_cndmask_b32_e64 v41, v41, v14, s0
	v_cmp_eq_u32_e64 s0, 8, v36
	v_dual_cndmask_b32 v40, v40, v17 :: v_dual_cndmask_b32 v41, v41, v16
	v_cmp_eq_u32_e32 vcc_lo, 9, v36
	s_delay_alu instid0(VALU_DEP_2) | instskip(NEXT) | instid1(VALU_DEP_3)
	v_cndmask_b32_e64 v40, v40, v19, s0
	v_cndmask_b32_e64 v41, v41, v18, s0
	v_cmp_eq_u32_e64 s0, 10, v36
	s_delay_alu instid0(VALU_DEP_2) | instskip(SKIP_1) | instid1(VALU_DEP_2)
	v_dual_cndmask_b32 v40, v40, v21 :: v_dual_cndmask_b32 v41, v41, v20
	v_cmp_eq_u32_e32 vcc_lo, 11, v36
	v_cndmask_b32_e64 v40, v40, v23, s0
	s_delay_alu instid0(VALU_DEP_3) | instskip(SKIP_1) | instid1(VALU_DEP_2)
	v_cndmask_b32_e64 v41, v41, v22, s0
	v_cmp_eq_u32_e64 s0, 12, v36
	v_dual_cndmask_b32 v42, v40, v25 :: v_dual_cndmask_b32 v43, v41, v24
	ds_load_b64 v[40:41], v39
	v_cmp_eq_u32_e32 vcc_lo, 13, v36
	v_add_nc_u32_e32 v39, 8, v39
	v_cndmask_b32_e64 v42, v42, v27, s0
	v_cndmask_b32_e64 v43, v43, v26, s0
	v_cmp_eq_u32_e64 s0, 14, v36
	s_delay_alu instid0(VALU_DEP_2) | instskip(SKIP_1) | instid1(VALU_DEP_2)
	v_dual_cndmask_b32 v42, v42, v29 :: v_dual_cndmask_b32 v43, v43, v28
	v_cmp_eq_u32_e32 vcc_lo, 15, v36
	v_cndmask_b32_e64 v42, v42, v31, s0
	s_delay_alu instid0(VALU_DEP_3) | instskip(NEXT) | instid1(VALU_DEP_1)
	v_cndmask_b32_e64 v44, v43, v30, s0
	v_dual_cndmask_b32 v43, v42, v33 :: v_dual_cndmask_b32 v42, v44, v32
	v_cmp_lt_u32_e32 vcc_lo, 11, v36
	s_waitcnt lgkmcnt(0)
	s_delay_alu instid0(VALU_DEP_2) | instskip(SKIP_1) | instid1(SALU_CYCLE_1)
	v_fma_f64 v[34:35], v[42:43], v[40:41], v[34:35]
	s_or_b32 s3, vcc_lo, s3
	s_and_not1_b32 exec_lo, exec_lo, s3
	s_cbranch_execnz .LBB79_361
; %bb.362:
	s_or_b32 exec_lo, exec_lo, s3
.LBB79_363:
	s_delay_alu instid0(SALU_CYCLE_1)
	s_or_b32 exec_lo, exec_lo, s2
	v_mov_b32_e32 v28, 0
	ds_load_b64 v[28:29], v28 offset:104
	s_waitcnt lgkmcnt(0)
	v_mul_f64 v[28:29], v[34:35], v[28:29]
.LBB79_364:
	s_or_b32 exec_lo, exec_lo, s1
	v_cmp_gt_u32_e64 s0, 14, v0
	ds_store_b64 v100, v[30:31]
	s_waitcnt lgkmcnt(0)
	s_barrier
	buffer_gl0_inv
	s_and_saveexec_b32 s2, s0
	s_cbranch_execz .LBB79_374
; %bb.365:
	v_cmp_ne_u32_e32 vcc_lo, 1, v38
	s_cbranch_vccnz .LBB79_367
; %bb.366:
	v_cmp_eq_u32_e32 vcc_lo, 1, v0
	v_dual_cndmask_b32 v34, v3, v5 :: v_dual_cndmask_b32 v35, v2, v4
	v_cmp_eq_u32_e32 vcc_lo, 2, v0
	s_delay_alu instid0(VALU_DEP_2) | instskip(SKIP_1) | instid1(VALU_DEP_2)
	v_dual_cndmask_b32 v34, v34, v7 :: v_dual_cndmask_b32 v35, v35, v6
	v_cmp_eq_u32_e32 vcc_lo, 3, v0
	v_dual_cndmask_b32 v34, v34, v9 :: v_dual_cndmask_b32 v35, v35, v8
	v_cmp_eq_u32_e32 vcc_lo, 4, v0
	s_delay_alu instid0(VALU_DEP_2) | instskip(SKIP_1) | instid1(VALU_DEP_2)
	v_dual_cndmask_b32 v34, v34, v11 :: v_dual_cndmask_b32 v35, v35, v10
	;; [unrolled: 5-line block ×5, first 2 shown]
	v_cmp_eq_u32_e32 vcc_lo, 11, v0
	v_dual_cndmask_b32 v34, v34, v25 :: v_dual_cndmask_b32 v35, v35, v24
	v_cmp_eq_u32_e32 vcc_lo, 12, v0
	s_delay_alu instid0(VALU_DEP_2) | instskip(SKIP_4) | instid1(VALU_DEP_2)
	v_dual_cndmask_b32 v36, v34, v27 :: v_dual_cndmask_b32 v37, v35, v26
	v_cmp_eq_u32_e32 vcc_lo, 13, v0
	ds_load_b64 v[34:35], v100
	v_dual_cndmask_b32 v36, v36, v29 :: v_dual_cndmask_b32 v37, v37, v28
	v_cmp_eq_u32_e32 vcc_lo, 14, v0
	v_dual_cndmask_b32 v36, v36, v31 :: v_dual_cndmask_b32 v39, v37, v30
	v_cmp_eq_u32_e32 vcc_lo, 15, v0
	s_delay_alu instid0(VALU_DEP_2) | instskip(SKIP_1) | instid1(VALU_DEP_1)
	v_dual_cndmask_b32 v37, v36, v33 :: v_dual_cndmask_b32 v36, v39, v32
	s_waitcnt lgkmcnt(0)
	v_mul_f64 v[34:35], v[36:37], v[34:35]
	s_cbranch_execz .LBB79_368
	s_branch .LBB79_369
.LBB79_367:
                                        ; implicit-def: $vgpr34_vgpr35
.LBB79_368:
	ds_load_b64 v[34:35], v100
.LBB79_369:
	s_mov_b32 s3, exec_lo
	v_cmpx_ne_u32_e32 13, v0
	s_cbranch_execz .LBB79_373
; %bb.370:
	v_lshl_add_u32 v39, v0, 3, 0x88
	v_dual_mov_b32 v37, v1 :: v_dual_mov_b32 v36, v0
	s_mov_b32 s4, 0
.LBB79_371:                             ; =>This Inner Loop Header: Depth=1
	s_delay_alu instid0(VALU_DEP_1) | instskip(NEXT) | instid1(VALU_DEP_2)
	v_add_co_u32 v36, vcc_lo, v36, 1
	v_add_co_ci_u32_e32 v37, vcc_lo, 0, v37, vcc_lo
	s_delay_alu instid0(VALU_DEP_2) | instskip(SKIP_3) | instid1(VALU_DEP_2)
	v_cmp_eq_u32_e32 vcc_lo, 1, v36
	v_cmp_eq_u32_e64 s1, 2, v36
	v_dual_cndmask_b32 v40, v3, v5 :: v_dual_cndmask_b32 v41, v2, v4
	v_cmp_eq_u32_e32 vcc_lo, 3, v36
	v_cndmask_b32_e64 v40, v40, v7, s1
	s_delay_alu instid0(VALU_DEP_3) | instskip(SKIP_1) | instid1(VALU_DEP_2)
	v_cndmask_b32_e64 v41, v41, v6, s1
	v_cmp_eq_u32_e64 s1, 4, v36
	v_dual_cndmask_b32 v40, v40, v9 :: v_dual_cndmask_b32 v41, v41, v8
	v_cmp_eq_u32_e32 vcc_lo, 5, v36
	s_delay_alu instid0(VALU_DEP_2) | instskip(NEXT) | instid1(VALU_DEP_3)
	v_cndmask_b32_e64 v40, v40, v11, s1
	v_cndmask_b32_e64 v41, v41, v10, s1
	v_cmp_eq_u32_e64 s1, 6, v36
	s_delay_alu instid0(VALU_DEP_2) | instskip(SKIP_1) | instid1(VALU_DEP_2)
	v_dual_cndmask_b32 v40, v40, v13 :: v_dual_cndmask_b32 v41, v41, v12
	v_cmp_eq_u32_e32 vcc_lo, 7, v36
	v_cndmask_b32_e64 v40, v40, v15, s1
	s_delay_alu instid0(VALU_DEP_3) | instskip(SKIP_1) | instid1(VALU_DEP_2)
	v_cndmask_b32_e64 v41, v41, v14, s1
	v_cmp_eq_u32_e64 s1, 8, v36
	v_dual_cndmask_b32 v40, v40, v17 :: v_dual_cndmask_b32 v41, v41, v16
	v_cmp_eq_u32_e32 vcc_lo, 9, v36
	s_delay_alu instid0(VALU_DEP_2) | instskip(NEXT) | instid1(VALU_DEP_3)
	v_cndmask_b32_e64 v40, v40, v19, s1
	v_cndmask_b32_e64 v41, v41, v18, s1
	v_cmp_eq_u32_e64 s1, 10, v36
	s_delay_alu instid0(VALU_DEP_2) | instskip(SKIP_1) | instid1(VALU_DEP_2)
	v_dual_cndmask_b32 v40, v40, v21 :: v_dual_cndmask_b32 v41, v41, v20
	v_cmp_eq_u32_e32 vcc_lo, 11, v36
	v_cndmask_b32_e64 v40, v40, v23, s1
	s_delay_alu instid0(VALU_DEP_3) | instskip(SKIP_1) | instid1(VALU_DEP_2)
	v_cndmask_b32_e64 v41, v41, v22, s1
	v_cmp_eq_u32_e64 s1, 12, v36
	v_dual_cndmask_b32 v42, v40, v25 :: v_dual_cndmask_b32 v43, v41, v24
	ds_load_b64 v[40:41], v39
	v_cmp_eq_u32_e32 vcc_lo, 13, v36
	v_add_nc_u32_e32 v39, 8, v39
	v_cndmask_b32_e64 v42, v42, v27, s1
	v_cndmask_b32_e64 v43, v43, v26, s1
	v_cmp_eq_u32_e64 s1, 14, v36
	s_delay_alu instid0(VALU_DEP_2) | instskip(SKIP_1) | instid1(VALU_DEP_2)
	v_dual_cndmask_b32 v42, v42, v29 :: v_dual_cndmask_b32 v43, v43, v28
	v_cmp_eq_u32_e32 vcc_lo, 15, v36
	v_cndmask_b32_e64 v42, v42, v31, s1
	s_delay_alu instid0(VALU_DEP_3) | instskip(NEXT) | instid1(VALU_DEP_1)
	v_cndmask_b32_e64 v44, v43, v30, s1
	v_dual_cndmask_b32 v43, v42, v33 :: v_dual_cndmask_b32 v42, v44, v32
	v_cmp_lt_u32_e32 vcc_lo, 12, v36
	s_waitcnt lgkmcnt(0)
	s_delay_alu instid0(VALU_DEP_2) | instskip(SKIP_1) | instid1(SALU_CYCLE_1)
	v_fma_f64 v[34:35], v[42:43], v[40:41], v[34:35]
	s_or_b32 s4, vcc_lo, s4
	s_and_not1_b32 exec_lo, exec_lo, s4
	s_cbranch_execnz .LBB79_371
; %bb.372:
	s_or_b32 exec_lo, exec_lo, s4
.LBB79_373:
	s_delay_alu instid0(SALU_CYCLE_1)
	s_or_b32 exec_lo, exec_lo, s3
	v_mov_b32_e32 v30, 0
	ds_load_b64 v[30:31], v30 offset:112
	s_waitcnt lgkmcnt(0)
	v_mul_f64 v[30:31], v[34:35], v[30:31]
.LBB79_374:
	s_or_b32 exec_lo, exec_lo, s2
	s_delay_alu instid0(SALU_CYCLE_1)
	s_mov_b32 s1, exec_lo
	ds_store_b64 v100, v[32:33]
	s_waitcnt lgkmcnt(0)
	s_barrier
	buffer_gl0_inv
	v_cmpx_ne_u32_e32 15, v0
	s_cbranch_execz .LBB79_384
; %bb.375:
	v_cmp_ne_u32_e32 vcc_lo, 1, v38
	s_cbranch_vccnz .LBB79_377
; %bb.376:
	v_cmp_eq_u32_e32 vcc_lo, 1, v0
	v_dual_cndmask_b32 v34, v3, v5 :: v_dual_cndmask_b32 v35, v2, v4
	v_cmp_eq_u32_e32 vcc_lo, 2, v0
	s_delay_alu instid0(VALU_DEP_2) | instskip(SKIP_1) | instid1(VALU_DEP_2)
	v_dual_cndmask_b32 v34, v34, v7 :: v_dual_cndmask_b32 v35, v35, v6
	v_cmp_eq_u32_e32 vcc_lo, 3, v0
	v_dual_cndmask_b32 v34, v34, v9 :: v_dual_cndmask_b32 v35, v35, v8
	v_cmp_eq_u32_e32 vcc_lo, 4, v0
	s_delay_alu instid0(VALU_DEP_2) | instskip(SKIP_1) | instid1(VALU_DEP_2)
	v_dual_cndmask_b32 v34, v34, v11 :: v_dual_cndmask_b32 v35, v35, v10
	;; [unrolled: 5-line block ×5, first 2 shown]
	v_cmp_eq_u32_e32 vcc_lo, 11, v0
	v_dual_cndmask_b32 v34, v34, v25 :: v_dual_cndmask_b32 v35, v35, v24
	v_cmp_eq_u32_e32 vcc_lo, 12, v0
	s_delay_alu instid0(VALU_DEP_2) | instskip(SKIP_4) | instid1(VALU_DEP_2)
	v_dual_cndmask_b32 v36, v34, v27 :: v_dual_cndmask_b32 v37, v35, v26
	v_cmp_eq_u32_e32 vcc_lo, 13, v0
	ds_load_b64 v[34:35], v100
	v_dual_cndmask_b32 v36, v36, v29 :: v_dual_cndmask_b32 v37, v37, v28
	v_cmp_eq_u32_e32 vcc_lo, 14, v0
	v_cndmask_b32_e32 v36, v36, v31, vcc_lo
	s_delay_alu instid0(VALU_DEP_3) | instskip(SKIP_1) | instid1(VALU_DEP_2)
	v_cndmask_b32_e32 v38, v37, v30, vcc_lo
	v_cmp_eq_u32_e32 vcc_lo, 15, v0
	v_dual_cndmask_b32 v37, v36, v33 :: v_dual_cndmask_b32 v36, v38, v32
	s_waitcnt lgkmcnt(0)
	s_delay_alu instid0(VALU_DEP_1)
	v_mul_f64 v[34:35], v[36:37], v[34:35]
	s_cbranch_execz .LBB79_378
	s_branch .LBB79_379
.LBB79_377:
                                        ; implicit-def: $vgpr34_vgpr35
.LBB79_378:
	ds_load_b64 v[34:35], v100
.LBB79_379:
	s_and_saveexec_b32 s2, s0
	s_cbranch_execz .LBB79_383
; %bb.380:
	v_lshl_add_u32 v36, v0, 3, 0x88
	s_mov_b32 s3, 0
.LBB79_381:                             ; =>This Inner Loop Header: Depth=1
	v_add_co_u32 v0, vcc_lo, v0, 1
	v_add_co_ci_u32_e32 v1, vcc_lo, 0, v1, vcc_lo
	s_delay_alu instid0(VALU_DEP_2) | instskip(SKIP_3) | instid1(VALU_DEP_2)
	v_cmp_eq_u32_e32 vcc_lo, 1, v0
	v_cmp_eq_u32_e64 s0, 2, v0
	v_dual_cndmask_b32 v37, v3, v5 :: v_dual_cndmask_b32 v38, v2, v4
	v_cmp_eq_u32_e32 vcc_lo, 3, v0
	v_cndmask_b32_e64 v37, v37, v7, s0
	s_delay_alu instid0(VALU_DEP_3) | instskip(SKIP_1) | instid1(VALU_DEP_2)
	v_cndmask_b32_e64 v38, v38, v6, s0
	v_cmp_eq_u32_e64 s0, 4, v0
	v_dual_cndmask_b32 v37, v37, v9 :: v_dual_cndmask_b32 v38, v38, v8
	v_cmp_eq_u32_e32 vcc_lo, 5, v0
	s_delay_alu instid0(VALU_DEP_2) | instskip(NEXT) | instid1(VALU_DEP_3)
	v_cndmask_b32_e64 v37, v37, v11, s0
	v_cndmask_b32_e64 v38, v38, v10, s0
	v_cmp_eq_u32_e64 s0, 6, v0
	s_delay_alu instid0(VALU_DEP_2) | instskip(SKIP_1) | instid1(VALU_DEP_2)
	v_dual_cndmask_b32 v37, v37, v13 :: v_dual_cndmask_b32 v38, v38, v12
	v_cmp_eq_u32_e32 vcc_lo, 7, v0
	v_cndmask_b32_e64 v37, v37, v15, s0
	s_delay_alu instid0(VALU_DEP_3) | instskip(SKIP_1) | instid1(VALU_DEP_2)
	v_cndmask_b32_e64 v38, v38, v14, s0
	v_cmp_eq_u32_e64 s0, 8, v0
	v_dual_cndmask_b32 v37, v37, v17 :: v_dual_cndmask_b32 v38, v38, v16
	v_cmp_eq_u32_e32 vcc_lo, 9, v0
	s_delay_alu instid0(VALU_DEP_2) | instskip(NEXT) | instid1(VALU_DEP_3)
	v_cndmask_b32_e64 v37, v37, v19, s0
	v_cndmask_b32_e64 v38, v38, v18, s0
	v_cmp_eq_u32_e64 s0, 10, v0
	s_delay_alu instid0(VALU_DEP_2) | instskip(SKIP_1) | instid1(VALU_DEP_2)
	v_dual_cndmask_b32 v37, v37, v21 :: v_dual_cndmask_b32 v38, v38, v20
	v_cmp_eq_u32_e32 vcc_lo, 11, v0
	v_cndmask_b32_e64 v37, v37, v23, s0
	s_delay_alu instid0(VALU_DEP_3) | instskip(SKIP_1) | instid1(VALU_DEP_2)
	v_cndmask_b32_e64 v38, v38, v22, s0
	v_cmp_eq_u32_e64 s0, 12, v0
	v_dual_cndmask_b32 v39, v37, v25 :: v_dual_cndmask_b32 v40, v38, v24
	ds_load_b64 v[37:38], v36
	v_cmp_eq_u32_e32 vcc_lo, 13, v0
	v_add_nc_u32_e32 v36, 8, v36
	v_cndmask_b32_e64 v39, v39, v27, s0
	v_cndmask_b32_e64 v40, v40, v26, s0
	v_cmp_eq_u32_e64 s0, 14, v0
	s_delay_alu instid0(VALU_DEP_2) | instskip(SKIP_1) | instid1(VALU_DEP_2)
	v_dual_cndmask_b32 v39, v39, v29 :: v_dual_cndmask_b32 v40, v40, v28
	v_cmp_eq_u32_e32 vcc_lo, 15, v0
	v_cndmask_b32_e64 v39, v39, v31, s0
	s_delay_alu instid0(VALU_DEP_3) | instskip(NEXT) | instid1(VALU_DEP_1)
	v_cndmask_b32_e64 v41, v40, v30, s0
	v_dual_cndmask_b32 v40, v39, v33 :: v_dual_cndmask_b32 v39, v41, v32
	v_cmp_lt_u32_e32 vcc_lo, 13, v0
	s_waitcnt lgkmcnt(0)
	s_delay_alu instid0(VALU_DEP_2) | instskip(SKIP_1) | instid1(SALU_CYCLE_1)
	v_fma_f64 v[34:35], v[39:40], v[37:38], v[34:35]
	s_or_b32 s3, vcc_lo, s3
	s_and_not1_b32 exec_lo, exec_lo, s3
	s_cbranch_execnz .LBB79_381
; %bb.382:
	s_or_b32 exec_lo, exec_lo, s3
.LBB79_383:
	s_delay_alu instid0(SALU_CYCLE_1)
	s_or_b32 exec_lo, exec_lo, s2
	v_mov_b32_e32 v0, 0
	ds_load_b64 v[0:1], v0 offset:120
	s_waitcnt lgkmcnt(0)
	v_mul_f64 v[32:33], v[34:35], v[0:1]
.LBB79_384:
	s_or_b32 exec_lo, exec_lo, s1
	s_delay_alu instid0(VALU_DEP_1)
	v_dual_mov_b32 v65, v33 :: v_dual_mov_b32 v64, v32
	v_dual_mov_b32 v63, v31 :: v_dual_mov_b32 v62, v30
	;; [unrolled: 1-line block ×16, first 2 shown]
.LBB79_385:
	s_clause 0xf
	global_store_b64 v[72:73], v[34:35], off
	global_store_b64 v[74:75], v[36:37], off
	;; [unrolled: 1-line block ×16, first 2 shown]
.LBB79_386:
	s_nop 0
	s_sendmsg sendmsg(MSG_DEALLOC_VGPRS)
	s_endpgm
	.section	.rodata,"a",@progbits
	.p2align	6, 0x0
	.amdhsa_kernel _ZN9rocsolver6v33100L18trti2_kernel_smallILi16EdPKPdEEv13rocblas_fill_17rocblas_diagonal_T1_iil
		.amdhsa_group_segment_fixed_size 256
		.amdhsa_private_segment_fixed_size 0
		.amdhsa_kernarg_size 32
		.amdhsa_user_sgpr_count 15
		.amdhsa_user_sgpr_dispatch_ptr 0
		.amdhsa_user_sgpr_queue_ptr 0
		.amdhsa_user_sgpr_kernarg_segment_ptr 1
		.amdhsa_user_sgpr_dispatch_id 0
		.amdhsa_user_sgpr_private_segment_size 0
		.amdhsa_wavefront_size32 1
		.amdhsa_uses_dynamic_stack 0
		.amdhsa_enable_private_segment 0
		.amdhsa_system_sgpr_workgroup_id_x 1
		.amdhsa_system_sgpr_workgroup_id_y 0
		.amdhsa_system_sgpr_workgroup_id_z 0
		.amdhsa_system_sgpr_workgroup_info 0
		.amdhsa_system_vgpr_workitem_id 0
		.amdhsa_next_free_vgpr 114
		.amdhsa_next_free_sgpr 20
		.amdhsa_reserve_vcc 1
		.amdhsa_float_round_mode_32 0
		.amdhsa_float_round_mode_16_64 0
		.amdhsa_float_denorm_mode_32 3
		.amdhsa_float_denorm_mode_16_64 3
		.amdhsa_dx10_clamp 1
		.amdhsa_ieee_mode 1
		.amdhsa_fp16_overflow 0
		.amdhsa_workgroup_processor_mode 1
		.amdhsa_memory_ordered 1
		.amdhsa_forward_progress 0
		.amdhsa_shared_vgpr_count 0
		.amdhsa_exception_fp_ieee_invalid_op 0
		.amdhsa_exception_fp_denorm_src 0
		.amdhsa_exception_fp_ieee_div_zero 0
		.amdhsa_exception_fp_ieee_overflow 0
		.amdhsa_exception_fp_ieee_underflow 0
		.amdhsa_exception_fp_ieee_inexact 0
		.amdhsa_exception_int_div_zero 0
	.end_amdhsa_kernel
	.section	.text._ZN9rocsolver6v33100L18trti2_kernel_smallILi16EdPKPdEEv13rocblas_fill_17rocblas_diagonal_T1_iil,"axG",@progbits,_ZN9rocsolver6v33100L18trti2_kernel_smallILi16EdPKPdEEv13rocblas_fill_17rocblas_diagonal_T1_iil,comdat
.Lfunc_end79:
	.size	_ZN9rocsolver6v33100L18trti2_kernel_smallILi16EdPKPdEEv13rocblas_fill_17rocblas_diagonal_T1_iil, .Lfunc_end79-_ZN9rocsolver6v33100L18trti2_kernel_smallILi16EdPKPdEEv13rocblas_fill_17rocblas_diagonal_T1_iil
                                        ; -- End function
	.section	.AMDGPU.csdata,"",@progbits
; Kernel info:
; codeLenInByte = 29280
; NumSgprs: 22
; NumVgprs: 114
; ScratchSize: 0
; MemoryBound: 0
; FloatMode: 240
; IeeeMode: 1
; LDSByteSize: 256 bytes/workgroup (compile time only)
; SGPRBlocks: 2
; VGPRBlocks: 14
; NumSGPRsForWavesPerEU: 22
; NumVGPRsForWavesPerEU: 114
; Occupancy: 12
; WaveLimiterHint : 1
; COMPUTE_PGM_RSRC2:SCRATCH_EN: 0
; COMPUTE_PGM_RSRC2:USER_SGPR: 15
; COMPUTE_PGM_RSRC2:TRAP_HANDLER: 0
; COMPUTE_PGM_RSRC2:TGID_X_EN: 1
; COMPUTE_PGM_RSRC2:TGID_Y_EN: 0
; COMPUTE_PGM_RSRC2:TGID_Z_EN: 0
; COMPUTE_PGM_RSRC2:TIDIG_COMP_CNT: 0
	.section	.text._ZN9rocsolver6v33100L18trti2_kernel_smallILi17EdPKPdEEv13rocblas_fill_17rocblas_diagonal_T1_iil,"axG",@progbits,_ZN9rocsolver6v33100L18trti2_kernel_smallILi17EdPKPdEEv13rocblas_fill_17rocblas_diagonal_T1_iil,comdat
	.globl	_ZN9rocsolver6v33100L18trti2_kernel_smallILi17EdPKPdEEv13rocblas_fill_17rocblas_diagonal_T1_iil ; -- Begin function _ZN9rocsolver6v33100L18trti2_kernel_smallILi17EdPKPdEEv13rocblas_fill_17rocblas_diagonal_T1_iil
	.p2align	8
	.type	_ZN9rocsolver6v33100L18trti2_kernel_smallILi17EdPKPdEEv13rocblas_fill_17rocblas_diagonal_T1_iil,@function
_ZN9rocsolver6v33100L18trti2_kernel_smallILi17EdPKPdEEv13rocblas_fill_17rocblas_diagonal_T1_iil: ; @_ZN9rocsolver6v33100L18trti2_kernel_smallILi17EdPKPdEEv13rocblas_fill_17rocblas_diagonal_T1_iil
; %bb.0:
	s_mov_b32 s2, exec_lo
	v_cmpx_gt_u32_e32 17, v0
	s_cbranch_execz .LBB80_316
; %bb.1:
	s_clause 0x1
	s_load_b64 s[4:5], s[0:1], 0x10
	s_load_b128 s[0:3], s[0:1], 0x0
	s_mov_b32 s6, s15
	s_ashr_i32 s7, s15, 31
	v_lshlrev_b32_e32 v37, 3, v0
	s_lshl_b64 s[6:7], s[6:7], 3
	s_waitcnt lgkmcnt(0)
	s_ashr_i32 s9, s4, 31
	s_add_u32 s2, s2, s6
	s_addc_u32 s3, s3, s7
	v_add3_u32 v1, s5, s5, v0
	s_load_b64 s[2:3], s[2:3], 0x0
	s_mov_b32 s8, s4
	s_mov_b32 s6, s5
	s_lshl_b64 s[8:9], s[8:9], 3
	v_add_nc_u32_e32 v3, s5, v1
	v_ashrrev_i32_e32 v2, 31, v1
	s_delay_alu instid0(VALU_DEP_2) | instskip(SKIP_1) | instid1(VALU_DEP_3)
	v_add_nc_u32_e32 v5, s5, v3
	v_ashrrev_i32_e32 v4, 31, v3
	v_lshlrev_b64 v[9:10], 3, v[1:2]
	s_delay_alu instid0(VALU_DEP_3) | instskip(NEXT) | instid1(VALU_DEP_3)
	v_add_nc_u32_e32 v7, s5, v5
	v_lshlrev_b64 v[11:12], 3, v[3:4]
	v_ashrrev_i32_e32 v6, 31, v5
	s_delay_alu instid0(VALU_DEP_3)
	v_add_nc_u32_e32 v15, s5, v7
	s_waitcnt lgkmcnt(0)
	s_add_u32 s2, s2, s8
	s_addc_u32 s3, s3, s9
	v_add_co_u32 v3, vcc_lo, s2, v9
	v_add_co_u32 v1, s4, s2, v37
	s_ashr_i32 s7, s5, 31
	v_add_co_ci_u32_e32 v4, vcc_lo, s3, v10, vcc_lo
	v_lshlrev_b64 v[13:14], 3, v[5:6]
	v_add_co_ci_u32_e64 v2, null, s3, 0, s4
	v_add_co_u32 v5, vcc_lo, s2, v11
	v_ashrrev_i32_e32 v8, 31, v7
	s_lshl_b64 s[6:7], s[6:7], 3
	v_add_co_ci_u32_e32 v6, vcc_lo, s3, v12, vcc_lo
	v_ashrrev_i32_e32 v16, 31, v15
	v_add_nc_u32_e32 v19, s5, v15
	v_add_co_u32 v9, vcc_lo, v1, s6
	v_add_co_ci_u32_e32 v10, vcc_lo, s7, v2, vcc_lo
	v_lshlrev_b64 v[17:18], 3, v[7:8]
	v_add_co_u32 v7, vcc_lo, s2, v13
	v_add_co_ci_u32_e32 v8, vcc_lo, s3, v14, vcc_lo
	v_lshlrev_b64 v[13:14], 3, v[15:16]
	v_add_nc_u32_e32 v15, s5, v19
	v_ashrrev_i32_e32 v20, 31, v19
	v_add_co_u32 v11, vcc_lo, s2, v17
	v_add_co_ci_u32_e32 v12, vcc_lo, s3, v18, vcc_lo
	s_delay_alu instid0(VALU_DEP_4) | instskip(NEXT) | instid1(VALU_DEP_4)
	v_ashrrev_i32_e32 v16, 31, v15
	v_lshlrev_b64 v[17:18], 3, v[19:20]
	v_add_nc_u32_e32 v21, s5, v15
	v_add_co_u32 v13, vcc_lo, s2, v13
	s_delay_alu instid0(VALU_DEP_4)
	v_lshlrev_b64 v[19:20], 3, v[15:16]
	v_add_co_ci_u32_e32 v14, vcc_lo, s3, v14, vcc_lo
	v_add_co_u32 v15, vcc_lo, s2, v17
	v_ashrrev_i32_e32 v22, 31, v21
	v_add_nc_u32_e32 v23, s5, v21
	v_add_co_ci_u32_e32 v16, vcc_lo, s3, v18, vcc_lo
	v_add_co_u32 v17, vcc_lo, s2, v19
	v_add_co_ci_u32_e32 v18, vcc_lo, s3, v20, vcc_lo
	v_lshlrev_b64 v[19:20], 3, v[21:22]
	v_add_nc_u32_e32 v21, s5, v23
	v_ashrrev_i32_e32 v24, 31, v23
	s_clause 0x8
	global_load_b64 v[38:39], v37, s[2:3]
	global_load_b64 v[40:41], v[9:10], off
	global_load_b64 v[42:43], v[3:4], off
	;; [unrolled: 1-line block ×8, first 2 shown]
	v_ashrrev_i32_e32 v22, 31, v21
	v_lshlrev_b64 v[23:24], 3, v[23:24]
	v_add_nc_u32_e32 v27, s5, v21
	v_add_co_u32 v19, vcc_lo, s2, v19
	s_delay_alu instid0(VALU_DEP_4)
	v_lshlrev_b64 v[25:26], 3, v[21:22]
	v_add_co_ci_u32_e32 v20, vcc_lo, s3, v20, vcc_lo
	v_add_co_u32 v21, vcc_lo, s2, v23
	v_ashrrev_i32_e32 v28, 31, v27
	v_add_nc_u32_e32 v29, s5, v27
	v_add_co_ci_u32_e32 v22, vcc_lo, s3, v24, vcc_lo
	v_add_co_u32 v23, vcc_lo, s2, v25
	v_add_co_ci_u32_e32 v24, vcc_lo, s3, v26, vcc_lo
	v_lshlrev_b64 v[25:26], 3, v[27:28]
	v_add_nc_u32_e32 v27, s5, v29
	v_ashrrev_i32_e32 v30, 31, v29
	s_clause 0x2
	global_load_b64 v[56:57], v[19:20], off
	global_load_b64 v[58:59], v[21:22], off
	;; [unrolled: 1-line block ×3, first 2 shown]
	s_cmpk_lg_i32 s1, 0x84
	v_add_nc_u32_e32 v31, s5, v27
	v_ashrrev_i32_e32 v28, 31, v27
	v_lshlrev_b64 v[29:30], 3, v[29:30]
	v_add_co_u32 v25, vcc_lo, s2, v25
	s_delay_alu instid0(VALU_DEP_4) | instskip(NEXT) | instid1(VALU_DEP_4)
	v_add_nc_u32_e32 v35, s5, v31
	v_lshlrev_b64 v[33:34], 3, v[27:28]
	v_ashrrev_i32_e32 v32, 31, v31
	v_add_co_ci_u32_e32 v26, vcc_lo, s3, v26, vcc_lo
	v_add_co_u32 v27, vcc_lo, s2, v29
	v_ashrrev_i32_e32 v36, 31, v35
	v_add_co_ci_u32_e32 v28, vcc_lo, s3, v30, vcc_lo
	v_lshlrev_b64 v[31:32], 3, v[31:32]
	v_add_co_u32 v29, vcc_lo, s2, v33
	v_add_co_ci_u32_e32 v30, vcc_lo, s3, v34, vcc_lo
	v_lshlrev_b64 v[33:34], 3, v[35:36]
	s_delay_alu instid0(VALU_DEP_4)
	v_add_co_u32 v31, vcc_lo, s2, v31
	v_add_co_ci_u32_e32 v32, vcc_lo, s3, v32, vcc_lo
	v_mov_b32_e32 v35, 0
	v_mov_b32_e32 v36, 0xbff00000
	v_add_co_u32 v33, vcc_lo, s2, v33
	v_add_co_ci_u32_e32 v34, vcc_lo, s3, v34, vcc_lo
	s_clause 0x4
	global_load_b64 v[62:63], v[25:26], off
	global_load_b64 v[64:65], v[27:28], off
	;; [unrolled: 1-line block ×5, first 2 shown]
	s_cselect_b32 s2, -1, 0
	s_cmpk_eq_i32 s1, 0x84
	s_waitcnt vmcnt(15)
	scratch_store_b128 off, v[38:41], off
	s_waitcnt vmcnt(13)
	scratch_store_b128 off, v[42:45], off offset:16
	s_waitcnt vmcnt(11)
	scratch_store_b128 off, v[46:49], off offset:32
	;; [unrolled: 2-line block ×7, first 2 shown]
	s_waitcnt vmcnt(0)
	scratch_store_b64 off, v[70:71], off offset:128
	s_cbranch_scc1 .LBB80_3
; %bb.2:
	scratch_load_b64 v[35:36], v37, off
	s_waitcnt vmcnt(0)
	v_div_scale_f64 v[38:39], null, v[35:36], v[35:36], 1.0
	v_div_scale_f64 v[44:45], vcc_lo, 1.0, v[35:36], 1.0
	s_delay_alu instid0(VALU_DEP_2) | instskip(SKIP_2) | instid1(VALU_DEP_1)
	v_rcp_f64_e32 v[40:41], v[38:39]
	s_waitcnt_depctr 0xfff
	v_fma_f64 v[42:43], -v[38:39], v[40:41], 1.0
	v_fma_f64 v[40:41], v[40:41], v[42:43], v[40:41]
	s_delay_alu instid0(VALU_DEP_1) | instskip(NEXT) | instid1(VALU_DEP_1)
	v_fma_f64 v[42:43], -v[38:39], v[40:41], 1.0
	v_fma_f64 v[40:41], v[40:41], v[42:43], v[40:41]
	s_delay_alu instid0(VALU_DEP_1) | instskip(NEXT) | instid1(VALU_DEP_1)
	v_mul_f64 v[42:43], v[44:45], v[40:41]
	v_fma_f64 v[38:39], -v[38:39], v[42:43], v[44:45]
	s_delay_alu instid0(VALU_DEP_1) | instskip(NEXT) | instid1(VALU_DEP_1)
	v_div_fmas_f64 v[38:39], v[38:39], v[40:41], v[42:43]
	v_div_fixup_f64 v[35:36], v[38:39], v[35:36], 1.0
	scratch_store_b64 v37, v[35:36], off
	v_xor_b32_e32 v36, 0x80000000, v36
.LBB80_3:
	v_add_nc_u32_e32 v38, 0x90, v37
	v_add_nc_u32_e32 v39, 0, v37
	s_cmpk_eq_i32 s0, 0x79
	s_mov_b32 s0, -1
	ds_store_b64 v37, v[35:36]
	s_cbranch_scc1 .LBB80_159
; %bb.4:
	scratch_load_b64 v[35:36], off, off offset:120
	v_cmp_eq_u32_e64 s1, 16, v0
	s_movk_i32 s0, 0x50
	s_movk_i32 s3, 0x60
	;; [unrolled: 1-line block ×3, first 2 shown]
	s_waitcnt vmcnt(0)
	ds_store_b64 v38, v[35:36]
	s_waitcnt lgkmcnt(0)
	s_waitcnt_vscnt null, 0x0
	s_barrier
	buffer_gl0_inv
	s_and_saveexec_b32 s5, s1
	s_cbranch_execz .LBB80_10
; %bb.5:
	s_and_b32 vcc_lo, exec_lo, s2
	s_cbranch_vccz .LBB80_7
; %bb.6:
	scratch_load_b64 v[35:36], v39, off
	ds_load_b64 v[40:41], v38
	s_waitcnt vmcnt(0) lgkmcnt(0)
	v_mul_f64 v[35:36], v[35:36], v[40:41]
	s_cbranch_execz .LBB80_8
	s_branch .LBB80_9
.LBB80_7:
                                        ; implicit-def: $vgpr35_vgpr36
.LBB80_8:
	ds_load_b64 v[35:36], v38
.LBB80_9:
	v_mov_b32_e32 v40, 0
	ds_load_b64 v[40:41], v40 offset:120
	s_waitcnt lgkmcnt(0)
	v_mul_f64 v[35:36], v[35:36], v[40:41]
	scratch_store_b64 off, v[35:36], off offset:120
.LBB80_10:
	s_or_b32 exec_lo, exec_lo, s5
	scratch_load_b64 v[35:36], off, off offset:112
	v_add_nc_u32_e64 v40, 0, 16
	v_add_nc_u32_e64 v41, 0, 32
	;; [unrolled: 1-line block ×7, first 2 shown]
	v_cmp_lt_u32_e64 s0, 14, v0
	s_waitcnt vmcnt(0)
	ds_store_b64 v38, v[35:36]
	s_waitcnt lgkmcnt(0)
	s_waitcnt_vscnt null, 0x0
	s_barrier
	buffer_gl0_inv
	s_and_saveexec_b32 s3, s0
	s_cbranch_execz .LBB80_18
; %bb.11:
	s_and_not1_b32 vcc_lo, exec_lo, s2
	s_cbranch_vccnz .LBB80_13
; %bb.12:
	scratch_load_b64 v[35:36], v39, off
	ds_load_b64 v[47:48], v38
	s_waitcnt vmcnt(0) lgkmcnt(0)
	v_mul_f64 v[35:36], v[35:36], v[47:48]
	s_cbranch_execz .LBB80_14
	s_branch .LBB80_15
.LBB80_13:
                                        ; implicit-def: $vgpr35_vgpr36
.LBB80_14:
	ds_load_b64 v[35:36], v38
.LBB80_15:
	s_and_saveexec_b32 s4, s1
	s_cbranch_execz .LBB80_17
; %bb.16:
	scratch_load_b64 v[47:48], off, off offset:120
	v_mov_b32_e32 v49, 0
	ds_load_b64 v[49:50], v49 offset:264
	s_waitcnt vmcnt(0) lgkmcnt(0)
	v_fma_f64 v[35:36], v[47:48], v[49:50], v[35:36]
.LBB80_17:
	s_or_b32 exec_lo, exec_lo, s4
	v_mov_b32_e32 v47, 0
	ds_load_b64 v[47:48], v47 offset:112
	s_waitcnt lgkmcnt(0)
	v_mul_f64 v[35:36], v[35:36], v[47:48]
	scratch_store_b64 off, v[35:36], off offset:112
.LBB80_18:
	s_or_b32 exec_lo, exec_lo, s3
	scratch_load_b64 v[35:36], off, off offset:104
	v_cmp_lt_u32_e64 s1, 13, v0
	s_waitcnt vmcnt(0)
	ds_store_b64 v38, v[35:36]
	s_waitcnt lgkmcnt(0)
	s_waitcnt_vscnt null, 0x0
	s_barrier
	buffer_gl0_inv
	s_and_saveexec_b32 s3, s1
	s_cbranch_execz .LBB80_28
; %bb.19:
	s_and_not1_b32 vcc_lo, exec_lo, s2
	s_cbranch_vccnz .LBB80_21
; %bb.20:
	scratch_load_b64 v[35:36], v39, off
	ds_load_b64 v[47:48], v38
	s_waitcnt vmcnt(0) lgkmcnt(0)
	v_mul_f64 v[35:36], v[35:36], v[47:48]
	s_cbranch_execz .LBB80_22
	s_branch .LBB80_23
.LBB80_21:
                                        ; implicit-def: $vgpr35_vgpr36
.LBB80_22:
	ds_load_b64 v[35:36], v38
.LBB80_23:
	s_and_saveexec_b32 s4, s0
	s_cbranch_execz .LBB80_27
; %bb.24:
	v_add_nc_u32_e32 v47, -14, v0
	s_movk_i32 s5, 0x100
	s_mov_b32 s0, 0
.LBB80_25:                              ; =>This Inner Loop Header: Depth=1
	scratch_load_b64 v[48:49], v46, off
	v_dual_mov_b32 v50, s5 :: v_dual_add_nc_u32 v47, -1, v47
	v_add_nc_u32_e32 v46, 8, v46
	s_add_i32 s5, s5, 8
	ds_load_b64 v[50:51], v50
	v_cmp_eq_u32_e32 vcc_lo, 0, v47
	s_or_b32 s0, vcc_lo, s0
	s_waitcnt vmcnt(0) lgkmcnt(0)
	v_fma_f64 v[35:36], v[48:49], v[50:51], v[35:36]
	s_and_not1_b32 exec_lo, exec_lo, s0
	s_cbranch_execnz .LBB80_25
; %bb.26:
	s_or_b32 exec_lo, exec_lo, s0
.LBB80_27:
	s_delay_alu instid0(SALU_CYCLE_1)
	s_or_b32 exec_lo, exec_lo, s4
	v_mov_b32_e32 v46, 0
	ds_load_b64 v[46:47], v46 offset:104
	s_waitcnt lgkmcnt(0)
	v_mul_f64 v[35:36], v[35:36], v[46:47]
	scratch_store_b64 off, v[35:36], off offset:104
.LBB80_28:
	s_or_b32 exec_lo, exec_lo, s3
	scratch_load_b64 v[35:36], off, off offset:96
	v_cmp_lt_u32_e64 s0, 12, v0
	s_waitcnt vmcnt(0)
	ds_store_b64 v38, v[35:36]
	s_waitcnt lgkmcnt(0)
	s_waitcnt_vscnt null, 0x0
	s_barrier
	buffer_gl0_inv
	s_and_saveexec_b32 s3, s0
	s_cbranch_execz .LBB80_38
; %bb.29:
	s_and_not1_b32 vcc_lo, exec_lo, s2
	s_cbranch_vccnz .LBB80_31
; %bb.30:
	scratch_load_b64 v[35:36], v39, off
	ds_load_b64 v[46:47], v38
	s_waitcnt vmcnt(0) lgkmcnt(0)
	v_mul_f64 v[35:36], v[35:36], v[46:47]
	s_cbranch_execz .LBB80_32
	s_branch .LBB80_33
.LBB80_31:
                                        ; implicit-def: $vgpr35_vgpr36
.LBB80_32:
	ds_load_b64 v[35:36], v38
.LBB80_33:
	s_and_saveexec_b32 s4, s1
	s_cbranch_execz .LBB80_37
; %bb.34:
	v_dual_mov_b32 v46, 0 :: v_dual_add_nc_u32 v47, -13, v0
	s_movk_i32 s5, 0xf8
	s_mov_b32 s1, 0
	s_delay_alu instid0(VALU_DEP_1)
	v_add_nc_u32_e32 v46, 0x68, v46
.LBB80_35:                              ; =>This Inner Loop Header: Depth=1
	scratch_load_b64 v[48:49], v46, off
	v_dual_mov_b32 v50, s5 :: v_dual_add_nc_u32 v47, -1, v47
	v_add_nc_u32_e32 v46, 8, v46
	s_add_i32 s5, s5, 8
	ds_load_b64 v[50:51], v50
	v_cmp_eq_u32_e32 vcc_lo, 0, v47
	s_or_b32 s1, vcc_lo, s1
	s_waitcnt vmcnt(0) lgkmcnt(0)
	v_fma_f64 v[35:36], v[48:49], v[50:51], v[35:36]
	s_and_not1_b32 exec_lo, exec_lo, s1
	s_cbranch_execnz .LBB80_35
; %bb.36:
	s_or_b32 exec_lo, exec_lo, s1
.LBB80_37:
	s_delay_alu instid0(SALU_CYCLE_1)
	s_or_b32 exec_lo, exec_lo, s4
	v_mov_b32_e32 v46, 0
	ds_load_b64 v[46:47], v46 offset:96
	s_waitcnt lgkmcnt(0)
	v_mul_f64 v[35:36], v[35:36], v[46:47]
	scratch_store_b64 off, v[35:36], off offset:96
.LBB80_38:
	s_or_b32 exec_lo, exec_lo, s3
	scratch_load_b64 v[35:36], off, off offset:88
	v_cmp_lt_u32_e64 s1, 11, v0
	s_waitcnt vmcnt(0)
	ds_store_b64 v38, v[35:36]
	s_waitcnt lgkmcnt(0)
	s_waitcnt_vscnt null, 0x0
	s_barrier
	buffer_gl0_inv
	s_and_saveexec_b32 s3, s1
	s_cbranch_execz .LBB80_48
; %bb.39:
	s_and_not1_b32 vcc_lo, exec_lo, s2
	s_cbranch_vccnz .LBB80_41
; %bb.40:
	scratch_load_b64 v[35:36], v39, off
	ds_load_b64 v[46:47], v38
	s_waitcnt vmcnt(0) lgkmcnt(0)
	v_mul_f64 v[35:36], v[35:36], v[46:47]
	s_cbranch_execz .LBB80_42
	s_branch .LBB80_43
.LBB80_41:
                                        ; implicit-def: $vgpr35_vgpr36
.LBB80_42:
	ds_load_b64 v[35:36], v38
.LBB80_43:
	s_and_saveexec_b32 s4, s0
	s_cbranch_execz .LBB80_47
; %bb.44:
	v_add_nc_u32_e32 v46, -12, v0
	s_movk_i32 s5, 0xf0
	s_mov_b32 s0, 0
.LBB80_45:                              ; =>This Inner Loop Header: Depth=1
	scratch_load_b64 v[47:48], v45, off
	v_dual_mov_b32 v49, s5 :: v_dual_add_nc_u32 v46, -1, v46
	v_add_nc_u32_e32 v45, 8, v45
	s_add_i32 s5, s5, 8
	ds_load_b64 v[49:50], v49
	v_cmp_eq_u32_e32 vcc_lo, 0, v46
	s_or_b32 s0, vcc_lo, s0
	s_waitcnt vmcnt(0) lgkmcnt(0)
	v_fma_f64 v[35:36], v[47:48], v[49:50], v[35:36]
	s_and_not1_b32 exec_lo, exec_lo, s0
	s_cbranch_execnz .LBB80_45
; %bb.46:
	s_or_b32 exec_lo, exec_lo, s0
.LBB80_47:
	s_delay_alu instid0(SALU_CYCLE_1)
	s_or_b32 exec_lo, exec_lo, s4
	v_mov_b32_e32 v45, 0
	ds_load_b64 v[45:46], v45 offset:88
	s_waitcnt lgkmcnt(0)
	v_mul_f64 v[35:36], v[35:36], v[45:46]
	scratch_store_b64 off, v[35:36], off offset:88
.LBB80_48:
	s_or_b32 exec_lo, exec_lo, s3
	scratch_load_b64 v[35:36], off, off offset:80
	v_cmp_lt_u32_e64 s0, 10, v0
	s_waitcnt vmcnt(0)
	ds_store_b64 v38, v[35:36]
	s_waitcnt lgkmcnt(0)
	s_waitcnt_vscnt null, 0x0
	s_barrier
	buffer_gl0_inv
	s_and_saveexec_b32 s3, s0
	s_cbranch_execz .LBB80_58
; %bb.49:
	s_and_not1_b32 vcc_lo, exec_lo, s2
	s_cbranch_vccnz .LBB80_51
; %bb.50:
	scratch_load_b64 v[35:36], v39, off
	ds_load_b64 v[45:46], v38
	s_waitcnt vmcnt(0) lgkmcnt(0)
	v_mul_f64 v[35:36], v[35:36], v[45:46]
	s_cbranch_execz .LBB80_52
	s_branch .LBB80_53
.LBB80_51:
                                        ; implicit-def: $vgpr35_vgpr36
.LBB80_52:
	ds_load_b64 v[35:36], v38
.LBB80_53:
	s_and_saveexec_b32 s4, s1
	s_cbranch_execz .LBB80_57
; %bb.54:
	v_dual_mov_b32 v45, 0 :: v_dual_add_nc_u32 v46, -11, v0
	s_movk_i32 s5, 0xe8
	s_mov_b32 s1, 0
	s_delay_alu instid0(VALU_DEP_1)
	v_add_nc_u32_e32 v45, 0x58, v45
.LBB80_55:                              ; =>This Inner Loop Header: Depth=1
	scratch_load_b64 v[47:48], v45, off
	v_dual_mov_b32 v49, s5 :: v_dual_add_nc_u32 v46, -1, v46
	v_add_nc_u32_e32 v45, 8, v45
	s_add_i32 s5, s5, 8
	ds_load_b64 v[49:50], v49
	v_cmp_eq_u32_e32 vcc_lo, 0, v46
	s_or_b32 s1, vcc_lo, s1
	s_waitcnt vmcnt(0) lgkmcnt(0)
	v_fma_f64 v[35:36], v[47:48], v[49:50], v[35:36]
	s_and_not1_b32 exec_lo, exec_lo, s1
	s_cbranch_execnz .LBB80_55
; %bb.56:
	s_or_b32 exec_lo, exec_lo, s1
.LBB80_57:
	s_delay_alu instid0(SALU_CYCLE_1)
	s_or_b32 exec_lo, exec_lo, s4
	v_mov_b32_e32 v45, 0
	ds_load_b64 v[45:46], v45 offset:80
	s_waitcnt lgkmcnt(0)
	v_mul_f64 v[35:36], v[35:36], v[45:46]
	scratch_store_b64 off, v[35:36], off offset:80
.LBB80_58:
	s_or_b32 exec_lo, exec_lo, s3
	scratch_load_b64 v[35:36], off, off offset:72
	v_cmp_lt_u32_e64 s1, 9, v0
	s_waitcnt vmcnt(0)
	ds_store_b64 v38, v[35:36]
	s_waitcnt lgkmcnt(0)
	s_waitcnt_vscnt null, 0x0
	s_barrier
	buffer_gl0_inv
	s_and_saveexec_b32 s3, s1
	s_cbranch_execz .LBB80_68
; %bb.59:
	s_and_not1_b32 vcc_lo, exec_lo, s2
	s_cbranch_vccnz .LBB80_61
; %bb.60:
	scratch_load_b64 v[35:36], v39, off
	ds_load_b64 v[45:46], v38
	s_waitcnt vmcnt(0) lgkmcnt(0)
	v_mul_f64 v[35:36], v[35:36], v[45:46]
	s_cbranch_execz .LBB80_62
	s_branch .LBB80_63
.LBB80_61:
                                        ; implicit-def: $vgpr35_vgpr36
.LBB80_62:
	ds_load_b64 v[35:36], v38
.LBB80_63:
	s_and_saveexec_b32 s4, s0
	s_cbranch_execz .LBB80_67
; %bb.64:
	v_add_nc_u32_e32 v45, -10, v0
	s_movk_i32 s5, 0xe0
	s_mov_b32 s0, 0
.LBB80_65:                              ; =>This Inner Loop Header: Depth=1
	scratch_load_b64 v[46:47], v44, off
	v_dual_mov_b32 v48, s5 :: v_dual_add_nc_u32 v45, -1, v45
	v_add_nc_u32_e32 v44, 8, v44
	s_add_i32 s5, s5, 8
	ds_load_b64 v[48:49], v48
	v_cmp_eq_u32_e32 vcc_lo, 0, v45
	s_or_b32 s0, vcc_lo, s0
	s_waitcnt vmcnt(0) lgkmcnt(0)
	v_fma_f64 v[35:36], v[46:47], v[48:49], v[35:36]
	s_and_not1_b32 exec_lo, exec_lo, s0
	s_cbranch_execnz .LBB80_65
; %bb.66:
	s_or_b32 exec_lo, exec_lo, s0
.LBB80_67:
	s_delay_alu instid0(SALU_CYCLE_1)
	s_or_b32 exec_lo, exec_lo, s4
	v_mov_b32_e32 v44, 0
	ds_load_b64 v[44:45], v44 offset:72
	s_waitcnt lgkmcnt(0)
	v_mul_f64 v[35:36], v[35:36], v[44:45]
	scratch_store_b64 off, v[35:36], off offset:72
.LBB80_68:
	s_or_b32 exec_lo, exec_lo, s3
	scratch_load_b64 v[35:36], off, off offset:64
	v_cmp_lt_u32_e64 s0, 8, v0
	s_waitcnt vmcnt(0)
	ds_store_b64 v38, v[35:36]
	s_waitcnt lgkmcnt(0)
	s_waitcnt_vscnt null, 0x0
	s_barrier
	buffer_gl0_inv
	s_and_saveexec_b32 s3, s0
	s_cbranch_execz .LBB80_78
; %bb.69:
	s_and_not1_b32 vcc_lo, exec_lo, s2
	s_cbranch_vccnz .LBB80_71
; %bb.70:
	scratch_load_b64 v[35:36], v39, off
	ds_load_b64 v[44:45], v38
	s_waitcnt vmcnt(0) lgkmcnt(0)
	v_mul_f64 v[35:36], v[35:36], v[44:45]
	s_cbranch_execz .LBB80_72
	s_branch .LBB80_73
.LBB80_71:
                                        ; implicit-def: $vgpr35_vgpr36
.LBB80_72:
	ds_load_b64 v[35:36], v38
.LBB80_73:
	s_and_saveexec_b32 s4, s1
	s_cbranch_execz .LBB80_77
; %bb.74:
	v_dual_mov_b32 v44, 0 :: v_dual_add_nc_u32 v45, -9, v0
	s_movk_i32 s5, 0xd8
	s_mov_b32 s1, 0
	s_delay_alu instid0(VALU_DEP_1)
	v_add_nc_u32_e32 v44, 0x48, v44
.LBB80_75:                              ; =>This Inner Loop Header: Depth=1
	scratch_load_b64 v[46:47], v44, off
	v_dual_mov_b32 v48, s5 :: v_dual_add_nc_u32 v45, -1, v45
	v_add_nc_u32_e32 v44, 8, v44
	s_add_i32 s5, s5, 8
	ds_load_b64 v[48:49], v48
	v_cmp_eq_u32_e32 vcc_lo, 0, v45
	s_or_b32 s1, vcc_lo, s1
	s_waitcnt vmcnt(0) lgkmcnt(0)
	v_fma_f64 v[35:36], v[46:47], v[48:49], v[35:36]
	s_and_not1_b32 exec_lo, exec_lo, s1
	s_cbranch_execnz .LBB80_75
; %bb.76:
	s_or_b32 exec_lo, exec_lo, s1
.LBB80_77:
	s_delay_alu instid0(SALU_CYCLE_1)
	s_or_b32 exec_lo, exec_lo, s4
	v_mov_b32_e32 v44, 0
	ds_load_b64 v[44:45], v44 offset:64
	s_waitcnt lgkmcnt(0)
	v_mul_f64 v[35:36], v[35:36], v[44:45]
	scratch_store_b64 off, v[35:36], off offset:64
.LBB80_78:
	s_or_b32 exec_lo, exec_lo, s3
	scratch_load_b64 v[35:36], off, off offset:56
	v_cmp_lt_u32_e64 s1, 7, v0
	s_waitcnt vmcnt(0)
	ds_store_b64 v38, v[35:36]
	s_waitcnt lgkmcnt(0)
	s_waitcnt_vscnt null, 0x0
	s_barrier
	buffer_gl0_inv
	s_and_saveexec_b32 s3, s1
	s_cbranch_execz .LBB80_88
; %bb.79:
	s_and_not1_b32 vcc_lo, exec_lo, s2
	s_cbranch_vccnz .LBB80_81
; %bb.80:
	scratch_load_b64 v[35:36], v39, off
	ds_load_b64 v[44:45], v38
	s_waitcnt vmcnt(0) lgkmcnt(0)
	v_mul_f64 v[35:36], v[35:36], v[44:45]
	s_cbranch_execz .LBB80_82
	s_branch .LBB80_83
.LBB80_81:
                                        ; implicit-def: $vgpr35_vgpr36
.LBB80_82:
	ds_load_b64 v[35:36], v38
.LBB80_83:
	s_and_saveexec_b32 s4, s0
	s_cbranch_execz .LBB80_87
; %bb.84:
	v_add_nc_u32_e32 v44, -8, v0
	s_movk_i32 s5, 0xd0
	s_mov_b32 s0, 0
.LBB80_85:                              ; =>This Inner Loop Header: Depth=1
	scratch_load_b64 v[45:46], v43, off
	v_dual_mov_b32 v47, s5 :: v_dual_add_nc_u32 v44, -1, v44
	v_add_nc_u32_e32 v43, 8, v43
	s_add_i32 s5, s5, 8
	ds_load_b64 v[47:48], v47
	v_cmp_eq_u32_e32 vcc_lo, 0, v44
	s_or_b32 s0, vcc_lo, s0
	s_waitcnt vmcnt(0) lgkmcnt(0)
	v_fma_f64 v[35:36], v[45:46], v[47:48], v[35:36]
	s_and_not1_b32 exec_lo, exec_lo, s0
	s_cbranch_execnz .LBB80_85
; %bb.86:
	s_or_b32 exec_lo, exec_lo, s0
.LBB80_87:
	s_delay_alu instid0(SALU_CYCLE_1)
	s_or_b32 exec_lo, exec_lo, s4
	v_mov_b32_e32 v43, 0
	ds_load_b64 v[43:44], v43 offset:56
	s_waitcnt lgkmcnt(0)
	v_mul_f64 v[35:36], v[35:36], v[43:44]
	scratch_store_b64 off, v[35:36], off offset:56
.LBB80_88:
	s_or_b32 exec_lo, exec_lo, s3
	scratch_load_b64 v[35:36], off, off offset:48
	v_cmp_lt_u32_e64 s0, 6, v0
	s_waitcnt vmcnt(0)
	ds_store_b64 v38, v[35:36]
	s_waitcnt lgkmcnt(0)
	s_waitcnt_vscnt null, 0x0
	s_barrier
	buffer_gl0_inv
	s_and_saveexec_b32 s3, s0
	s_cbranch_execz .LBB80_98
; %bb.89:
	s_and_not1_b32 vcc_lo, exec_lo, s2
	s_cbranch_vccnz .LBB80_91
; %bb.90:
	scratch_load_b64 v[35:36], v39, off
	ds_load_b64 v[43:44], v38
	s_waitcnt vmcnt(0) lgkmcnt(0)
	v_mul_f64 v[35:36], v[35:36], v[43:44]
	s_cbranch_execz .LBB80_92
	s_branch .LBB80_93
.LBB80_91:
                                        ; implicit-def: $vgpr35_vgpr36
.LBB80_92:
	ds_load_b64 v[35:36], v38
.LBB80_93:
	s_and_saveexec_b32 s4, s1
	s_cbranch_execz .LBB80_97
; %bb.94:
	v_add_nc_u32_e64 v43, 0, 56
	v_add_nc_u32_e32 v44, -7, v0
	s_movk_i32 s5, 0xc8
	s_mov_b32 s1, 0
.LBB80_95:                              ; =>This Inner Loop Header: Depth=1
	scratch_load_b64 v[45:46], v43, off
	v_dual_mov_b32 v47, s5 :: v_dual_add_nc_u32 v44, -1, v44
	v_add_nc_u32_e32 v43, 8, v43
	s_add_i32 s5, s5, 8
	ds_load_b64 v[47:48], v47
	v_cmp_eq_u32_e32 vcc_lo, 0, v44
	s_or_b32 s1, vcc_lo, s1
	s_waitcnt vmcnt(0) lgkmcnt(0)
	v_fma_f64 v[35:36], v[45:46], v[47:48], v[35:36]
	s_and_not1_b32 exec_lo, exec_lo, s1
	s_cbranch_execnz .LBB80_95
; %bb.96:
	s_or_b32 exec_lo, exec_lo, s1
.LBB80_97:
	s_delay_alu instid0(SALU_CYCLE_1)
	s_or_b32 exec_lo, exec_lo, s4
	v_mov_b32_e32 v43, 0
	ds_load_b64 v[43:44], v43 offset:48
	s_waitcnt lgkmcnt(0)
	v_mul_f64 v[35:36], v[35:36], v[43:44]
	scratch_store_b64 off, v[35:36], off offset:48
.LBB80_98:
	s_or_b32 exec_lo, exec_lo, s3
	scratch_load_b64 v[35:36], off, off offset:40
	v_cmp_lt_u32_e64 s1, 5, v0
	s_waitcnt vmcnt(0)
	ds_store_b64 v38, v[35:36]
	s_waitcnt lgkmcnt(0)
	s_waitcnt_vscnt null, 0x0
	s_barrier
	buffer_gl0_inv
	s_and_saveexec_b32 s3, s1
	s_cbranch_execz .LBB80_108
; %bb.99:
	s_and_not1_b32 vcc_lo, exec_lo, s2
	s_cbranch_vccnz .LBB80_101
; %bb.100:
	scratch_load_b64 v[35:36], v39, off
	ds_load_b64 v[43:44], v38
	s_waitcnt vmcnt(0) lgkmcnt(0)
	v_mul_f64 v[35:36], v[35:36], v[43:44]
	s_cbranch_execz .LBB80_102
	s_branch .LBB80_103
.LBB80_101:
                                        ; implicit-def: $vgpr35_vgpr36
.LBB80_102:
	ds_load_b64 v[35:36], v38
.LBB80_103:
	s_and_saveexec_b32 s4, s0
	s_cbranch_execz .LBB80_107
; %bb.104:
	v_add_nc_u32_e32 v43, -6, v0
	s_movk_i32 s5, 0xc0
	s_mov_b32 s0, 0
.LBB80_105:                             ; =>This Inner Loop Header: Depth=1
	scratch_load_b64 v[44:45], v42, off
	v_dual_mov_b32 v46, s5 :: v_dual_add_nc_u32 v43, -1, v43
	v_add_nc_u32_e32 v42, 8, v42
	s_add_i32 s5, s5, 8
	ds_load_b64 v[46:47], v46
	v_cmp_eq_u32_e32 vcc_lo, 0, v43
	s_or_b32 s0, vcc_lo, s0
	s_waitcnt vmcnt(0) lgkmcnt(0)
	v_fma_f64 v[35:36], v[44:45], v[46:47], v[35:36]
	s_and_not1_b32 exec_lo, exec_lo, s0
	s_cbranch_execnz .LBB80_105
; %bb.106:
	s_or_b32 exec_lo, exec_lo, s0
.LBB80_107:
	s_delay_alu instid0(SALU_CYCLE_1)
	s_or_b32 exec_lo, exec_lo, s4
	v_mov_b32_e32 v42, 0
	ds_load_b64 v[42:43], v42 offset:40
	s_waitcnt lgkmcnt(0)
	v_mul_f64 v[35:36], v[35:36], v[42:43]
	scratch_store_b64 off, v[35:36], off offset:40
.LBB80_108:
	s_or_b32 exec_lo, exec_lo, s3
	scratch_load_b64 v[35:36], off, off offset:32
	v_cmp_lt_u32_e64 s0, 4, v0
	s_waitcnt vmcnt(0)
	ds_store_b64 v38, v[35:36]
	s_waitcnt lgkmcnt(0)
	s_waitcnt_vscnt null, 0x0
	s_barrier
	buffer_gl0_inv
	s_and_saveexec_b32 s3, s0
	s_cbranch_execz .LBB80_118
; %bb.109:
	s_and_not1_b32 vcc_lo, exec_lo, s2
	s_cbranch_vccnz .LBB80_111
; %bb.110:
	scratch_load_b64 v[35:36], v39, off
	ds_load_b64 v[42:43], v38
	s_waitcnt vmcnt(0) lgkmcnt(0)
	v_mul_f64 v[35:36], v[35:36], v[42:43]
	s_cbranch_execz .LBB80_112
	s_branch .LBB80_113
.LBB80_111:
                                        ; implicit-def: $vgpr35_vgpr36
.LBB80_112:
	ds_load_b64 v[35:36], v38
.LBB80_113:
	s_and_saveexec_b32 s4, s1
	s_cbranch_execz .LBB80_117
; %bb.114:
	v_add_nc_u32_e64 v42, 0, 40
	v_add_nc_u32_e32 v43, -5, v0
	s_movk_i32 s5, 0xb8
	s_mov_b32 s1, 0
.LBB80_115:                             ; =>This Inner Loop Header: Depth=1
	scratch_load_b64 v[44:45], v42, off
	v_dual_mov_b32 v46, s5 :: v_dual_add_nc_u32 v43, -1, v43
	v_add_nc_u32_e32 v42, 8, v42
	s_add_i32 s5, s5, 8
	ds_load_b64 v[46:47], v46
	v_cmp_eq_u32_e32 vcc_lo, 0, v43
	s_or_b32 s1, vcc_lo, s1
	s_waitcnt vmcnt(0) lgkmcnt(0)
	v_fma_f64 v[35:36], v[44:45], v[46:47], v[35:36]
	s_and_not1_b32 exec_lo, exec_lo, s1
	s_cbranch_execnz .LBB80_115
; %bb.116:
	s_or_b32 exec_lo, exec_lo, s1
.LBB80_117:
	s_delay_alu instid0(SALU_CYCLE_1)
	s_or_b32 exec_lo, exec_lo, s4
	v_mov_b32_e32 v42, 0
	ds_load_b64 v[42:43], v42 offset:32
	s_waitcnt lgkmcnt(0)
	v_mul_f64 v[35:36], v[35:36], v[42:43]
	scratch_store_b64 off, v[35:36], off offset:32
.LBB80_118:
	s_or_b32 exec_lo, exec_lo, s3
	scratch_load_b64 v[35:36], off, off offset:24
	v_cmp_lt_u32_e64 s1, 3, v0
	s_waitcnt vmcnt(0)
	ds_store_b64 v38, v[35:36]
	s_waitcnt lgkmcnt(0)
	s_waitcnt_vscnt null, 0x0
	s_barrier
	buffer_gl0_inv
	s_and_saveexec_b32 s3, s1
	s_cbranch_execz .LBB80_128
; %bb.119:
	s_and_not1_b32 vcc_lo, exec_lo, s2
	s_cbranch_vccnz .LBB80_121
; %bb.120:
	scratch_load_b64 v[35:36], v39, off
	ds_load_b64 v[42:43], v38
	s_waitcnt vmcnt(0) lgkmcnt(0)
	v_mul_f64 v[35:36], v[35:36], v[42:43]
	s_cbranch_execz .LBB80_122
	s_branch .LBB80_123
.LBB80_121:
                                        ; implicit-def: $vgpr35_vgpr36
.LBB80_122:
	ds_load_b64 v[35:36], v38
.LBB80_123:
	s_and_saveexec_b32 s4, s0
	s_cbranch_execz .LBB80_127
; %bb.124:
	v_add_nc_u32_e32 v42, -4, v0
	s_movk_i32 s5, 0xb0
	s_mov_b32 s0, 0
.LBB80_125:                             ; =>This Inner Loop Header: Depth=1
	scratch_load_b64 v[43:44], v41, off
	v_dual_mov_b32 v45, s5 :: v_dual_add_nc_u32 v42, -1, v42
	v_add_nc_u32_e32 v41, 8, v41
	s_add_i32 s5, s5, 8
	ds_load_b64 v[45:46], v45
	v_cmp_eq_u32_e32 vcc_lo, 0, v42
	s_or_b32 s0, vcc_lo, s0
	s_waitcnt vmcnt(0) lgkmcnt(0)
	v_fma_f64 v[35:36], v[43:44], v[45:46], v[35:36]
	s_and_not1_b32 exec_lo, exec_lo, s0
	s_cbranch_execnz .LBB80_125
; %bb.126:
	s_or_b32 exec_lo, exec_lo, s0
.LBB80_127:
	s_delay_alu instid0(SALU_CYCLE_1)
	s_or_b32 exec_lo, exec_lo, s4
	v_mov_b32_e32 v41, 0
	ds_load_b64 v[41:42], v41 offset:24
	s_waitcnt lgkmcnt(0)
	v_mul_f64 v[35:36], v[35:36], v[41:42]
	scratch_store_b64 off, v[35:36], off offset:24
.LBB80_128:
	s_or_b32 exec_lo, exec_lo, s3
	scratch_load_b64 v[35:36], off, off offset:16
	v_cmp_lt_u32_e64 s0, 2, v0
	s_waitcnt vmcnt(0)
	ds_store_b64 v38, v[35:36]
	s_waitcnt lgkmcnt(0)
	s_waitcnt_vscnt null, 0x0
	s_barrier
	buffer_gl0_inv
	s_and_saveexec_b32 s3, s0
	s_cbranch_execz .LBB80_138
; %bb.129:
	s_and_not1_b32 vcc_lo, exec_lo, s2
	s_cbranch_vccnz .LBB80_131
; %bb.130:
	scratch_load_b64 v[35:36], v39, off
	ds_load_b64 v[41:42], v38
	s_waitcnt vmcnt(0) lgkmcnt(0)
	v_mul_f64 v[35:36], v[35:36], v[41:42]
	s_cbranch_execz .LBB80_132
	s_branch .LBB80_133
.LBB80_131:
                                        ; implicit-def: $vgpr35_vgpr36
.LBB80_132:
	ds_load_b64 v[35:36], v38
.LBB80_133:
	s_and_saveexec_b32 s4, s1
	s_cbranch_execz .LBB80_137
; %bb.134:
	v_add_nc_u32_e64 v41, 0, 24
	v_add_nc_u32_e32 v42, -3, v0
	s_movk_i32 s5, 0xa8
	s_mov_b32 s1, 0
.LBB80_135:                             ; =>This Inner Loop Header: Depth=1
	scratch_load_b64 v[43:44], v41, off
	v_dual_mov_b32 v45, s5 :: v_dual_add_nc_u32 v42, -1, v42
	v_add_nc_u32_e32 v41, 8, v41
	s_add_i32 s5, s5, 8
	ds_load_b64 v[45:46], v45
	v_cmp_eq_u32_e32 vcc_lo, 0, v42
	s_or_b32 s1, vcc_lo, s1
	s_waitcnt vmcnt(0) lgkmcnt(0)
	v_fma_f64 v[35:36], v[43:44], v[45:46], v[35:36]
	s_and_not1_b32 exec_lo, exec_lo, s1
	s_cbranch_execnz .LBB80_135
; %bb.136:
	s_or_b32 exec_lo, exec_lo, s1
.LBB80_137:
	s_delay_alu instid0(SALU_CYCLE_1)
	s_or_b32 exec_lo, exec_lo, s4
	v_mov_b32_e32 v41, 0
	ds_load_b64 v[41:42], v41 offset:16
	s_waitcnt lgkmcnt(0)
	v_mul_f64 v[35:36], v[35:36], v[41:42]
	scratch_store_b64 off, v[35:36], off offset:16
.LBB80_138:
	s_or_b32 exec_lo, exec_lo, s3
	scratch_load_b64 v[35:36], off, off offset:8
	v_cmp_lt_u32_e64 s1, 1, v0
	s_waitcnt vmcnt(0)
	ds_store_b64 v38, v[35:36]
	s_waitcnt lgkmcnt(0)
	s_waitcnt_vscnt null, 0x0
	s_barrier
	buffer_gl0_inv
	s_and_saveexec_b32 s3, s1
	s_cbranch_execz .LBB80_148
; %bb.139:
	s_and_not1_b32 vcc_lo, exec_lo, s2
	s_cbranch_vccnz .LBB80_141
; %bb.140:
	scratch_load_b64 v[35:36], v39, off
	ds_load_b64 v[41:42], v38
	s_waitcnt vmcnt(0) lgkmcnt(0)
	v_mul_f64 v[35:36], v[35:36], v[41:42]
	s_cbranch_execz .LBB80_142
	s_branch .LBB80_143
.LBB80_141:
                                        ; implicit-def: $vgpr35_vgpr36
.LBB80_142:
	ds_load_b64 v[35:36], v38
.LBB80_143:
	s_and_saveexec_b32 s4, s0
	s_cbranch_execz .LBB80_147
; %bb.144:
	v_add_nc_u32_e32 v41, -2, v0
	s_movk_i32 s5, 0xa0
	s_mov_b32 s0, 0
.LBB80_145:                             ; =>This Inner Loop Header: Depth=1
	scratch_load_b64 v[42:43], v40, off
	v_dual_mov_b32 v44, s5 :: v_dual_add_nc_u32 v41, -1, v41
	v_add_nc_u32_e32 v40, 8, v40
	s_add_i32 s5, s5, 8
	ds_load_b64 v[44:45], v44
	v_cmp_eq_u32_e32 vcc_lo, 0, v41
	s_or_b32 s0, vcc_lo, s0
	s_waitcnt vmcnt(0) lgkmcnt(0)
	v_fma_f64 v[35:36], v[42:43], v[44:45], v[35:36]
	s_and_not1_b32 exec_lo, exec_lo, s0
	s_cbranch_execnz .LBB80_145
; %bb.146:
	s_or_b32 exec_lo, exec_lo, s0
.LBB80_147:
	s_delay_alu instid0(SALU_CYCLE_1)
	s_or_b32 exec_lo, exec_lo, s4
	v_mov_b32_e32 v40, 0
	ds_load_b64 v[40:41], v40 offset:8
	s_waitcnt lgkmcnt(0)
	v_mul_f64 v[35:36], v[35:36], v[40:41]
	scratch_store_b64 off, v[35:36], off offset:8
.LBB80_148:
	s_or_b32 exec_lo, exec_lo, s3
	scratch_load_b64 v[35:36], off, off
	s_mov_b32 s0, 0
	s_mov_b32 s3, exec_lo
	s_waitcnt vmcnt(0)
	ds_store_b64 v38, v[35:36]
	s_waitcnt lgkmcnt(0)
	s_waitcnt_vscnt null, 0x0
	s_barrier
	buffer_gl0_inv
	v_cmpx_ne_u32_e32 0, v0
	s_cbranch_execz .LBB80_158
; %bb.149:
	s_and_not1_b32 vcc_lo, exec_lo, s2
	s_cbranch_vccnz .LBB80_151
; %bb.150:
	scratch_load_b64 v[35:36], v39, off
	ds_load_b64 v[40:41], v38
	s_waitcnt vmcnt(0) lgkmcnt(0)
	v_mul_f64 v[35:36], v[35:36], v[40:41]
	s_cbranch_execz .LBB80_152
	s_branch .LBB80_153
.LBB80_151:
                                        ; implicit-def: $vgpr35_vgpr36
.LBB80_152:
	ds_load_b64 v[35:36], v38
.LBB80_153:
	s_and_saveexec_b32 s4, s1
	s_cbranch_execz .LBB80_157
; %bb.154:
	v_or_b32_e64 v40, 0, 8
	v_add_nc_u32_e32 v41, -1, v0
	s_movk_i32 s5, 0x98
	s_mov_b32 s1, 0
.LBB80_155:                             ; =>This Inner Loop Header: Depth=1
	scratch_load_b64 v[42:43], v40, off
	v_dual_mov_b32 v44, s5 :: v_dual_add_nc_u32 v41, -1, v41
	v_add_nc_u32_e32 v40, 8, v40
	s_add_i32 s5, s5, 8
	ds_load_b64 v[44:45], v44
	v_cmp_eq_u32_e32 vcc_lo, 0, v41
	s_or_b32 s1, vcc_lo, s1
	s_waitcnt vmcnt(0) lgkmcnt(0)
	v_fma_f64 v[35:36], v[42:43], v[44:45], v[35:36]
	s_and_not1_b32 exec_lo, exec_lo, s1
	s_cbranch_execnz .LBB80_155
; %bb.156:
	s_or_b32 exec_lo, exec_lo, s1
.LBB80_157:
	s_delay_alu instid0(SALU_CYCLE_1)
	s_or_b32 exec_lo, exec_lo, s4
	v_mov_b32_e32 v40, 0
	ds_load_b64 v[40:41], v40
	s_waitcnt lgkmcnt(0)
	v_mul_f64 v[35:36], v[35:36], v[40:41]
	scratch_store_b64 off, v[35:36], off
.LBB80_158:
	s_or_b32 exec_lo, exec_lo, s3
.LBB80_159:
	s_delay_alu instid0(SALU_CYCLE_1)
	s_and_b32 vcc_lo, exec_lo, s0
	s_cbranch_vccz .LBB80_315
; %bb.160:
	scratch_load_b64 v[35:36], off, off offset:8
	v_cmp_eq_u32_e64 s0, 0, v0
	s_waitcnt vmcnt(0)
	ds_store_b64 v38, v[35:36]
	s_waitcnt lgkmcnt(0)
	s_waitcnt_vscnt null, 0x0
	s_barrier
	buffer_gl0_inv
	s_and_saveexec_b32 s1, s0
	s_cbranch_execz .LBB80_166
; %bb.161:
	s_and_b32 vcc_lo, exec_lo, s2
	s_cbranch_vccz .LBB80_163
; %bb.162:
	scratch_load_b64 v[35:36], v39, off
	ds_load_b64 v[40:41], v38
	s_waitcnt vmcnt(0) lgkmcnt(0)
	v_mul_f64 v[35:36], v[35:36], v[40:41]
	s_cbranch_execz .LBB80_164
	s_branch .LBB80_165
.LBB80_163:
                                        ; implicit-def: $vgpr35_vgpr36
.LBB80_164:
	ds_load_b64 v[35:36], v38
.LBB80_165:
	v_mov_b32_e32 v40, 0
	ds_load_b64 v[40:41], v40 offset:8
	s_waitcnt lgkmcnt(0)
	v_mul_f64 v[35:36], v[35:36], v[40:41]
	scratch_store_b64 off, v[35:36], off offset:8
.LBB80_166:
	s_or_b32 exec_lo, exec_lo, s1
	scratch_load_b64 v[35:36], off, off offset:16
	v_cndmask_b32_e64 v40, 0, 1, s2
	s_mov_b32 s1, exec_lo
	s_waitcnt vmcnt(0)
	ds_store_b64 v38, v[35:36]
	s_waitcnt lgkmcnt(0)
	s_waitcnt_vscnt null, 0x0
	s_barrier
	buffer_gl0_inv
	v_cmpx_gt_u32_e32 2, v0
	s_cbranch_execz .LBB80_174
; %bb.167:
	s_and_not1_b32 vcc_lo, exec_lo, s2
	s_cbranch_vccnz .LBB80_169
; %bb.168:
	scratch_load_b64 v[35:36], v39, off
	ds_load_b64 v[41:42], v38
	s_waitcnt vmcnt(0) lgkmcnt(0)
	v_mul_f64 v[35:36], v[35:36], v[41:42]
	s_cbranch_execz .LBB80_170
	s_branch .LBB80_171
.LBB80_169:
                                        ; implicit-def: $vgpr35_vgpr36
.LBB80_170:
	ds_load_b64 v[35:36], v38
.LBB80_171:
	s_and_saveexec_b32 s2, s0
	s_cbranch_execz .LBB80_173
; %bb.172:
	scratch_load_b64 v[41:42], v39, off offset:8
	ds_load_b64 v[43:44], v38 offset:8
	s_waitcnt vmcnt(0) lgkmcnt(0)
	v_fma_f64 v[35:36], v[41:42], v[43:44], v[35:36]
.LBB80_173:
	s_or_b32 exec_lo, exec_lo, s2
	v_mov_b32_e32 v41, 0
	ds_load_b64 v[41:42], v41 offset:16
	s_waitcnt lgkmcnt(0)
	v_mul_f64 v[35:36], v[35:36], v[41:42]
	scratch_store_b64 off, v[35:36], off offset:16
.LBB80_174:
	s_or_b32 exec_lo, exec_lo, s1
	scratch_load_b64 v[35:36], off, off offset:24
	s_mov_b32 s1, exec_lo
	s_waitcnt vmcnt(0)
	ds_store_b64 v38, v[35:36]
	s_waitcnt lgkmcnt(0)
	s_waitcnt_vscnt null, 0x0
	s_barrier
	buffer_gl0_inv
	v_cmpx_gt_u32_e32 3, v0
	s_cbranch_execz .LBB80_184
; %bb.175:
	v_cmp_ne_u32_e32 vcc_lo, 1, v40
	s_cbranch_vccnz .LBB80_177
; %bb.176:
	scratch_load_b64 v[35:36], v39, off
	ds_load_b64 v[41:42], v38
	s_waitcnt vmcnt(0) lgkmcnt(0)
	v_mul_f64 v[35:36], v[35:36], v[41:42]
	s_cbranch_execz .LBB80_178
	s_branch .LBB80_179
.LBB80_177:
                                        ; implicit-def: $vgpr35_vgpr36
.LBB80_178:
	ds_load_b64 v[35:36], v38
.LBB80_179:
	s_mov_b32 s2, exec_lo
	v_cmpx_ne_u32_e32 2, v0
	s_cbranch_execz .LBB80_183
; %bb.180:
	scratch_load_b64 v[41:42], v39, off offset:8
	ds_load_b64 v[43:44], v38 offset:8
	s_waitcnt vmcnt(0) lgkmcnt(0)
	v_fma_f64 v[35:36], v[41:42], v[43:44], v[35:36]
	s_and_saveexec_b32 s3, s0
	s_cbranch_execz .LBB80_182
; %bb.181:
	scratch_load_b64 v[41:42], off, off offset:16
	v_mov_b32_e32 v43, 0
	ds_load_b64 v[43:44], v43 offset:160
	s_waitcnt vmcnt(0) lgkmcnt(0)
	v_fma_f64 v[35:36], v[41:42], v[43:44], v[35:36]
.LBB80_182:
	s_or_b32 exec_lo, exec_lo, s3
.LBB80_183:
	s_delay_alu instid0(SALU_CYCLE_1)
	s_or_b32 exec_lo, exec_lo, s2
	v_mov_b32_e32 v41, 0
	ds_load_b64 v[41:42], v41 offset:24
	s_waitcnt lgkmcnt(0)
	v_mul_f64 v[35:36], v[35:36], v[41:42]
	scratch_store_b64 off, v[35:36], off offset:24
.LBB80_184:
	s_or_b32 exec_lo, exec_lo, s1
	scratch_load_b64 v[35:36], off, off offset:32
	s_mov_b32 s0, exec_lo
	s_waitcnt vmcnt(0)
	ds_store_b64 v38, v[35:36]
	s_waitcnt lgkmcnt(0)
	s_waitcnt_vscnt null, 0x0
	s_barrier
	buffer_gl0_inv
	v_cmpx_gt_u32_e32 4, v0
	s_cbranch_execz .LBB80_194
; %bb.185:
	v_cmp_ne_u32_e32 vcc_lo, 1, v40
	s_cbranch_vccnz .LBB80_187
; %bb.186:
	scratch_load_b64 v[35:36], v39, off
	ds_load_b64 v[41:42], v38
	s_waitcnt vmcnt(0) lgkmcnt(0)
	v_mul_f64 v[35:36], v[35:36], v[41:42]
	s_cbranch_execz .LBB80_188
	s_branch .LBB80_189
.LBB80_187:
                                        ; implicit-def: $vgpr35_vgpr36
.LBB80_188:
	ds_load_b64 v[35:36], v38
.LBB80_189:
	s_mov_b32 s1, exec_lo
	v_cmpx_ne_u32_e32 3, v0
	s_cbranch_execz .LBB80_193
; %bb.190:
	v_add_nc_u32_e32 v41, 0x98, v37
	v_add3_u32 v42, 0, v37, 8
	v_mov_b32_e32 v43, v0
	s_mov_b32 s2, 0
.LBB80_191:                             ; =>This Inner Loop Header: Depth=1
	scratch_load_b64 v[44:45], v42, off
	ds_load_b64 v[46:47], v41
	v_add_nc_u32_e32 v43, 1, v43
	v_add_nc_u32_e32 v41, 8, v41
	v_add_nc_u32_e32 v42, 8, v42
	s_delay_alu instid0(VALU_DEP_3)
	v_cmp_lt_u32_e32 vcc_lo, 2, v43
	s_or_b32 s2, vcc_lo, s2
	s_waitcnt vmcnt(0) lgkmcnt(0)
	v_fma_f64 v[35:36], v[44:45], v[46:47], v[35:36]
	s_and_not1_b32 exec_lo, exec_lo, s2
	s_cbranch_execnz .LBB80_191
; %bb.192:
	s_or_b32 exec_lo, exec_lo, s2
.LBB80_193:
	s_delay_alu instid0(SALU_CYCLE_1)
	s_or_b32 exec_lo, exec_lo, s1
	v_mov_b32_e32 v41, 0
	ds_load_b64 v[41:42], v41 offset:32
	s_waitcnt lgkmcnt(0)
	v_mul_f64 v[35:36], v[35:36], v[41:42]
	scratch_store_b64 off, v[35:36], off offset:32
.LBB80_194:
	s_or_b32 exec_lo, exec_lo, s0
	scratch_load_b64 v[35:36], off, off offset:40
	s_mov_b32 s0, exec_lo
	s_waitcnt vmcnt(0)
	ds_store_b64 v38, v[35:36]
	s_waitcnt lgkmcnt(0)
	s_waitcnt_vscnt null, 0x0
	s_barrier
	buffer_gl0_inv
	v_cmpx_gt_u32_e32 5, v0
	s_cbranch_execz .LBB80_204
; %bb.195:
	v_cmp_ne_u32_e32 vcc_lo, 1, v40
	s_cbranch_vccnz .LBB80_197
; %bb.196:
	scratch_load_b64 v[35:36], v39, off
	ds_load_b64 v[41:42], v38
	s_waitcnt vmcnt(0) lgkmcnt(0)
	v_mul_f64 v[35:36], v[35:36], v[41:42]
	s_cbranch_execz .LBB80_198
	s_branch .LBB80_199
.LBB80_197:
                                        ; implicit-def: $vgpr35_vgpr36
.LBB80_198:
	ds_load_b64 v[35:36], v38
.LBB80_199:
	s_mov_b32 s1, exec_lo
	v_cmpx_ne_u32_e32 4, v0
	s_cbranch_execz .LBB80_203
; %bb.200:
	v_add_nc_u32_e32 v41, 0x98, v37
	v_add3_u32 v42, 0, v37, 8
	v_mov_b32_e32 v43, v0
	s_mov_b32 s2, 0
.LBB80_201:                             ; =>This Inner Loop Header: Depth=1
	scratch_load_b64 v[44:45], v42, off
	ds_load_b64 v[46:47], v41
	v_add_nc_u32_e32 v43, 1, v43
	v_add_nc_u32_e32 v41, 8, v41
	v_add_nc_u32_e32 v42, 8, v42
	s_delay_alu instid0(VALU_DEP_3)
	v_cmp_lt_u32_e32 vcc_lo, 3, v43
	s_or_b32 s2, vcc_lo, s2
	s_waitcnt vmcnt(0) lgkmcnt(0)
	v_fma_f64 v[35:36], v[44:45], v[46:47], v[35:36]
	s_and_not1_b32 exec_lo, exec_lo, s2
	s_cbranch_execnz .LBB80_201
; %bb.202:
	s_or_b32 exec_lo, exec_lo, s2
.LBB80_203:
	s_delay_alu instid0(SALU_CYCLE_1)
	s_or_b32 exec_lo, exec_lo, s1
	v_mov_b32_e32 v41, 0
	ds_load_b64 v[41:42], v41 offset:40
	s_waitcnt lgkmcnt(0)
	v_mul_f64 v[35:36], v[35:36], v[41:42]
	scratch_store_b64 off, v[35:36], off offset:40
.LBB80_204:
	;; [unrolled: 58-line block ×11, first 2 shown]
	s_or_b32 exec_lo, exec_lo, s0
	scratch_load_b64 v[35:36], off, off offset:120
	v_cmp_gt_u32_e64 s0, 15, v0
	s_waitcnt vmcnt(0)
	ds_store_b64 v38, v[35:36]
	s_waitcnt lgkmcnt(0)
	s_waitcnt_vscnt null, 0x0
	s_barrier
	buffer_gl0_inv
	s_and_saveexec_b32 s1, s0
	s_cbranch_execz .LBB80_304
; %bb.295:
	v_cmp_ne_u32_e32 vcc_lo, 1, v40
	s_cbranch_vccnz .LBB80_297
; %bb.296:
	scratch_load_b64 v[35:36], v39, off
	ds_load_b64 v[41:42], v38
	s_waitcnt vmcnt(0) lgkmcnt(0)
	v_mul_f64 v[35:36], v[35:36], v[41:42]
	s_cbranch_execz .LBB80_298
	s_branch .LBB80_299
.LBB80_297:
                                        ; implicit-def: $vgpr35_vgpr36
.LBB80_298:
	ds_load_b64 v[35:36], v38
.LBB80_299:
	s_mov_b32 s2, exec_lo
	v_cmpx_ne_u32_e32 14, v0
	s_cbranch_execz .LBB80_303
; %bb.300:
	v_add_nc_u32_e32 v41, 0x98, v37
	v_add3_u32 v42, 0, v37, 8
	v_mov_b32_e32 v43, v0
	s_mov_b32 s3, 0
.LBB80_301:                             ; =>This Inner Loop Header: Depth=1
	scratch_load_b64 v[44:45], v42, off
	ds_load_b64 v[46:47], v41
	v_add_nc_u32_e32 v43, 1, v43
	v_add_nc_u32_e32 v41, 8, v41
	;; [unrolled: 1-line block ×3, first 2 shown]
	s_delay_alu instid0(VALU_DEP_3)
	v_cmp_lt_u32_e32 vcc_lo, 13, v43
	s_or_b32 s3, vcc_lo, s3
	s_waitcnt vmcnt(0) lgkmcnt(0)
	v_fma_f64 v[35:36], v[44:45], v[46:47], v[35:36]
	s_and_not1_b32 exec_lo, exec_lo, s3
	s_cbranch_execnz .LBB80_301
; %bb.302:
	s_or_b32 exec_lo, exec_lo, s3
.LBB80_303:
	s_delay_alu instid0(SALU_CYCLE_1)
	s_or_b32 exec_lo, exec_lo, s2
	v_mov_b32_e32 v41, 0
	ds_load_b64 v[41:42], v41 offset:120
	s_waitcnt lgkmcnt(0)
	v_mul_f64 v[35:36], v[35:36], v[41:42]
	scratch_store_b64 off, v[35:36], off offset:120
.LBB80_304:
	s_or_b32 exec_lo, exec_lo, s1
	scratch_load_b64 v[35:36], off, off offset:128
	s_mov_b32 s1, exec_lo
	s_waitcnt vmcnt(0)
	ds_store_b64 v38, v[35:36]
	s_waitcnt lgkmcnt(0)
	s_waitcnt_vscnt null, 0x0
	s_barrier
	buffer_gl0_inv
	v_cmpx_ne_u32_e32 16, v0
	s_cbranch_execz .LBB80_314
; %bb.305:
	v_cmp_ne_u32_e32 vcc_lo, 1, v40
	s_cbranch_vccnz .LBB80_307
; %bb.306:
	scratch_load_b64 v[35:36], v39, off
	ds_load_b64 v[39:40], v38
	s_waitcnt vmcnt(0) lgkmcnt(0)
	v_mul_f64 v[35:36], v[35:36], v[39:40]
	s_cbranch_execz .LBB80_308
	s_branch .LBB80_309
.LBB80_307:
                                        ; implicit-def: $vgpr35_vgpr36
.LBB80_308:
	ds_load_b64 v[35:36], v38
.LBB80_309:
	s_and_saveexec_b32 s2, s0
	s_cbranch_execz .LBB80_313
; %bb.310:
	v_add_nc_u32_e32 v38, 0x98, v37
	v_add3_u32 v37, 0, v37, 8
	s_mov_b32 s0, 0
.LBB80_311:                             ; =>This Inner Loop Header: Depth=1
	scratch_load_b64 v[39:40], v37, off
	ds_load_b64 v[41:42], v38
	v_add_nc_u32_e32 v0, 1, v0
	v_add_nc_u32_e32 v38, 8, v38
	;; [unrolled: 1-line block ×3, first 2 shown]
	s_delay_alu instid0(VALU_DEP_3)
	v_cmp_lt_u32_e32 vcc_lo, 14, v0
	s_or_b32 s0, vcc_lo, s0
	s_waitcnt vmcnt(0) lgkmcnt(0)
	v_fma_f64 v[35:36], v[39:40], v[41:42], v[35:36]
	s_and_not1_b32 exec_lo, exec_lo, s0
	s_cbranch_execnz .LBB80_311
; %bb.312:
	s_or_b32 exec_lo, exec_lo, s0
.LBB80_313:
	s_delay_alu instid0(SALU_CYCLE_1)
	s_or_b32 exec_lo, exec_lo, s2
	v_mov_b32_e32 v0, 0
	ds_load_b64 v[37:38], v0 offset:128
	s_waitcnt lgkmcnt(0)
	v_mul_f64 v[35:36], v[35:36], v[37:38]
	scratch_store_b64 off, v[35:36], off offset:128
.LBB80_314:
	s_or_b32 exec_lo, exec_lo, s1
.LBB80_315:
	s_clause 0x8
	scratch_load_b128 v[35:38], off, off
	scratch_load_b128 v[39:42], off, off offset:16
	scratch_load_b128 v[43:46], off, off offset:32
	;; [unrolled: 1-line block ×7, first 2 shown]
	scratch_load_b64 v[67:68], off, off offset:128
	s_waitcnt vmcnt(8)
	s_clause 0x1
	global_store_b64 v[1:2], v[35:36], off
	global_store_b64 v[9:10], v[37:38], off
	s_waitcnt vmcnt(7)
	s_clause 0x1
	global_store_b64 v[3:4], v[39:40], off
	global_store_b64 v[5:6], v[41:42], off
	;; [unrolled: 4-line block ×8, first 2 shown]
	s_waitcnt vmcnt(0)
	global_store_b64 v[33:34], v[67:68], off
.LBB80_316:
	s_endpgm
	.section	.rodata,"a",@progbits
	.p2align	6, 0x0
	.amdhsa_kernel _ZN9rocsolver6v33100L18trti2_kernel_smallILi17EdPKPdEEv13rocblas_fill_17rocblas_diagonal_T1_iil
		.amdhsa_group_segment_fixed_size 280
		.amdhsa_private_segment_fixed_size 144
		.amdhsa_kernarg_size 32
		.amdhsa_user_sgpr_count 15
		.amdhsa_user_sgpr_dispatch_ptr 0
		.amdhsa_user_sgpr_queue_ptr 0
		.amdhsa_user_sgpr_kernarg_segment_ptr 1
		.amdhsa_user_sgpr_dispatch_id 0
		.amdhsa_user_sgpr_private_segment_size 0
		.amdhsa_wavefront_size32 1
		.amdhsa_uses_dynamic_stack 0
		.amdhsa_enable_private_segment 1
		.amdhsa_system_sgpr_workgroup_id_x 1
		.amdhsa_system_sgpr_workgroup_id_y 0
		.amdhsa_system_sgpr_workgroup_id_z 0
		.amdhsa_system_sgpr_workgroup_info 0
		.amdhsa_system_vgpr_workitem_id 0
		.amdhsa_next_free_vgpr 72
		.amdhsa_next_free_sgpr 16
		.amdhsa_reserve_vcc 1
		.amdhsa_float_round_mode_32 0
		.amdhsa_float_round_mode_16_64 0
		.amdhsa_float_denorm_mode_32 3
		.amdhsa_float_denorm_mode_16_64 3
		.amdhsa_dx10_clamp 1
		.amdhsa_ieee_mode 1
		.amdhsa_fp16_overflow 0
		.amdhsa_workgroup_processor_mode 1
		.amdhsa_memory_ordered 1
		.amdhsa_forward_progress 0
		.amdhsa_shared_vgpr_count 0
		.amdhsa_exception_fp_ieee_invalid_op 0
		.amdhsa_exception_fp_denorm_src 0
		.amdhsa_exception_fp_ieee_div_zero 0
		.amdhsa_exception_fp_ieee_overflow 0
		.amdhsa_exception_fp_ieee_underflow 0
		.amdhsa_exception_fp_ieee_inexact 0
		.amdhsa_exception_int_div_zero 0
	.end_amdhsa_kernel
	.section	.text._ZN9rocsolver6v33100L18trti2_kernel_smallILi17EdPKPdEEv13rocblas_fill_17rocblas_diagonal_T1_iil,"axG",@progbits,_ZN9rocsolver6v33100L18trti2_kernel_smallILi17EdPKPdEEv13rocblas_fill_17rocblas_diagonal_T1_iil,comdat
.Lfunc_end80:
	.size	_ZN9rocsolver6v33100L18trti2_kernel_smallILi17EdPKPdEEv13rocblas_fill_17rocblas_diagonal_T1_iil, .Lfunc_end80-_ZN9rocsolver6v33100L18trti2_kernel_smallILi17EdPKPdEEv13rocblas_fill_17rocblas_diagonal_T1_iil
                                        ; -- End function
	.section	.AMDGPU.csdata,"",@progbits
; Kernel info:
; codeLenInByte = 8900
; NumSgprs: 18
; NumVgprs: 72
; ScratchSize: 144
; MemoryBound: 0
; FloatMode: 240
; IeeeMode: 1
; LDSByteSize: 280 bytes/workgroup (compile time only)
; SGPRBlocks: 2
; VGPRBlocks: 8
; NumSGPRsForWavesPerEU: 18
; NumVGPRsForWavesPerEU: 72
; Occupancy: 16
; WaveLimiterHint : 1
; COMPUTE_PGM_RSRC2:SCRATCH_EN: 1
; COMPUTE_PGM_RSRC2:USER_SGPR: 15
; COMPUTE_PGM_RSRC2:TRAP_HANDLER: 0
; COMPUTE_PGM_RSRC2:TGID_X_EN: 1
; COMPUTE_PGM_RSRC2:TGID_Y_EN: 0
; COMPUTE_PGM_RSRC2:TGID_Z_EN: 0
; COMPUTE_PGM_RSRC2:TIDIG_COMP_CNT: 0
	.section	.text._ZN9rocsolver6v33100L18trti2_kernel_smallILi18EdPKPdEEv13rocblas_fill_17rocblas_diagonal_T1_iil,"axG",@progbits,_ZN9rocsolver6v33100L18trti2_kernel_smallILi18EdPKPdEEv13rocblas_fill_17rocblas_diagonal_T1_iil,comdat
	.globl	_ZN9rocsolver6v33100L18trti2_kernel_smallILi18EdPKPdEEv13rocblas_fill_17rocblas_diagonal_T1_iil ; -- Begin function _ZN9rocsolver6v33100L18trti2_kernel_smallILi18EdPKPdEEv13rocblas_fill_17rocblas_diagonal_T1_iil
	.p2align	8
	.type	_ZN9rocsolver6v33100L18trti2_kernel_smallILi18EdPKPdEEv13rocblas_fill_17rocblas_diagonal_T1_iil,@function
_ZN9rocsolver6v33100L18trti2_kernel_smallILi18EdPKPdEEv13rocblas_fill_17rocblas_diagonal_T1_iil: ; @_ZN9rocsolver6v33100L18trti2_kernel_smallILi18EdPKPdEEv13rocblas_fill_17rocblas_diagonal_T1_iil
; %bb.0:
	s_mov_b32 s2, exec_lo
	v_cmpx_gt_u32_e32 18, v0
	s_cbranch_execz .LBB81_336
; %bb.1:
	s_clause 0x1
	s_load_b64 s[4:5], s[0:1], 0x10
	s_load_b128 s[0:3], s[0:1], 0x0
	s_mov_b32 s6, s15
	s_ashr_i32 s7, s15, 31
	v_lshlrev_b32_e32 v39, 3, v0
	s_lshl_b64 s[6:7], s[6:7], 3
	s_waitcnt lgkmcnt(0)
	s_ashr_i32 s9, s4, 31
	s_add_u32 s2, s2, s6
	s_addc_u32 s3, s3, s7
	v_add3_u32 v1, s5, s5, v0
	s_load_b64 s[2:3], s[2:3], 0x0
	s_mov_b32 s8, s4
	s_mov_b32 s6, s5
	s_lshl_b64 s[8:9], s[8:9], 3
	v_add_nc_u32_e32 v3, s5, v1
	v_ashrrev_i32_e32 v2, 31, v1
	s_delay_alu instid0(VALU_DEP_2) | instskip(SKIP_1) | instid1(VALU_DEP_3)
	v_add_nc_u32_e32 v5, s5, v3
	v_ashrrev_i32_e32 v4, 31, v3
	v_lshlrev_b64 v[9:10], 3, v[1:2]
	s_delay_alu instid0(VALU_DEP_3) | instskip(NEXT) | instid1(VALU_DEP_3)
	v_add_nc_u32_e32 v7, s5, v5
	v_lshlrev_b64 v[11:12], 3, v[3:4]
	v_ashrrev_i32_e32 v6, 31, v5
	s_delay_alu instid0(VALU_DEP_3)
	v_add_nc_u32_e32 v15, s5, v7
	s_waitcnt lgkmcnt(0)
	s_add_u32 s2, s2, s8
	s_addc_u32 s3, s3, s9
	v_add_co_u32 v3, vcc_lo, s2, v9
	v_add_co_u32 v1, s4, s2, v39
	s_ashr_i32 s7, s5, 31
	v_add_co_ci_u32_e32 v4, vcc_lo, s3, v10, vcc_lo
	v_lshlrev_b64 v[13:14], 3, v[5:6]
	v_add_co_ci_u32_e64 v2, null, s3, 0, s4
	v_add_co_u32 v5, vcc_lo, s2, v11
	v_ashrrev_i32_e32 v8, 31, v7
	s_lshl_b64 s[6:7], s[6:7], 3
	v_add_co_ci_u32_e32 v6, vcc_lo, s3, v12, vcc_lo
	v_ashrrev_i32_e32 v16, 31, v15
	v_add_nc_u32_e32 v19, s5, v15
	v_add_co_u32 v9, vcc_lo, v1, s6
	v_add_co_ci_u32_e32 v10, vcc_lo, s7, v2, vcc_lo
	v_lshlrev_b64 v[17:18], 3, v[7:8]
	v_add_co_u32 v7, vcc_lo, s2, v13
	v_add_co_ci_u32_e32 v8, vcc_lo, s3, v14, vcc_lo
	v_lshlrev_b64 v[13:14], 3, v[15:16]
	v_add_nc_u32_e32 v15, s5, v19
	v_ashrrev_i32_e32 v20, 31, v19
	v_add_co_u32 v11, vcc_lo, s2, v17
	v_add_co_ci_u32_e32 v12, vcc_lo, s3, v18, vcc_lo
	s_delay_alu instid0(VALU_DEP_4) | instskip(NEXT) | instid1(VALU_DEP_4)
	v_ashrrev_i32_e32 v16, 31, v15
	v_lshlrev_b64 v[17:18], 3, v[19:20]
	v_add_nc_u32_e32 v21, s5, v15
	v_add_co_u32 v13, vcc_lo, s2, v13
	s_delay_alu instid0(VALU_DEP_4)
	v_lshlrev_b64 v[19:20], 3, v[15:16]
	v_add_co_ci_u32_e32 v14, vcc_lo, s3, v14, vcc_lo
	v_add_co_u32 v15, vcc_lo, s2, v17
	v_ashrrev_i32_e32 v22, 31, v21
	v_add_nc_u32_e32 v23, s5, v21
	v_add_co_ci_u32_e32 v16, vcc_lo, s3, v18, vcc_lo
	v_add_co_u32 v17, vcc_lo, s2, v19
	v_add_co_ci_u32_e32 v18, vcc_lo, s3, v20, vcc_lo
	v_lshlrev_b64 v[19:20], 3, v[21:22]
	v_add_nc_u32_e32 v21, s5, v23
	v_ashrrev_i32_e32 v24, 31, v23
	s_clause 0x8
	global_load_b64 v[40:41], v39, s[2:3]
	global_load_b64 v[42:43], v[9:10], off
	global_load_b64 v[44:45], v[3:4], off
	;; [unrolled: 1-line block ×8, first 2 shown]
	v_add_nc_u32_e32 v25, s5, v21
	v_ashrrev_i32_e32 v22, 31, v21
	v_lshlrev_b64 v[23:24], 3, v[23:24]
	v_add_co_u32 v19, vcc_lo, s2, v19
	s_delay_alu instid0(VALU_DEP_4) | instskip(NEXT) | instid1(VALU_DEP_4)
	v_ashrrev_i32_e32 v26, 31, v25
	v_lshlrev_b64 v[27:28], 3, v[21:22]
	v_add_nc_u32_e32 v31, s5, v25
	v_add_co_ci_u32_e32 v20, vcc_lo, s3, v20, vcc_lo
	v_add_co_u32 v21, vcc_lo, s2, v23
	v_lshlrev_b64 v[29:30], 3, v[25:26]
	v_add_co_ci_u32_e32 v22, vcc_lo, s3, v24, vcc_lo
	v_add_co_u32 v23, vcc_lo, s2, v27
	v_ashrrev_i32_e32 v32, 31, v31
	v_add_nc_u32_e32 v27, s5, v31
	v_add_co_ci_u32_e32 v24, vcc_lo, s3, v28, vcc_lo
	v_add_co_u32 v25, vcc_lo, s2, v29
	v_add_co_ci_u32_e32 v26, vcc_lo, s3, v30, vcc_lo
	v_lshlrev_b64 v[29:30], 3, v[31:32]
	v_add_nc_u32_e32 v31, s5, v27
	v_ashrrev_i32_e32 v28, 31, v27
	s_clause 0x3
	global_load_b64 v[58:59], v[19:20], off
	global_load_b64 v[60:61], v[21:22], off
	;; [unrolled: 1-line block ×4, first 2 shown]
	s_cmpk_lg_i32 s1, 0x84
	v_add_nc_u32_e32 v35, s5, v31
	v_lshlrev_b64 v[33:34], 3, v[27:28]
	v_ashrrev_i32_e32 v32, 31, v31
	v_add_co_u32 v27, vcc_lo, s2, v29
	s_delay_alu instid0(VALU_DEP_4)
	v_add_nc_u32_e32 v37, s5, v35
	v_ashrrev_i32_e32 v36, 31, v35
	v_add_co_ci_u32_e32 v28, vcc_lo, s3, v30, vcc_lo
	v_lshlrev_b64 v[29:30], 3, v[31:32]
	v_add_co_u32 v31, vcc_lo, s2, v33
	v_ashrrev_i32_e32 v38, 31, v37
	v_add_co_ci_u32_e32 v32, vcc_lo, s3, v34, vcc_lo
	v_lshlrev_b64 v[33:34], 3, v[35:36]
	v_add_co_u32 v35, vcc_lo, s2, v29
	s_delay_alu instid0(VALU_DEP_4) | instskip(SKIP_1) | instid1(VALU_DEP_4)
	v_lshlrev_b64 v[37:38], 3, v[37:38]
	v_add_co_ci_u32_e32 v36, vcc_lo, s3, v30, vcc_lo
	v_add_co_u32 v29, vcc_lo, s2, v33
	v_add_co_ci_u32_e32 v30, vcc_lo, s3, v34, vcc_lo
	s_delay_alu instid0(VALU_DEP_4)
	v_add_co_u32 v33, vcc_lo, s2, v37
	v_add_co_ci_u32_e32 v34, vcc_lo, s3, v38, vcc_lo
	s_clause 0x4
	global_load_b64 v[66:67], v[27:28], off
	global_load_b64 v[68:69], v[31:32], off
	;; [unrolled: 1-line block ×5, first 2 shown]
	v_mov_b32_e32 v37, 0
	v_mov_b32_e32 v38, 0xbff00000
	s_cselect_b32 s2, -1, 0
	s_cmpk_eq_i32 s1, 0x84
	s_waitcnt vmcnt(16)
	scratch_store_b128 off, v[40:43], off
	s_waitcnt vmcnt(14)
	scratch_store_b128 off, v[44:47], off offset:16
	s_waitcnt vmcnt(12)
	scratch_store_b128 off, v[48:51], off offset:32
	;; [unrolled: 2-line block ×8, first 2 shown]
	s_cbranch_scc1 .LBB81_3
; %bb.2:
	scratch_load_b64 v[37:38], v39, off
	s_waitcnt vmcnt(0)
	v_div_scale_f64 v[40:41], null, v[37:38], v[37:38], 1.0
	v_div_scale_f64 v[46:47], vcc_lo, 1.0, v[37:38], 1.0
	s_delay_alu instid0(VALU_DEP_2) | instskip(SKIP_2) | instid1(VALU_DEP_1)
	v_rcp_f64_e32 v[42:43], v[40:41]
	s_waitcnt_depctr 0xfff
	v_fma_f64 v[44:45], -v[40:41], v[42:43], 1.0
	v_fma_f64 v[42:43], v[42:43], v[44:45], v[42:43]
	s_delay_alu instid0(VALU_DEP_1) | instskip(NEXT) | instid1(VALU_DEP_1)
	v_fma_f64 v[44:45], -v[40:41], v[42:43], 1.0
	v_fma_f64 v[42:43], v[42:43], v[44:45], v[42:43]
	s_delay_alu instid0(VALU_DEP_1) | instskip(NEXT) | instid1(VALU_DEP_1)
	v_mul_f64 v[44:45], v[46:47], v[42:43]
	v_fma_f64 v[40:41], -v[40:41], v[44:45], v[46:47]
	s_delay_alu instid0(VALU_DEP_1) | instskip(NEXT) | instid1(VALU_DEP_1)
	v_div_fmas_f64 v[40:41], v[40:41], v[42:43], v[44:45]
	v_div_fixup_f64 v[37:38], v[40:41], v[37:38], 1.0
	scratch_store_b64 v39, v[37:38], off
	v_xor_b32_e32 v38, 0x80000000, v38
.LBB81_3:
	v_add_nc_u32_e32 v40, 0x90, v39
	v_add_nc_u32_e32 v41, 0, v39
	s_cmpk_eq_i32 s0, 0x79
	s_mov_b32 s0, -1
	ds_store_b64 v39, v[37:38]
	s_cbranch_scc1 .LBB81_169
; %bb.4:
	scratch_load_b64 v[37:38], off, off offset:128
	v_cmp_eq_u32_e64 s0, 17, v0
	s_movk_i32 s1, 0x50
	s_movk_i32 s3, 0x60
	;; [unrolled: 1-line block ×3, first 2 shown]
	s_waitcnt vmcnt(0)
	ds_store_b64 v40, v[37:38]
	s_waitcnt lgkmcnt(0)
	s_waitcnt_vscnt null, 0x0
	s_barrier
	buffer_gl0_inv
	s_and_saveexec_b32 s5, s0
	s_cbranch_execz .LBB81_10
; %bb.5:
	s_and_b32 vcc_lo, exec_lo, s2
	s_cbranch_vccz .LBB81_7
; %bb.6:
	scratch_load_b64 v[37:38], v41, off
	ds_load_b64 v[42:43], v40
	s_waitcnt vmcnt(0) lgkmcnt(0)
	v_mul_f64 v[37:38], v[37:38], v[42:43]
	s_cbranch_execz .LBB81_8
	s_branch .LBB81_9
.LBB81_7:
                                        ; implicit-def: $vgpr37_vgpr38
.LBB81_8:
	ds_load_b64 v[37:38], v40
.LBB81_9:
	v_mov_b32_e32 v42, 0
	ds_load_b64 v[42:43], v42 offset:128
	s_waitcnt lgkmcnt(0)
	v_mul_f64 v[37:38], v[37:38], v[42:43]
	scratch_store_b64 off, v[37:38], off offset:128
.LBB81_10:
	s_or_b32 exec_lo, exec_lo, s5
	scratch_load_b64 v[37:38], off, off offset:120
	v_add_nc_u32_e64 v42, 0, 16
	v_add_nc_u32_e64 v43, 0, 32
	;; [unrolled: 1-line block ×7, first 2 shown]
	v_cmp_lt_u32_e64 s1, 15, v0
	s_waitcnt vmcnt(0)
	ds_store_b64 v40, v[37:38]
	s_waitcnt lgkmcnt(0)
	s_waitcnt_vscnt null, 0x0
	s_barrier
	buffer_gl0_inv
	s_and_saveexec_b32 s3, s1
	s_cbranch_execz .LBB81_18
; %bb.11:
	s_and_not1_b32 vcc_lo, exec_lo, s2
	s_cbranch_vccnz .LBB81_13
; %bb.12:
	scratch_load_b64 v[37:38], v41, off
	ds_load_b64 v[49:50], v40
	s_waitcnt vmcnt(0) lgkmcnt(0)
	v_mul_f64 v[37:38], v[37:38], v[49:50]
	s_cbranch_execz .LBB81_14
	s_branch .LBB81_15
.LBB81_13:
                                        ; implicit-def: $vgpr37_vgpr38
.LBB81_14:
	ds_load_b64 v[37:38], v40
.LBB81_15:
	s_and_saveexec_b32 s4, s0
	s_cbranch_execz .LBB81_17
; %bb.16:
	scratch_load_b64 v[49:50], off, off offset:128
	v_mov_b32_e32 v51, 0
	ds_load_b64 v[51:52], v51 offset:272
	s_waitcnt vmcnt(0) lgkmcnt(0)
	v_fma_f64 v[37:38], v[49:50], v[51:52], v[37:38]
.LBB81_17:
	s_or_b32 exec_lo, exec_lo, s4
	v_mov_b32_e32 v49, 0
	ds_load_b64 v[49:50], v49 offset:120
	s_waitcnt lgkmcnt(0)
	v_mul_f64 v[37:38], v[37:38], v[49:50]
	scratch_store_b64 off, v[37:38], off offset:120
.LBB81_18:
	s_or_b32 exec_lo, exec_lo, s3
	scratch_load_b64 v[37:38], off, off offset:112
	v_cmp_lt_u32_e64 s0, 14, v0
	s_waitcnt vmcnt(0)
	ds_store_b64 v40, v[37:38]
	s_waitcnt lgkmcnt(0)
	s_waitcnt_vscnt null, 0x0
	s_barrier
	buffer_gl0_inv
	s_and_saveexec_b32 s3, s0
	s_cbranch_execz .LBB81_28
; %bb.19:
	s_and_not1_b32 vcc_lo, exec_lo, s2
	s_cbranch_vccnz .LBB81_21
; %bb.20:
	scratch_load_b64 v[37:38], v41, off
	ds_load_b64 v[49:50], v40
	s_waitcnt vmcnt(0) lgkmcnt(0)
	v_mul_f64 v[37:38], v[37:38], v[49:50]
	s_cbranch_execz .LBB81_22
	s_branch .LBB81_23
.LBB81_21:
                                        ; implicit-def: $vgpr37_vgpr38
.LBB81_22:
	ds_load_b64 v[37:38], v40
.LBB81_23:
	s_and_saveexec_b32 s4, s1
	s_cbranch_execz .LBB81_27
; %bb.24:
	v_dual_mov_b32 v49, 0 :: v_dual_add_nc_u32 v50, -15, v0
	s_movk_i32 s5, 0x108
	s_mov_b32 s1, 0
	s_delay_alu instid0(VALU_DEP_1)
	v_add_nc_u32_e32 v49, 0x78, v49
.LBB81_25:                              ; =>This Inner Loop Header: Depth=1
	scratch_load_b64 v[51:52], v49, off
	v_dual_mov_b32 v53, s5 :: v_dual_add_nc_u32 v50, -1, v50
	v_add_nc_u32_e32 v49, 8, v49
	s_add_i32 s5, s5, 8
	ds_load_b64 v[53:54], v53
	v_cmp_eq_u32_e32 vcc_lo, 0, v50
	s_or_b32 s1, vcc_lo, s1
	s_waitcnt vmcnt(0) lgkmcnt(0)
	v_fma_f64 v[37:38], v[51:52], v[53:54], v[37:38]
	s_and_not1_b32 exec_lo, exec_lo, s1
	s_cbranch_execnz .LBB81_25
; %bb.26:
	s_or_b32 exec_lo, exec_lo, s1
.LBB81_27:
	s_delay_alu instid0(SALU_CYCLE_1)
	s_or_b32 exec_lo, exec_lo, s4
	v_mov_b32_e32 v49, 0
	ds_load_b64 v[49:50], v49 offset:112
	s_waitcnt lgkmcnt(0)
	v_mul_f64 v[37:38], v[37:38], v[49:50]
	scratch_store_b64 off, v[37:38], off offset:112
.LBB81_28:
	s_or_b32 exec_lo, exec_lo, s3
	scratch_load_b64 v[37:38], off, off offset:104
	v_cmp_lt_u32_e64 s1, 13, v0
	s_waitcnt vmcnt(0)
	ds_store_b64 v40, v[37:38]
	s_waitcnt lgkmcnt(0)
	s_waitcnt_vscnt null, 0x0
	s_barrier
	buffer_gl0_inv
	s_and_saveexec_b32 s3, s1
	s_cbranch_execz .LBB81_38
; %bb.29:
	s_and_not1_b32 vcc_lo, exec_lo, s2
	s_cbranch_vccnz .LBB81_31
; %bb.30:
	scratch_load_b64 v[37:38], v41, off
	ds_load_b64 v[49:50], v40
	s_waitcnt vmcnt(0) lgkmcnt(0)
	v_mul_f64 v[37:38], v[37:38], v[49:50]
	s_cbranch_execz .LBB81_32
	s_branch .LBB81_33
.LBB81_31:
                                        ; implicit-def: $vgpr37_vgpr38
.LBB81_32:
	ds_load_b64 v[37:38], v40
.LBB81_33:
	s_and_saveexec_b32 s4, s0
	s_cbranch_execz .LBB81_37
; %bb.34:
	v_add_nc_u32_e32 v49, -14, v0
	s_movk_i32 s5, 0x100
	s_mov_b32 s0, 0
.LBB81_35:                              ; =>This Inner Loop Header: Depth=1
	scratch_load_b64 v[50:51], v48, off
	v_dual_mov_b32 v52, s5 :: v_dual_add_nc_u32 v49, -1, v49
	v_add_nc_u32_e32 v48, 8, v48
	s_add_i32 s5, s5, 8
	ds_load_b64 v[52:53], v52
	v_cmp_eq_u32_e32 vcc_lo, 0, v49
	s_or_b32 s0, vcc_lo, s0
	s_waitcnt vmcnt(0) lgkmcnt(0)
	v_fma_f64 v[37:38], v[50:51], v[52:53], v[37:38]
	s_and_not1_b32 exec_lo, exec_lo, s0
	s_cbranch_execnz .LBB81_35
; %bb.36:
	s_or_b32 exec_lo, exec_lo, s0
.LBB81_37:
	s_delay_alu instid0(SALU_CYCLE_1)
	s_or_b32 exec_lo, exec_lo, s4
	v_mov_b32_e32 v48, 0
	ds_load_b64 v[48:49], v48 offset:104
	s_waitcnt lgkmcnt(0)
	v_mul_f64 v[37:38], v[37:38], v[48:49]
	scratch_store_b64 off, v[37:38], off offset:104
.LBB81_38:
	s_or_b32 exec_lo, exec_lo, s3
	scratch_load_b64 v[37:38], off, off offset:96
	v_cmp_lt_u32_e64 s0, 12, v0
	s_waitcnt vmcnt(0)
	ds_store_b64 v40, v[37:38]
	s_waitcnt lgkmcnt(0)
	s_waitcnt_vscnt null, 0x0
	s_barrier
	buffer_gl0_inv
	s_and_saveexec_b32 s3, s0
	s_cbranch_execz .LBB81_48
; %bb.39:
	s_and_not1_b32 vcc_lo, exec_lo, s2
	s_cbranch_vccnz .LBB81_41
; %bb.40:
	scratch_load_b64 v[37:38], v41, off
	ds_load_b64 v[48:49], v40
	s_waitcnt vmcnt(0) lgkmcnt(0)
	v_mul_f64 v[37:38], v[37:38], v[48:49]
	s_cbranch_execz .LBB81_42
	s_branch .LBB81_43
.LBB81_41:
                                        ; implicit-def: $vgpr37_vgpr38
.LBB81_42:
	ds_load_b64 v[37:38], v40
.LBB81_43:
	s_and_saveexec_b32 s4, s1
	s_cbranch_execz .LBB81_47
; %bb.44:
	v_dual_mov_b32 v48, 0 :: v_dual_add_nc_u32 v49, -13, v0
	s_movk_i32 s5, 0xf8
	s_mov_b32 s1, 0
	s_delay_alu instid0(VALU_DEP_1)
	v_add_nc_u32_e32 v48, 0x68, v48
.LBB81_45:                              ; =>This Inner Loop Header: Depth=1
	scratch_load_b64 v[50:51], v48, off
	v_dual_mov_b32 v52, s5 :: v_dual_add_nc_u32 v49, -1, v49
	v_add_nc_u32_e32 v48, 8, v48
	s_add_i32 s5, s5, 8
	ds_load_b64 v[52:53], v52
	v_cmp_eq_u32_e32 vcc_lo, 0, v49
	s_or_b32 s1, vcc_lo, s1
	s_waitcnt vmcnt(0) lgkmcnt(0)
	v_fma_f64 v[37:38], v[50:51], v[52:53], v[37:38]
	s_and_not1_b32 exec_lo, exec_lo, s1
	s_cbranch_execnz .LBB81_45
; %bb.46:
	s_or_b32 exec_lo, exec_lo, s1
.LBB81_47:
	s_delay_alu instid0(SALU_CYCLE_1)
	s_or_b32 exec_lo, exec_lo, s4
	v_mov_b32_e32 v48, 0
	ds_load_b64 v[48:49], v48 offset:96
	s_waitcnt lgkmcnt(0)
	v_mul_f64 v[37:38], v[37:38], v[48:49]
	scratch_store_b64 off, v[37:38], off offset:96
.LBB81_48:
	s_or_b32 exec_lo, exec_lo, s3
	scratch_load_b64 v[37:38], off, off offset:88
	v_cmp_lt_u32_e64 s1, 11, v0
	s_waitcnt vmcnt(0)
	ds_store_b64 v40, v[37:38]
	s_waitcnt lgkmcnt(0)
	s_waitcnt_vscnt null, 0x0
	s_barrier
	buffer_gl0_inv
	s_and_saveexec_b32 s3, s1
	s_cbranch_execz .LBB81_58
; %bb.49:
	s_and_not1_b32 vcc_lo, exec_lo, s2
	s_cbranch_vccnz .LBB81_51
; %bb.50:
	scratch_load_b64 v[37:38], v41, off
	ds_load_b64 v[48:49], v40
	s_waitcnt vmcnt(0) lgkmcnt(0)
	v_mul_f64 v[37:38], v[37:38], v[48:49]
	s_cbranch_execz .LBB81_52
	s_branch .LBB81_53
.LBB81_51:
                                        ; implicit-def: $vgpr37_vgpr38
.LBB81_52:
	ds_load_b64 v[37:38], v40
.LBB81_53:
	s_and_saveexec_b32 s4, s0
	s_cbranch_execz .LBB81_57
; %bb.54:
	v_add_nc_u32_e32 v48, -12, v0
	s_movk_i32 s5, 0xf0
	s_mov_b32 s0, 0
.LBB81_55:                              ; =>This Inner Loop Header: Depth=1
	scratch_load_b64 v[49:50], v47, off
	v_dual_mov_b32 v51, s5 :: v_dual_add_nc_u32 v48, -1, v48
	v_add_nc_u32_e32 v47, 8, v47
	s_add_i32 s5, s5, 8
	ds_load_b64 v[51:52], v51
	v_cmp_eq_u32_e32 vcc_lo, 0, v48
	s_or_b32 s0, vcc_lo, s0
	s_waitcnt vmcnt(0) lgkmcnt(0)
	v_fma_f64 v[37:38], v[49:50], v[51:52], v[37:38]
	s_and_not1_b32 exec_lo, exec_lo, s0
	s_cbranch_execnz .LBB81_55
; %bb.56:
	s_or_b32 exec_lo, exec_lo, s0
.LBB81_57:
	s_delay_alu instid0(SALU_CYCLE_1)
	s_or_b32 exec_lo, exec_lo, s4
	v_mov_b32_e32 v47, 0
	ds_load_b64 v[47:48], v47 offset:88
	s_waitcnt lgkmcnt(0)
	v_mul_f64 v[37:38], v[37:38], v[47:48]
	scratch_store_b64 off, v[37:38], off offset:88
.LBB81_58:
	s_or_b32 exec_lo, exec_lo, s3
	scratch_load_b64 v[37:38], off, off offset:80
	v_cmp_lt_u32_e64 s0, 10, v0
	s_waitcnt vmcnt(0)
	ds_store_b64 v40, v[37:38]
	s_waitcnt lgkmcnt(0)
	s_waitcnt_vscnt null, 0x0
	s_barrier
	buffer_gl0_inv
	s_and_saveexec_b32 s3, s0
	s_cbranch_execz .LBB81_68
; %bb.59:
	s_and_not1_b32 vcc_lo, exec_lo, s2
	s_cbranch_vccnz .LBB81_61
; %bb.60:
	scratch_load_b64 v[37:38], v41, off
	ds_load_b64 v[47:48], v40
	s_waitcnt vmcnt(0) lgkmcnt(0)
	v_mul_f64 v[37:38], v[37:38], v[47:48]
	s_cbranch_execz .LBB81_62
	s_branch .LBB81_63
.LBB81_61:
                                        ; implicit-def: $vgpr37_vgpr38
.LBB81_62:
	ds_load_b64 v[37:38], v40
.LBB81_63:
	s_and_saveexec_b32 s4, s1
	s_cbranch_execz .LBB81_67
; %bb.64:
	v_dual_mov_b32 v47, 0 :: v_dual_add_nc_u32 v48, -11, v0
	s_movk_i32 s5, 0xe8
	s_mov_b32 s1, 0
	s_delay_alu instid0(VALU_DEP_1)
	v_add_nc_u32_e32 v47, 0x58, v47
.LBB81_65:                              ; =>This Inner Loop Header: Depth=1
	scratch_load_b64 v[49:50], v47, off
	v_dual_mov_b32 v51, s5 :: v_dual_add_nc_u32 v48, -1, v48
	v_add_nc_u32_e32 v47, 8, v47
	s_add_i32 s5, s5, 8
	ds_load_b64 v[51:52], v51
	v_cmp_eq_u32_e32 vcc_lo, 0, v48
	s_or_b32 s1, vcc_lo, s1
	s_waitcnt vmcnt(0) lgkmcnt(0)
	v_fma_f64 v[37:38], v[49:50], v[51:52], v[37:38]
	s_and_not1_b32 exec_lo, exec_lo, s1
	s_cbranch_execnz .LBB81_65
; %bb.66:
	s_or_b32 exec_lo, exec_lo, s1
.LBB81_67:
	s_delay_alu instid0(SALU_CYCLE_1)
	s_or_b32 exec_lo, exec_lo, s4
	v_mov_b32_e32 v47, 0
	ds_load_b64 v[47:48], v47 offset:80
	s_waitcnt lgkmcnt(0)
	v_mul_f64 v[37:38], v[37:38], v[47:48]
	scratch_store_b64 off, v[37:38], off offset:80
.LBB81_68:
	s_or_b32 exec_lo, exec_lo, s3
	scratch_load_b64 v[37:38], off, off offset:72
	v_cmp_lt_u32_e64 s1, 9, v0
	s_waitcnt vmcnt(0)
	ds_store_b64 v40, v[37:38]
	s_waitcnt lgkmcnt(0)
	s_waitcnt_vscnt null, 0x0
	s_barrier
	buffer_gl0_inv
	s_and_saveexec_b32 s3, s1
	s_cbranch_execz .LBB81_78
; %bb.69:
	s_and_not1_b32 vcc_lo, exec_lo, s2
	s_cbranch_vccnz .LBB81_71
; %bb.70:
	scratch_load_b64 v[37:38], v41, off
	ds_load_b64 v[47:48], v40
	s_waitcnt vmcnt(0) lgkmcnt(0)
	v_mul_f64 v[37:38], v[37:38], v[47:48]
	s_cbranch_execz .LBB81_72
	s_branch .LBB81_73
.LBB81_71:
                                        ; implicit-def: $vgpr37_vgpr38
.LBB81_72:
	ds_load_b64 v[37:38], v40
.LBB81_73:
	s_and_saveexec_b32 s4, s0
	s_cbranch_execz .LBB81_77
; %bb.74:
	v_add_nc_u32_e32 v47, -10, v0
	s_movk_i32 s5, 0xe0
	s_mov_b32 s0, 0
.LBB81_75:                              ; =>This Inner Loop Header: Depth=1
	scratch_load_b64 v[48:49], v46, off
	v_dual_mov_b32 v50, s5 :: v_dual_add_nc_u32 v47, -1, v47
	v_add_nc_u32_e32 v46, 8, v46
	s_add_i32 s5, s5, 8
	ds_load_b64 v[50:51], v50
	v_cmp_eq_u32_e32 vcc_lo, 0, v47
	s_or_b32 s0, vcc_lo, s0
	s_waitcnt vmcnt(0) lgkmcnt(0)
	v_fma_f64 v[37:38], v[48:49], v[50:51], v[37:38]
	s_and_not1_b32 exec_lo, exec_lo, s0
	s_cbranch_execnz .LBB81_75
; %bb.76:
	s_or_b32 exec_lo, exec_lo, s0
.LBB81_77:
	s_delay_alu instid0(SALU_CYCLE_1)
	s_or_b32 exec_lo, exec_lo, s4
	v_mov_b32_e32 v46, 0
	ds_load_b64 v[46:47], v46 offset:72
	s_waitcnt lgkmcnt(0)
	v_mul_f64 v[37:38], v[37:38], v[46:47]
	scratch_store_b64 off, v[37:38], off offset:72
.LBB81_78:
	s_or_b32 exec_lo, exec_lo, s3
	scratch_load_b64 v[37:38], off, off offset:64
	v_cmp_lt_u32_e64 s0, 8, v0
	s_waitcnt vmcnt(0)
	ds_store_b64 v40, v[37:38]
	s_waitcnt lgkmcnt(0)
	s_waitcnt_vscnt null, 0x0
	s_barrier
	buffer_gl0_inv
	s_and_saveexec_b32 s3, s0
	s_cbranch_execz .LBB81_88
; %bb.79:
	s_and_not1_b32 vcc_lo, exec_lo, s2
	s_cbranch_vccnz .LBB81_81
; %bb.80:
	scratch_load_b64 v[37:38], v41, off
	ds_load_b64 v[46:47], v40
	s_waitcnt vmcnt(0) lgkmcnt(0)
	v_mul_f64 v[37:38], v[37:38], v[46:47]
	s_cbranch_execz .LBB81_82
	s_branch .LBB81_83
.LBB81_81:
                                        ; implicit-def: $vgpr37_vgpr38
.LBB81_82:
	ds_load_b64 v[37:38], v40
.LBB81_83:
	s_and_saveexec_b32 s4, s1
	s_cbranch_execz .LBB81_87
; %bb.84:
	v_dual_mov_b32 v46, 0 :: v_dual_add_nc_u32 v47, -9, v0
	s_movk_i32 s5, 0xd8
	s_mov_b32 s1, 0
	s_delay_alu instid0(VALU_DEP_1)
	v_add_nc_u32_e32 v46, 0x48, v46
.LBB81_85:                              ; =>This Inner Loop Header: Depth=1
	scratch_load_b64 v[48:49], v46, off
	v_dual_mov_b32 v50, s5 :: v_dual_add_nc_u32 v47, -1, v47
	v_add_nc_u32_e32 v46, 8, v46
	s_add_i32 s5, s5, 8
	ds_load_b64 v[50:51], v50
	v_cmp_eq_u32_e32 vcc_lo, 0, v47
	s_or_b32 s1, vcc_lo, s1
	s_waitcnt vmcnt(0) lgkmcnt(0)
	v_fma_f64 v[37:38], v[48:49], v[50:51], v[37:38]
	s_and_not1_b32 exec_lo, exec_lo, s1
	s_cbranch_execnz .LBB81_85
; %bb.86:
	s_or_b32 exec_lo, exec_lo, s1
.LBB81_87:
	s_delay_alu instid0(SALU_CYCLE_1)
	s_or_b32 exec_lo, exec_lo, s4
	v_mov_b32_e32 v46, 0
	ds_load_b64 v[46:47], v46 offset:64
	s_waitcnt lgkmcnt(0)
	v_mul_f64 v[37:38], v[37:38], v[46:47]
	scratch_store_b64 off, v[37:38], off offset:64
.LBB81_88:
	s_or_b32 exec_lo, exec_lo, s3
	scratch_load_b64 v[37:38], off, off offset:56
	v_cmp_lt_u32_e64 s1, 7, v0
	s_waitcnt vmcnt(0)
	ds_store_b64 v40, v[37:38]
	s_waitcnt lgkmcnt(0)
	s_waitcnt_vscnt null, 0x0
	s_barrier
	buffer_gl0_inv
	s_and_saveexec_b32 s3, s1
	s_cbranch_execz .LBB81_98
; %bb.89:
	s_and_not1_b32 vcc_lo, exec_lo, s2
	s_cbranch_vccnz .LBB81_91
; %bb.90:
	scratch_load_b64 v[37:38], v41, off
	ds_load_b64 v[46:47], v40
	s_waitcnt vmcnt(0) lgkmcnt(0)
	v_mul_f64 v[37:38], v[37:38], v[46:47]
	s_cbranch_execz .LBB81_92
	s_branch .LBB81_93
.LBB81_91:
                                        ; implicit-def: $vgpr37_vgpr38
.LBB81_92:
	ds_load_b64 v[37:38], v40
.LBB81_93:
	s_and_saveexec_b32 s4, s0
	s_cbranch_execz .LBB81_97
; %bb.94:
	v_add_nc_u32_e32 v46, -8, v0
	s_movk_i32 s5, 0xd0
	s_mov_b32 s0, 0
.LBB81_95:                              ; =>This Inner Loop Header: Depth=1
	scratch_load_b64 v[47:48], v45, off
	v_dual_mov_b32 v49, s5 :: v_dual_add_nc_u32 v46, -1, v46
	v_add_nc_u32_e32 v45, 8, v45
	s_add_i32 s5, s5, 8
	ds_load_b64 v[49:50], v49
	v_cmp_eq_u32_e32 vcc_lo, 0, v46
	s_or_b32 s0, vcc_lo, s0
	s_waitcnt vmcnt(0) lgkmcnt(0)
	v_fma_f64 v[37:38], v[47:48], v[49:50], v[37:38]
	s_and_not1_b32 exec_lo, exec_lo, s0
	s_cbranch_execnz .LBB81_95
; %bb.96:
	s_or_b32 exec_lo, exec_lo, s0
.LBB81_97:
	s_delay_alu instid0(SALU_CYCLE_1)
	s_or_b32 exec_lo, exec_lo, s4
	v_mov_b32_e32 v45, 0
	ds_load_b64 v[45:46], v45 offset:56
	s_waitcnt lgkmcnt(0)
	v_mul_f64 v[37:38], v[37:38], v[45:46]
	scratch_store_b64 off, v[37:38], off offset:56
.LBB81_98:
	s_or_b32 exec_lo, exec_lo, s3
	scratch_load_b64 v[37:38], off, off offset:48
	v_cmp_lt_u32_e64 s0, 6, v0
	s_waitcnt vmcnt(0)
	ds_store_b64 v40, v[37:38]
	s_waitcnt lgkmcnt(0)
	s_waitcnt_vscnt null, 0x0
	s_barrier
	buffer_gl0_inv
	s_and_saveexec_b32 s3, s0
	s_cbranch_execz .LBB81_108
; %bb.99:
	s_and_not1_b32 vcc_lo, exec_lo, s2
	s_cbranch_vccnz .LBB81_101
; %bb.100:
	scratch_load_b64 v[37:38], v41, off
	ds_load_b64 v[45:46], v40
	s_waitcnt vmcnt(0) lgkmcnt(0)
	v_mul_f64 v[37:38], v[37:38], v[45:46]
	s_cbranch_execz .LBB81_102
	s_branch .LBB81_103
.LBB81_101:
                                        ; implicit-def: $vgpr37_vgpr38
.LBB81_102:
	ds_load_b64 v[37:38], v40
.LBB81_103:
	s_and_saveexec_b32 s4, s1
	s_cbranch_execz .LBB81_107
; %bb.104:
	v_add_nc_u32_e64 v45, 0, 56
	v_add_nc_u32_e32 v46, -7, v0
	s_movk_i32 s5, 0xc8
	s_mov_b32 s1, 0
.LBB81_105:                             ; =>This Inner Loop Header: Depth=1
	scratch_load_b64 v[47:48], v45, off
	v_dual_mov_b32 v49, s5 :: v_dual_add_nc_u32 v46, -1, v46
	v_add_nc_u32_e32 v45, 8, v45
	s_add_i32 s5, s5, 8
	ds_load_b64 v[49:50], v49
	v_cmp_eq_u32_e32 vcc_lo, 0, v46
	s_or_b32 s1, vcc_lo, s1
	s_waitcnt vmcnt(0) lgkmcnt(0)
	v_fma_f64 v[37:38], v[47:48], v[49:50], v[37:38]
	s_and_not1_b32 exec_lo, exec_lo, s1
	s_cbranch_execnz .LBB81_105
; %bb.106:
	s_or_b32 exec_lo, exec_lo, s1
.LBB81_107:
	s_delay_alu instid0(SALU_CYCLE_1)
	s_or_b32 exec_lo, exec_lo, s4
	v_mov_b32_e32 v45, 0
	ds_load_b64 v[45:46], v45 offset:48
	s_waitcnt lgkmcnt(0)
	v_mul_f64 v[37:38], v[37:38], v[45:46]
	scratch_store_b64 off, v[37:38], off offset:48
.LBB81_108:
	s_or_b32 exec_lo, exec_lo, s3
	scratch_load_b64 v[37:38], off, off offset:40
	v_cmp_lt_u32_e64 s1, 5, v0
	s_waitcnt vmcnt(0)
	ds_store_b64 v40, v[37:38]
	s_waitcnt lgkmcnt(0)
	s_waitcnt_vscnt null, 0x0
	s_barrier
	buffer_gl0_inv
	s_and_saveexec_b32 s3, s1
	s_cbranch_execz .LBB81_118
; %bb.109:
	s_and_not1_b32 vcc_lo, exec_lo, s2
	s_cbranch_vccnz .LBB81_111
; %bb.110:
	scratch_load_b64 v[37:38], v41, off
	ds_load_b64 v[45:46], v40
	s_waitcnt vmcnt(0) lgkmcnt(0)
	v_mul_f64 v[37:38], v[37:38], v[45:46]
	s_cbranch_execz .LBB81_112
	s_branch .LBB81_113
.LBB81_111:
                                        ; implicit-def: $vgpr37_vgpr38
.LBB81_112:
	ds_load_b64 v[37:38], v40
.LBB81_113:
	s_and_saveexec_b32 s4, s0
	s_cbranch_execz .LBB81_117
; %bb.114:
	v_add_nc_u32_e32 v45, -6, v0
	s_movk_i32 s5, 0xc0
	s_mov_b32 s0, 0
.LBB81_115:                             ; =>This Inner Loop Header: Depth=1
	scratch_load_b64 v[46:47], v44, off
	v_dual_mov_b32 v48, s5 :: v_dual_add_nc_u32 v45, -1, v45
	v_add_nc_u32_e32 v44, 8, v44
	s_add_i32 s5, s5, 8
	ds_load_b64 v[48:49], v48
	v_cmp_eq_u32_e32 vcc_lo, 0, v45
	s_or_b32 s0, vcc_lo, s0
	s_waitcnt vmcnt(0) lgkmcnt(0)
	v_fma_f64 v[37:38], v[46:47], v[48:49], v[37:38]
	s_and_not1_b32 exec_lo, exec_lo, s0
	s_cbranch_execnz .LBB81_115
; %bb.116:
	s_or_b32 exec_lo, exec_lo, s0
.LBB81_117:
	s_delay_alu instid0(SALU_CYCLE_1)
	s_or_b32 exec_lo, exec_lo, s4
	v_mov_b32_e32 v44, 0
	ds_load_b64 v[44:45], v44 offset:40
	s_waitcnt lgkmcnt(0)
	v_mul_f64 v[37:38], v[37:38], v[44:45]
	scratch_store_b64 off, v[37:38], off offset:40
.LBB81_118:
	s_or_b32 exec_lo, exec_lo, s3
	scratch_load_b64 v[37:38], off, off offset:32
	v_cmp_lt_u32_e64 s0, 4, v0
	s_waitcnt vmcnt(0)
	ds_store_b64 v40, v[37:38]
	s_waitcnt lgkmcnt(0)
	s_waitcnt_vscnt null, 0x0
	s_barrier
	buffer_gl0_inv
	s_and_saveexec_b32 s3, s0
	s_cbranch_execz .LBB81_128
; %bb.119:
	s_and_not1_b32 vcc_lo, exec_lo, s2
	s_cbranch_vccnz .LBB81_121
; %bb.120:
	scratch_load_b64 v[37:38], v41, off
	ds_load_b64 v[44:45], v40
	s_waitcnt vmcnt(0) lgkmcnt(0)
	v_mul_f64 v[37:38], v[37:38], v[44:45]
	s_cbranch_execz .LBB81_122
	s_branch .LBB81_123
.LBB81_121:
                                        ; implicit-def: $vgpr37_vgpr38
.LBB81_122:
	ds_load_b64 v[37:38], v40
.LBB81_123:
	s_and_saveexec_b32 s4, s1
	s_cbranch_execz .LBB81_127
; %bb.124:
	v_add_nc_u32_e64 v44, 0, 40
	v_add_nc_u32_e32 v45, -5, v0
	s_movk_i32 s5, 0xb8
	s_mov_b32 s1, 0
.LBB81_125:                             ; =>This Inner Loop Header: Depth=1
	scratch_load_b64 v[46:47], v44, off
	v_dual_mov_b32 v48, s5 :: v_dual_add_nc_u32 v45, -1, v45
	v_add_nc_u32_e32 v44, 8, v44
	s_add_i32 s5, s5, 8
	ds_load_b64 v[48:49], v48
	v_cmp_eq_u32_e32 vcc_lo, 0, v45
	s_or_b32 s1, vcc_lo, s1
	s_waitcnt vmcnt(0) lgkmcnt(0)
	v_fma_f64 v[37:38], v[46:47], v[48:49], v[37:38]
	s_and_not1_b32 exec_lo, exec_lo, s1
	s_cbranch_execnz .LBB81_125
; %bb.126:
	s_or_b32 exec_lo, exec_lo, s1
.LBB81_127:
	s_delay_alu instid0(SALU_CYCLE_1)
	s_or_b32 exec_lo, exec_lo, s4
	v_mov_b32_e32 v44, 0
	ds_load_b64 v[44:45], v44 offset:32
	s_waitcnt lgkmcnt(0)
	v_mul_f64 v[37:38], v[37:38], v[44:45]
	scratch_store_b64 off, v[37:38], off offset:32
.LBB81_128:
	s_or_b32 exec_lo, exec_lo, s3
	scratch_load_b64 v[37:38], off, off offset:24
	v_cmp_lt_u32_e64 s1, 3, v0
	s_waitcnt vmcnt(0)
	ds_store_b64 v40, v[37:38]
	s_waitcnt lgkmcnt(0)
	s_waitcnt_vscnt null, 0x0
	s_barrier
	buffer_gl0_inv
	s_and_saveexec_b32 s3, s1
	s_cbranch_execz .LBB81_138
; %bb.129:
	s_and_not1_b32 vcc_lo, exec_lo, s2
	s_cbranch_vccnz .LBB81_131
; %bb.130:
	scratch_load_b64 v[37:38], v41, off
	ds_load_b64 v[44:45], v40
	s_waitcnt vmcnt(0) lgkmcnt(0)
	v_mul_f64 v[37:38], v[37:38], v[44:45]
	s_cbranch_execz .LBB81_132
	s_branch .LBB81_133
.LBB81_131:
                                        ; implicit-def: $vgpr37_vgpr38
.LBB81_132:
	ds_load_b64 v[37:38], v40
.LBB81_133:
	s_and_saveexec_b32 s4, s0
	s_cbranch_execz .LBB81_137
; %bb.134:
	v_add_nc_u32_e32 v44, -4, v0
	s_movk_i32 s5, 0xb0
	s_mov_b32 s0, 0
.LBB81_135:                             ; =>This Inner Loop Header: Depth=1
	scratch_load_b64 v[45:46], v43, off
	v_dual_mov_b32 v47, s5 :: v_dual_add_nc_u32 v44, -1, v44
	v_add_nc_u32_e32 v43, 8, v43
	s_add_i32 s5, s5, 8
	ds_load_b64 v[47:48], v47
	v_cmp_eq_u32_e32 vcc_lo, 0, v44
	s_or_b32 s0, vcc_lo, s0
	s_waitcnt vmcnt(0) lgkmcnt(0)
	v_fma_f64 v[37:38], v[45:46], v[47:48], v[37:38]
	s_and_not1_b32 exec_lo, exec_lo, s0
	s_cbranch_execnz .LBB81_135
; %bb.136:
	s_or_b32 exec_lo, exec_lo, s0
.LBB81_137:
	s_delay_alu instid0(SALU_CYCLE_1)
	s_or_b32 exec_lo, exec_lo, s4
	v_mov_b32_e32 v43, 0
	ds_load_b64 v[43:44], v43 offset:24
	s_waitcnt lgkmcnt(0)
	v_mul_f64 v[37:38], v[37:38], v[43:44]
	scratch_store_b64 off, v[37:38], off offset:24
.LBB81_138:
	s_or_b32 exec_lo, exec_lo, s3
	scratch_load_b64 v[37:38], off, off offset:16
	v_cmp_lt_u32_e64 s0, 2, v0
	s_waitcnt vmcnt(0)
	ds_store_b64 v40, v[37:38]
	s_waitcnt lgkmcnt(0)
	s_waitcnt_vscnt null, 0x0
	s_barrier
	buffer_gl0_inv
	s_and_saveexec_b32 s3, s0
	s_cbranch_execz .LBB81_148
; %bb.139:
	s_and_not1_b32 vcc_lo, exec_lo, s2
	s_cbranch_vccnz .LBB81_141
; %bb.140:
	scratch_load_b64 v[37:38], v41, off
	ds_load_b64 v[43:44], v40
	s_waitcnt vmcnt(0) lgkmcnt(0)
	v_mul_f64 v[37:38], v[37:38], v[43:44]
	s_cbranch_execz .LBB81_142
	s_branch .LBB81_143
.LBB81_141:
                                        ; implicit-def: $vgpr37_vgpr38
.LBB81_142:
	ds_load_b64 v[37:38], v40
.LBB81_143:
	s_and_saveexec_b32 s4, s1
	s_cbranch_execz .LBB81_147
; %bb.144:
	v_add_nc_u32_e64 v43, 0, 24
	v_add_nc_u32_e32 v44, -3, v0
	s_movk_i32 s5, 0xa8
	s_mov_b32 s1, 0
.LBB81_145:                             ; =>This Inner Loop Header: Depth=1
	scratch_load_b64 v[45:46], v43, off
	v_dual_mov_b32 v47, s5 :: v_dual_add_nc_u32 v44, -1, v44
	v_add_nc_u32_e32 v43, 8, v43
	s_add_i32 s5, s5, 8
	ds_load_b64 v[47:48], v47
	v_cmp_eq_u32_e32 vcc_lo, 0, v44
	s_or_b32 s1, vcc_lo, s1
	s_waitcnt vmcnt(0) lgkmcnt(0)
	v_fma_f64 v[37:38], v[45:46], v[47:48], v[37:38]
	s_and_not1_b32 exec_lo, exec_lo, s1
	s_cbranch_execnz .LBB81_145
; %bb.146:
	s_or_b32 exec_lo, exec_lo, s1
.LBB81_147:
	s_delay_alu instid0(SALU_CYCLE_1)
	s_or_b32 exec_lo, exec_lo, s4
	v_mov_b32_e32 v43, 0
	ds_load_b64 v[43:44], v43 offset:16
	s_waitcnt lgkmcnt(0)
	v_mul_f64 v[37:38], v[37:38], v[43:44]
	scratch_store_b64 off, v[37:38], off offset:16
.LBB81_148:
	s_or_b32 exec_lo, exec_lo, s3
	scratch_load_b64 v[37:38], off, off offset:8
	v_cmp_lt_u32_e64 s1, 1, v0
	s_waitcnt vmcnt(0)
	ds_store_b64 v40, v[37:38]
	s_waitcnt lgkmcnt(0)
	s_waitcnt_vscnt null, 0x0
	s_barrier
	buffer_gl0_inv
	s_and_saveexec_b32 s3, s1
	s_cbranch_execz .LBB81_158
; %bb.149:
	s_and_not1_b32 vcc_lo, exec_lo, s2
	s_cbranch_vccnz .LBB81_151
; %bb.150:
	scratch_load_b64 v[37:38], v41, off
	ds_load_b64 v[43:44], v40
	s_waitcnt vmcnt(0) lgkmcnt(0)
	v_mul_f64 v[37:38], v[37:38], v[43:44]
	s_cbranch_execz .LBB81_152
	s_branch .LBB81_153
.LBB81_151:
                                        ; implicit-def: $vgpr37_vgpr38
.LBB81_152:
	ds_load_b64 v[37:38], v40
.LBB81_153:
	s_and_saveexec_b32 s4, s0
	s_cbranch_execz .LBB81_157
; %bb.154:
	v_add_nc_u32_e32 v43, -2, v0
	s_movk_i32 s5, 0xa0
	s_mov_b32 s0, 0
.LBB81_155:                             ; =>This Inner Loop Header: Depth=1
	scratch_load_b64 v[44:45], v42, off
	v_dual_mov_b32 v46, s5 :: v_dual_add_nc_u32 v43, -1, v43
	v_add_nc_u32_e32 v42, 8, v42
	s_add_i32 s5, s5, 8
	ds_load_b64 v[46:47], v46
	v_cmp_eq_u32_e32 vcc_lo, 0, v43
	s_or_b32 s0, vcc_lo, s0
	s_waitcnt vmcnt(0) lgkmcnt(0)
	v_fma_f64 v[37:38], v[44:45], v[46:47], v[37:38]
	s_and_not1_b32 exec_lo, exec_lo, s0
	s_cbranch_execnz .LBB81_155
; %bb.156:
	s_or_b32 exec_lo, exec_lo, s0
.LBB81_157:
	s_delay_alu instid0(SALU_CYCLE_1)
	s_or_b32 exec_lo, exec_lo, s4
	v_mov_b32_e32 v42, 0
	ds_load_b64 v[42:43], v42 offset:8
	s_waitcnt lgkmcnt(0)
	v_mul_f64 v[37:38], v[37:38], v[42:43]
	scratch_store_b64 off, v[37:38], off offset:8
.LBB81_158:
	s_or_b32 exec_lo, exec_lo, s3
	scratch_load_b64 v[37:38], off, off
	s_mov_b32 s0, 0
	s_mov_b32 s3, exec_lo
	s_waitcnt vmcnt(0)
	ds_store_b64 v40, v[37:38]
	s_waitcnt lgkmcnt(0)
	s_waitcnt_vscnt null, 0x0
	s_barrier
	buffer_gl0_inv
	v_cmpx_ne_u32_e32 0, v0
	s_cbranch_execz .LBB81_168
; %bb.159:
	s_and_not1_b32 vcc_lo, exec_lo, s2
	s_cbranch_vccnz .LBB81_161
; %bb.160:
	scratch_load_b64 v[37:38], v41, off
	ds_load_b64 v[42:43], v40
	s_waitcnt vmcnt(0) lgkmcnt(0)
	v_mul_f64 v[37:38], v[37:38], v[42:43]
	s_cbranch_execz .LBB81_162
	s_branch .LBB81_163
.LBB81_161:
                                        ; implicit-def: $vgpr37_vgpr38
.LBB81_162:
	ds_load_b64 v[37:38], v40
.LBB81_163:
	s_and_saveexec_b32 s4, s1
	s_cbranch_execz .LBB81_167
; %bb.164:
	v_or_b32_e64 v42, 0, 8
	v_add_nc_u32_e32 v43, -1, v0
	s_movk_i32 s5, 0x98
	s_mov_b32 s1, 0
.LBB81_165:                             ; =>This Inner Loop Header: Depth=1
	scratch_load_b64 v[44:45], v42, off
	v_dual_mov_b32 v46, s5 :: v_dual_add_nc_u32 v43, -1, v43
	v_add_nc_u32_e32 v42, 8, v42
	s_add_i32 s5, s5, 8
	ds_load_b64 v[46:47], v46
	v_cmp_eq_u32_e32 vcc_lo, 0, v43
	s_or_b32 s1, vcc_lo, s1
	s_waitcnt vmcnt(0) lgkmcnt(0)
	v_fma_f64 v[37:38], v[44:45], v[46:47], v[37:38]
	s_and_not1_b32 exec_lo, exec_lo, s1
	s_cbranch_execnz .LBB81_165
; %bb.166:
	s_or_b32 exec_lo, exec_lo, s1
.LBB81_167:
	s_delay_alu instid0(SALU_CYCLE_1)
	s_or_b32 exec_lo, exec_lo, s4
	v_mov_b32_e32 v42, 0
	ds_load_b64 v[42:43], v42
	s_waitcnt lgkmcnt(0)
	v_mul_f64 v[37:38], v[37:38], v[42:43]
	scratch_store_b64 off, v[37:38], off
.LBB81_168:
	s_or_b32 exec_lo, exec_lo, s3
.LBB81_169:
	s_delay_alu instid0(SALU_CYCLE_1)
	s_and_b32 vcc_lo, exec_lo, s0
	s_cbranch_vccz .LBB81_335
; %bb.170:
	scratch_load_b64 v[37:38], off, off offset:8
	v_cmp_eq_u32_e64 s0, 0, v0
	s_waitcnt vmcnt(0)
	ds_store_b64 v40, v[37:38]
	s_waitcnt lgkmcnt(0)
	s_waitcnt_vscnt null, 0x0
	s_barrier
	buffer_gl0_inv
	s_and_saveexec_b32 s1, s0
	s_cbranch_execz .LBB81_176
; %bb.171:
	s_and_b32 vcc_lo, exec_lo, s2
	s_cbranch_vccz .LBB81_173
; %bb.172:
	scratch_load_b64 v[37:38], v41, off
	ds_load_b64 v[42:43], v40
	s_waitcnt vmcnt(0) lgkmcnt(0)
	v_mul_f64 v[37:38], v[37:38], v[42:43]
	s_cbranch_execz .LBB81_174
	s_branch .LBB81_175
.LBB81_173:
                                        ; implicit-def: $vgpr37_vgpr38
.LBB81_174:
	ds_load_b64 v[37:38], v40
.LBB81_175:
	v_mov_b32_e32 v42, 0
	ds_load_b64 v[42:43], v42 offset:8
	s_waitcnt lgkmcnt(0)
	v_mul_f64 v[37:38], v[37:38], v[42:43]
	scratch_store_b64 off, v[37:38], off offset:8
.LBB81_176:
	s_or_b32 exec_lo, exec_lo, s1
	scratch_load_b64 v[37:38], off, off offset:16
	v_cndmask_b32_e64 v42, 0, 1, s2
	s_mov_b32 s1, exec_lo
	s_waitcnt vmcnt(0)
	ds_store_b64 v40, v[37:38]
	s_waitcnt lgkmcnt(0)
	s_waitcnt_vscnt null, 0x0
	s_barrier
	buffer_gl0_inv
	v_cmpx_gt_u32_e32 2, v0
	s_cbranch_execz .LBB81_184
; %bb.177:
	s_and_not1_b32 vcc_lo, exec_lo, s2
	s_cbranch_vccnz .LBB81_179
; %bb.178:
	scratch_load_b64 v[37:38], v41, off
	ds_load_b64 v[43:44], v40
	s_waitcnt vmcnt(0) lgkmcnt(0)
	v_mul_f64 v[37:38], v[37:38], v[43:44]
	s_cbranch_execz .LBB81_180
	s_branch .LBB81_181
.LBB81_179:
                                        ; implicit-def: $vgpr37_vgpr38
.LBB81_180:
	ds_load_b64 v[37:38], v40
.LBB81_181:
	s_and_saveexec_b32 s2, s0
	s_cbranch_execz .LBB81_183
; %bb.182:
	scratch_load_b64 v[43:44], v41, off offset:8
	ds_load_b64 v[45:46], v40 offset:8
	s_waitcnt vmcnt(0) lgkmcnt(0)
	v_fma_f64 v[37:38], v[43:44], v[45:46], v[37:38]
.LBB81_183:
	s_or_b32 exec_lo, exec_lo, s2
	v_mov_b32_e32 v43, 0
	ds_load_b64 v[43:44], v43 offset:16
	s_waitcnt lgkmcnt(0)
	v_mul_f64 v[37:38], v[37:38], v[43:44]
	scratch_store_b64 off, v[37:38], off offset:16
.LBB81_184:
	s_or_b32 exec_lo, exec_lo, s1
	scratch_load_b64 v[37:38], off, off offset:24
	s_mov_b32 s1, exec_lo
	s_waitcnt vmcnt(0)
	ds_store_b64 v40, v[37:38]
	s_waitcnt lgkmcnt(0)
	s_waitcnt_vscnt null, 0x0
	s_barrier
	buffer_gl0_inv
	v_cmpx_gt_u32_e32 3, v0
	s_cbranch_execz .LBB81_194
; %bb.185:
	v_cmp_ne_u32_e32 vcc_lo, 1, v42
	s_cbranch_vccnz .LBB81_187
; %bb.186:
	scratch_load_b64 v[37:38], v41, off
	ds_load_b64 v[43:44], v40
	s_waitcnt vmcnt(0) lgkmcnt(0)
	v_mul_f64 v[37:38], v[37:38], v[43:44]
	s_cbranch_execz .LBB81_188
	s_branch .LBB81_189
.LBB81_187:
                                        ; implicit-def: $vgpr37_vgpr38
.LBB81_188:
	ds_load_b64 v[37:38], v40
.LBB81_189:
	s_mov_b32 s2, exec_lo
	v_cmpx_ne_u32_e32 2, v0
	s_cbranch_execz .LBB81_193
; %bb.190:
	scratch_load_b64 v[43:44], v41, off offset:8
	ds_load_b64 v[45:46], v40 offset:8
	s_waitcnt vmcnt(0) lgkmcnt(0)
	v_fma_f64 v[37:38], v[43:44], v[45:46], v[37:38]
	s_and_saveexec_b32 s3, s0
	s_cbranch_execz .LBB81_192
; %bb.191:
	scratch_load_b64 v[43:44], off, off offset:16
	v_mov_b32_e32 v45, 0
	ds_load_b64 v[45:46], v45 offset:160
	s_waitcnt vmcnt(0) lgkmcnt(0)
	v_fma_f64 v[37:38], v[43:44], v[45:46], v[37:38]
.LBB81_192:
	s_or_b32 exec_lo, exec_lo, s3
.LBB81_193:
	s_delay_alu instid0(SALU_CYCLE_1)
	s_or_b32 exec_lo, exec_lo, s2
	v_mov_b32_e32 v43, 0
	ds_load_b64 v[43:44], v43 offset:24
	s_waitcnt lgkmcnt(0)
	v_mul_f64 v[37:38], v[37:38], v[43:44]
	scratch_store_b64 off, v[37:38], off offset:24
.LBB81_194:
	s_or_b32 exec_lo, exec_lo, s1
	scratch_load_b64 v[37:38], off, off offset:32
	s_mov_b32 s0, exec_lo
	s_waitcnt vmcnt(0)
	ds_store_b64 v40, v[37:38]
	s_waitcnt lgkmcnt(0)
	s_waitcnt_vscnt null, 0x0
	s_barrier
	buffer_gl0_inv
	v_cmpx_gt_u32_e32 4, v0
	s_cbranch_execz .LBB81_204
; %bb.195:
	v_cmp_ne_u32_e32 vcc_lo, 1, v42
	s_cbranch_vccnz .LBB81_197
; %bb.196:
	scratch_load_b64 v[37:38], v41, off
	ds_load_b64 v[43:44], v40
	s_waitcnt vmcnt(0) lgkmcnt(0)
	v_mul_f64 v[37:38], v[37:38], v[43:44]
	s_cbranch_execz .LBB81_198
	s_branch .LBB81_199
.LBB81_197:
                                        ; implicit-def: $vgpr37_vgpr38
.LBB81_198:
	ds_load_b64 v[37:38], v40
.LBB81_199:
	s_mov_b32 s1, exec_lo
	v_cmpx_ne_u32_e32 3, v0
	s_cbranch_execz .LBB81_203
; %bb.200:
	v_add_nc_u32_e32 v43, 0x98, v39
	v_add3_u32 v44, 0, v39, 8
	v_mov_b32_e32 v45, v0
	s_mov_b32 s2, 0
.LBB81_201:                             ; =>This Inner Loop Header: Depth=1
	scratch_load_b64 v[46:47], v44, off
	ds_load_b64 v[48:49], v43
	v_add_nc_u32_e32 v45, 1, v45
	v_add_nc_u32_e32 v43, 8, v43
	v_add_nc_u32_e32 v44, 8, v44
	s_delay_alu instid0(VALU_DEP_3)
	v_cmp_lt_u32_e32 vcc_lo, 2, v45
	s_or_b32 s2, vcc_lo, s2
	s_waitcnt vmcnt(0) lgkmcnt(0)
	v_fma_f64 v[37:38], v[46:47], v[48:49], v[37:38]
	s_and_not1_b32 exec_lo, exec_lo, s2
	s_cbranch_execnz .LBB81_201
; %bb.202:
	s_or_b32 exec_lo, exec_lo, s2
.LBB81_203:
	s_delay_alu instid0(SALU_CYCLE_1)
	s_or_b32 exec_lo, exec_lo, s1
	v_mov_b32_e32 v43, 0
	ds_load_b64 v[43:44], v43 offset:32
	s_waitcnt lgkmcnt(0)
	v_mul_f64 v[37:38], v[37:38], v[43:44]
	scratch_store_b64 off, v[37:38], off offset:32
.LBB81_204:
	s_or_b32 exec_lo, exec_lo, s0
	scratch_load_b64 v[37:38], off, off offset:40
	s_mov_b32 s0, exec_lo
	s_waitcnt vmcnt(0)
	ds_store_b64 v40, v[37:38]
	s_waitcnt lgkmcnt(0)
	s_waitcnt_vscnt null, 0x0
	s_barrier
	buffer_gl0_inv
	v_cmpx_gt_u32_e32 5, v0
	s_cbranch_execz .LBB81_214
; %bb.205:
	v_cmp_ne_u32_e32 vcc_lo, 1, v42
	s_cbranch_vccnz .LBB81_207
; %bb.206:
	scratch_load_b64 v[37:38], v41, off
	ds_load_b64 v[43:44], v40
	s_waitcnt vmcnt(0) lgkmcnt(0)
	v_mul_f64 v[37:38], v[37:38], v[43:44]
	s_cbranch_execz .LBB81_208
	s_branch .LBB81_209
.LBB81_207:
                                        ; implicit-def: $vgpr37_vgpr38
.LBB81_208:
	ds_load_b64 v[37:38], v40
.LBB81_209:
	s_mov_b32 s1, exec_lo
	v_cmpx_ne_u32_e32 4, v0
	s_cbranch_execz .LBB81_213
; %bb.210:
	v_add_nc_u32_e32 v43, 0x98, v39
	v_add3_u32 v44, 0, v39, 8
	v_mov_b32_e32 v45, v0
	s_mov_b32 s2, 0
.LBB81_211:                             ; =>This Inner Loop Header: Depth=1
	scratch_load_b64 v[46:47], v44, off
	ds_load_b64 v[48:49], v43
	v_add_nc_u32_e32 v45, 1, v45
	v_add_nc_u32_e32 v43, 8, v43
	v_add_nc_u32_e32 v44, 8, v44
	s_delay_alu instid0(VALU_DEP_3)
	v_cmp_lt_u32_e32 vcc_lo, 3, v45
	s_or_b32 s2, vcc_lo, s2
	s_waitcnt vmcnt(0) lgkmcnt(0)
	v_fma_f64 v[37:38], v[46:47], v[48:49], v[37:38]
	s_and_not1_b32 exec_lo, exec_lo, s2
	s_cbranch_execnz .LBB81_211
; %bb.212:
	s_or_b32 exec_lo, exec_lo, s2
.LBB81_213:
	s_delay_alu instid0(SALU_CYCLE_1)
	s_or_b32 exec_lo, exec_lo, s1
	v_mov_b32_e32 v43, 0
	ds_load_b64 v[43:44], v43 offset:40
	s_waitcnt lgkmcnt(0)
	v_mul_f64 v[37:38], v[37:38], v[43:44]
	scratch_store_b64 off, v[37:38], off offset:40
.LBB81_214:
	;; [unrolled: 58-line block ×12, first 2 shown]
	s_or_b32 exec_lo, exec_lo, s0
	scratch_load_b64 v[37:38], off, off offset:128
	v_cmp_gt_u32_e64 s0, 16, v0
	s_waitcnt vmcnt(0)
	ds_store_b64 v40, v[37:38]
	s_waitcnt lgkmcnt(0)
	s_waitcnt_vscnt null, 0x0
	s_barrier
	buffer_gl0_inv
	s_and_saveexec_b32 s1, s0
	s_cbranch_execz .LBB81_324
; %bb.315:
	v_cmp_ne_u32_e32 vcc_lo, 1, v42
	s_cbranch_vccnz .LBB81_317
; %bb.316:
	scratch_load_b64 v[37:38], v41, off
	ds_load_b64 v[43:44], v40
	s_waitcnt vmcnt(0) lgkmcnt(0)
	v_mul_f64 v[37:38], v[37:38], v[43:44]
	s_cbranch_execz .LBB81_318
	s_branch .LBB81_319
.LBB81_317:
                                        ; implicit-def: $vgpr37_vgpr38
.LBB81_318:
	ds_load_b64 v[37:38], v40
.LBB81_319:
	s_mov_b32 s2, exec_lo
	v_cmpx_ne_u32_e32 15, v0
	s_cbranch_execz .LBB81_323
; %bb.320:
	v_add_nc_u32_e32 v43, 0x98, v39
	v_add3_u32 v44, 0, v39, 8
	v_mov_b32_e32 v45, v0
	s_mov_b32 s3, 0
.LBB81_321:                             ; =>This Inner Loop Header: Depth=1
	scratch_load_b64 v[46:47], v44, off
	ds_load_b64 v[48:49], v43
	v_add_nc_u32_e32 v45, 1, v45
	v_add_nc_u32_e32 v43, 8, v43
	;; [unrolled: 1-line block ×3, first 2 shown]
	s_delay_alu instid0(VALU_DEP_3)
	v_cmp_lt_u32_e32 vcc_lo, 14, v45
	s_or_b32 s3, vcc_lo, s3
	s_waitcnt vmcnt(0) lgkmcnt(0)
	v_fma_f64 v[37:38], v[46:47], v[48:49], v[37:38]
	s_and_not1_b32 exec_lo, exec_lo, s3
	s_cbranch_execnz .LBB81_321
; %bb.322:
	s_or_b32 exec_lo, exec_lo, s3
.LBB81_323:
	s_delay_alu instid0(SALU_CYCLE_1)
	s_or_b32 exec_lo, exec_lo, s2
	v_mov_b32_e32 v43, 0
	ds_load_b64 v[43:44], v43 offset:128
	s_waitcnt lgkmcnt(0)
	v_mul_f64 v[37:38], v[37:38], v[43:44]
	scratch_store_b64 off, v[37:38], off offset:128
.LBB81_324:
	s_or_b32 exec_lo, exec_lo, s1
	scratch_load_b64 v[37:38], off, off offset:136
	s_mov_b32 s1, exec_lo
	s_waitcnt vmcnt(0)
	ds_store_b64 v40, v[37:38]
	s_waitcnt lgkmcnt(0)
	s_waitcnt_vscnt null, 0x0
	s_barrier
	buffer_gl0_inv
	v_cmpx_ne_u32_e32 17, v0
	s_cbranch_execz .LBB81_334
; %bb.325:
	v_cmp_ne_u32_e32 vcc_lo, 1, v42
	s_cbranch_vccnz .LBB81_327
; %bb.326:
	scratch_load_b64 v[37:38], v41, off
	ds_load_b64 v[41:42], v40
	s_waitcnt vmcnt(0) lgkmcnt(0)
	v_mul_f64 v[37:38], v[37:38], v[41:42]
	s_cbranch_execz .LBB81_328
	s_branch .LBB81_329
.LBB81_327:
                                        ; implicit-def: $vgpr37_vgpr38
.LBB81_328:
	ds_load_b64 v[37:38], v40
.LBB81_329:
	s_and_saveexec_b32 s2, s0
	s_cbranch_execz .LBB81_333
; %bb.330:
	v_add_nc_u32_e32 v40, 0x98, v39
	v_add3_u32 v39, 0, v39, 8
	s_mov_b32 s0, 0
.LBB81_331:                             ; =>This Inner Loop Header: Depth=1
	scratch_load_b64 v[41:42], v39, off
	ds_load_b64 v[43:44], v40
	v_add_nc_u32_e32 v0, 1, v0
	v_add_nc_u32_e32 v40, 8, v40
	;; [unrolled: 1-line block ×3, first 2 shown]
	s_delay_alu instid0(VALU_DEP_3)
	v_cmp_lt_u32_e32 vcc_lo, 15, v0
	s_or_b32 s0, vcc_lo, s0
	s_waitcnt vmcnt(0) lgkmcnt(0)
	v_fma_f64 v[37:38], v[41:42], v[43:44], v[37:38]
	s_and_not1_b32 exec_lo, exec_lo, s0
	s_cbranch_execnz .LBB81_331
; %bb.332:
	s_or_b32 exec_lo, exec_lo, s0
.LBB81_333:
	s_delay_alu instid0(SALU_CYCLE_1)
	s_or_b32 exec_lo, exec_lo, s2
	v_mov_b32_e32 v0, 0
	ds_load_b64 v[39:40], v0 offset:136
	s_waitcnt lgkmcnt(0)
	v_mul_f64 v[37:38], v[37:38], v[39:40]
	scratch_store_b64 off, v[37:38], off offset:136
.LBB81_334:
	s_or_b32 exec_lo, exec_lo, s1
.LBB81_335:
	s_clause 0x8
	scratch_load_b128 v[37:40], off, off
	scratch_load_b128 v[41:44], off, off offset:16
	scratch_load_b128 v[45:48], off, off offset:32
	;; [unrolled: 1-line block ×8, first 2 shown]
	s_waitcnt vmcnt(8)
	s_clause 0x1
	global_store_b64 v[1:2], v[37:38], off
	global_store_b64 v[9:10], v[39:40], off
	s_waitcnt vmcnt(7)
	s_clause 0x1
	global_store_b64 v[3:4], v[41:42], off
	global_store_b64 v[5:6], v[43:44], off
	;; [unrolled: 4-line block ×9, first 2 shown]
.LBB81_336:
	s_endpgm
	.section	.rodata,"a",@progbits
	.p2align	6, 0x0
	.amdhsa_kernel _ZN9rocsolver6v33100L18trti2_kernel_smallILi18EdPKPdEEv13rocblas_fill_17rocblas_diagonal_T1_iil
		.amdhsa_group_segment_fixed_size 288
		.amdhsa_private_segment_fixed_size 160
		.amdhsa_kernarg_size 32
		.amdhsa_user_sgpr_count 15
		.amdhsa_user_sgpr_dispatch_ptr 0
		.amdhsa_user_sgpr_queue_ptr 0
		.amdhsa_user_sgpr_kernarg_segment_ptr 1
		.amdhsa_user_sgpr_dispatch_id 0
		.amdhsa_user_sgpr_private_segment_size 0
		.amdhsa_wavefront_size32 1
		.amdhsa_uses_dynamic_stack 0
		.amdhsa_enable_private_segment 1
		.amdhsa_system_sgpr_workgroup_id_x 1
		.amdhsa_system_sgpr_workgroup_id_y 0
		.amdhsa_system_sgpr_workgroup_id_z 0
		.amdhsa_system_sgpr_workgroup_info 0
		.amdhsa_system_vgpr_workitem_id 0
		.amdhsa_next_free_vgpr 76
		.amdhsa_next_free_sgpr 16
		.amdhsa_reserve_vcc 1
		.amdhsa_float_round_mode_32 0
		.amdhsa_float_round_mode_16_64 0
		.amdhsa_float_denorm_mode_32 3
		.amdhsa_float_denorm_mode_16_64 3
		.amdhsa_dx10_clamp 1
		.amdhsa_ieee_mode 1
		.amdhsa_fp16_overflow 0
		.amdhsa_workgroup_processor_mode 1
		.amdhsa_memory_ordered 1
		.amdhsa_forward_progress 0
		.amdhsa_shared_vgpr_count 0
		.amdhsa_exception_fp_ieee_invalid_op 0
		.amdhsa_exception_fp_denorm_src 0
		.amdhsa_exception_fp_ieee_div_zero 0
		.amdhsa_exception_fp_ieee_overflow 0
		.amdhsa_exception_fp_ieee_underflow 0
		.amdhsa_exception_fp_ieee_inexact 0
		.amdhsa_exception_int_div_zero 0
	.end_amdhsa_kernel
	.section	.text._ZN9rocsolver6v33100L18trti2_kernel_smallILi18EdPKPdEEv13rocblas_fill_17rocblas_diagonal_T1_iil,"axG",@progbits,_ZN9rocsolver6v33100L18trti2_kernel_smallILi18EdPKPdEEv13rocblas_fill_17rocblas_diagonal_T1_iil,comdat
.Lfunc_end81:
	.size	_ZN9rocsolver6v33100L18trti2_kernel_smallILi18EdPKPdEEv13rocblas_fill_17rocblas_diagonal_T1_iil, .Lfunc_end81-_ZN9rocsolver6v33100L18trti2_kernel_smallILi18EdPKPdEEv13rocblas_fill_17rocblas_diagonal_T1_iil
                                        ; -- End function
	.section	.AMDGPU.csdata,"",@progbits
; Kernel info:
; codeLenInByte = 9452
; NumSgprs: 18
; NumVgprs: 76
; ScratchSize: 160
; MemoryBound: 0
; FloatMode: 240
; IeeeMode: 1
; LDSByteSize: 288 bytes/workgroup (compile time only)
; SGPRBlocks: 2
; VGPRBlocks: 9
; NumSGPRsForWavesPerEU: 18
; NumVGPRsForWavesPerEU: 76
; Occupancy: 16
; WaveLimiterHint : 1
; COMPUTE_PGM_RSRC2:SCRATCH_EN: 1
; COMPUTE_PGM_RSRC2:USER_SGPR: 15
; COMPUTE_PGM_RSRC2:TRAP_HANDLER: 0
; COMPUTE_PGM_RSRC2:TGID_X_EN: 1
; COMPUTE_PGM_RSRC2:TGID_Y_EN: 0
; COMPUTE_PGM_RSRC2:TGID_Z_EN: 0
; COMPUTE_PGM_RSRC2:TIDIG_COMP_CNT: 0
	.section	.text._ZN9rocsolver6v33100L18trti2_kernel_smallILi19EdPKPdEEv13rocblas_fill_17rocblas_diagonal_T1_iil,"axG",@progbits,_ZN9rocsolver6v33100L18trti2_kernel_smallILi19EdPKPdEEv13rocblas_fill_17rocblas_diagonal_T1_iil,comdat
	.globl	_ZN9rocsolver6v33100L18trti2_kernel_smallILi19EdPKPdEEv13rocblas_fill_17rocblas_diagonal_T1_iil ; -- Begin function _ZN9rocsolver6v33100L18trti2_kernel_smallILi19EdPKPdEEv13rocblas_fill_17rocblas_diagonal_T1_iil
	.p2align	8
	.type	_ZN9rocsolver6v33100L18trti2_kernel_smallILi19EdPKPdEEv13rocblas_fill_17rocblas_diagonal_T1_iil,@function
_ZN9rocsolver6v33100L18trti2_kernel_smallILi19EdPKPdEEv13rocblas_fill_17rocblas_diagonal_T1_iil: ; @_ZN9rocsolver6v33100L18trti2_kernel_smallILi19EdPKPdEEv13rocblas_fill_17rocblas_diagonal_T1_iil
; %bb.0:
	s_mov_b32 s2, exec_lo
	v_cmpx_gt_u32_e32 19, v0
	s_cbranch_execz .LBB82_356
; %bb.1:
	s_clause 0x1
	s_load_b64 s[4:5], s[0:1], 0x10
	s_load_b128 s[0:3], s[0:1], 0x0
	s_mov_b32 s6, s15
	s_ashr_i32 s7, s15, 31
	v_lshlrev_b32_e32 v41, 3, v0
	s_lshl_b64 s[6:7], s[6:7], 3
	s_waitcnt lgkmcnt(0)
	s_ashr_i32 s9, s4, 31
	s_add_u32 s2, s2, s6
	s_addc_u32 s3, s3, s7
	v_add3_u32 v1, s5, s5, v0
	s_load_b64 s[2:3], s[2:3], 0x0
	s_mov_b32 s8, s4
	s_mov_b32 s6, s5
	s_lshl_b64 s[8:9], s[8:9], 3
	v_add_nc_u32_e32 v3, s5, v1
	v_ashrrev_i32_e32 v2, 31, v1
	s_delay_alu instid0(VALU_DEP_2) | instskip(SKIP_1) | instid1(VALU_DEP_3)
	v_add_nc_u32_e32 v5, s5, v3
	v_ashrrev_i32_e32 v4, 31, v3
	v_lshlrev_b64 v[9:10], 3, v[1:2]
	s_delay_alu instid0(VALU_DEP_3) | instskip(NEXT) | instid1(VALU_DEP_3)
	v_add_nc_u32_e32 v7, s5, v5
	v_lshlrev_b64 v[11:12], 3, v[3:4]
	v_ashrrev_i32_e32 v6, 31, v5
	s_delay_alu instid0(VALU_DEP_3)
	v_add_nc_u32_e32 v15, s5, v7
	s_waitcnt lgkmcnt(0)
	s_add_u32 s2, s2, s8
	s_addc_u32 s3, s3, s9
	v_add_co_u32 v3, vcc_lo, s2, v9
	v_add_co_u32 v1, s4, s2, v41
	s_ashr_i32 s7, s5, 31
	v_add_co_ci_u32_e32 v4, vcc_lo, s3, v10, vcc_lo
	v_lshlrev_b64 v[13:14], 3, v[5:6]
	v_add_co_ci_u32_e64 v2, null, s3, 0, s4
	v_add_co_u32 v5, vcc_lo, s2, v11
	v_ashrrev_i32_e32 v8, 31, v7
	s_lshl_b64 s[6:7], s[6:7], 3
	v_add_co_ci_u32_e32 v6, vcc_lo, s3, v12, vcc_lo
	v_ashrrev_i32_e32 v16, 31, v15
	v_add_nc_u32_e32 v19, s5, v15
	v_add_co_u32 v9, vcc_lo, v1, s6
	v_add_co_ci_u32_e32 v10, vcc_lo, s7, v2, vcc_lo
	v_lshlrev_b64 v[17:18], 3, v[7:8]
	v_add_co_u32 v7, vcc_lo, s2, v13
	v_add_co_ci_u32_e32 v8, vcc_lo, s3, v14, vcc_lo
	v_lshlrev_b64 v[13:14], 3, v[15:16]
	v_add_nc_u32_e32 v15, s5, v19
	v_ashrrev_i32_e32 v20, 31, v19
	v_add_co_u32 v11, vcc_lo, s2, v17
	v_add_co_ci_u32_e32 v12, vcc_lo, s3, v18, vcc_lo
	s_delay_alu instid0(VALU_DEP_4) | instskip(NEXT) | instid1(VALU_DEP_4)
	v_ashrrev_i32_e32 v16, 31, v15
	v_lshlrev_b64 v[17:18], 3, v[19:20]
	v_add_nc_u32_e32 v21, s5, v15
	v_add_co_u32 v13, vcc_lo, s2, v13
	s_delay_alu instid0(VALU_DEP_4)
	v_lshlrev_b64 v[19:20], 3, v[15:16]
	v_add_co_ci_u32_e32 v14, vcc_lo, s3, v14, vcc_lo
	v_add_co_u32 v15, vcc_lo, s2, v17
	v_ashrrev_i32_e32 v22, 31, v21
	v_add_nc_u32_e32 v23, s5, v21
	v_add_co_ci_u32_e32 v16, vcc_lo, s3, v18, vcc_lo
	v_add_co_u32 v17, vcc_lo, s2, v19
	v_add_co_ci_u32_e32 v18, vcc_lo, s3, v20, vcc_lo
	v_lshlrev_b64 v[19:20], 3, v[21:22]
	v_add_nc_u32_e32 v21, s5, v23
	v_ashrrev_i32_e32 v24, 31, v23
	s_clause 0x8
	global_load_b64 v[42:43], v41, s[2:3]
	global_load_b64 v[44:45], v[9:10], off
	global_load_b64 v[46:47], v[3:4], off
	;; [unrolled: 1-line block ×8, first 2 shown]
	v_add_nc_u32_e32 v25, s5, v21
	v_ashrrev_i32_e32 v22, 31, v21
	v_lshlrev_b64 v[23:24], 3, v[23:24]
	v_add_co_u32 v19, vcc_lo, s2, v19
	s_delay_alu instid0(VALU_DEP_4) | instskip(NEXT) | instid1(VALU_DEP_4)
	v_ashrrev_i32_e32 v26, 31, v25
	v_lshlrev_b64 v[27:28], 3, v[21:22]
	v_add_nc_u32_e32 v31, s5, v25
	v_add_co_ci_u32_e32 v20, vcc_lo, s3, v20, vcc_lo
	v_add_co_u32 v21, vcc_lo, s2, v23
	v_lshlrev_b64 v[29:30], 3, v[25:26]
	v_add_co_ci_u32_e32 v22, vcc_lo, s3, v24, vcc_lo
	v_add_co_u32 v23, vcc_lo, s2, v27
	v_ashrrev_i32_e32 v32, 31, v31
	v_add_nc_u32_e32 v27, s5, v31
	v_add_co_ci_u32_e32 v24, vcc_lo, s3, v28, vcc_lo
	v_add_co_u32 v25, vcc_lo, s2, v29
	v_add_co_ci_u32_e32 v26, vcc_lo, s3, v30, vcc_lo
	v_lshlrev_b64 v[29:30], 3, v[31:32]
	v_add_nc_u32_e32 v31, s5, v27
	v_ashrrev_i32_e32 v28, 31, v27
	s_clause 0x3
	global_load_b64 v[60:61], v[19:20], off
	global_load_b64 v[62:63], v[21:22], off
	;; [unrolled: 1-line block ×4, first 2 shown]
	s_cmpk_lg_i32 s1, 0x84
	v_add_nc_u32_e32 v35, s5, v31
	v_lshlrev_b64 v[33:34], 3, v[27:28]
	v_add_co_u32 v27, vcc_lo, s2, v29
	v_ashrrev_i32_e32 v32, 31, v31
	s_delay_alu instid0(VALU_DEP_4)
	v_ashrrev_i32_e32 v36, 31, v35
	v_add_nc_u32_e32 v37, s5, v35
	v_add_co_ci_u32_e32 v28, vcc_lo, s3, v30, vcc_lo
	v_add_co_u32 v29, vcc_lo, s2, v33
	v_add_co_ci_u32_e32 v30, vcc_lo, s3, v34, vcc_lo
	v_lshlrev_b64 v[33:34], 3, v[35:36]
	v_add_nc_u32_e32 v35, s5, v37
	v_lshlrev_b64 v[31:32], 3, v[31:32]
	v_ashrrev_i32_e32 v38, 31, v37
	s_delay_alu instid0(VALU_DEP_3) | instskip(NEXT) | instid1(VALU_DEP_3)
	v_ashrrev_i32_e32 v36, 31, v35
	v_add_co_u32 v31, vcc_lo, s2, v31
	s_delay_alu instid0(VALU_DEP_3)
	v_lshlrev_b64 v[37:38], 3, v[37:38]
	v_add_co_ci_u32_e32 v32, vcc_lo, s3, v32, vcc_lo
	v_add_co_u32 v33, vcc_lo, s2, v33
	v_lshlrev_b64 v[39:40], 3, v[35:36]
	v_add_co_ci_u32_e32 v34, vcc_lo, s3, v34, vcc_lo
	v_add_co_u32 v35, vcc_lo, s2, v37
	v_add_co_ci_u32_e32 v36, vcc_lo, s3, v38, vcc_lo
	s_delay_alu instid0(VALU_DEP_4)
	v_add_co_u32 v37, vcc_lo, s2, v39
	v_add_co_ci_u32_e32 v38, vcc_lo, s3, v40, vcc_lo
	s_clause 0x5
	global_load_b64 v[68:69], v[27:28], off
	global_load_b64 v[70:71], v[29:30], off
	;; [unrolled: 1-line block ×6, first 2 shown]
	v_mov_b32_e32 v39, 0
	v_mov_b32_e32 v40, 0xbff00000
	s_cselect_b32 s2, -1, 0
	s_cmpk_eq_i32 s1, 0x84
	s_waitcnt vmcnt(17)
	scratch_store_b128 off, v[42:45], off
	s_waitcnt vmcnt(15)
	scratch_store_b128 off, v[46:49], off offset:16
	s_waitcnt vmcnt(13)
	scratch_store_b128 off, v[50:53], off offset:32
	;; [unrolled: 2-line block ×8, first 2 shown]
	s_waitcnt vmcnt(0)
	scratch_store_b64 off, v[78:79], off offset:144
	s_cbranch_scc1 .LBB82_3
; %bb.2:
	scratch_load_b64 v[39:40], v41, off
	s_waitcnt vmcnt(0)
	v_div_scale_f64 v[42:43], null, v[39:40], v[39:40], 1.0
	v_div_scale_f64 v[48:49], vcc_lo, 1.0, v[39:40], 1.0
	s_delay_alu instid0(VALU_DEP_2) | instskip(SKIP_2) | instid1(VALU_DEP_1)
	v_rcp_f64_e32 v[44:45], v[42:43]
	s_waitcnt_depctr 0xfff
	v_fma_f64 v[46:47], -v[42:43], v[44:45], 1.0
	v_fma_f64 v[44:45], v[44:45], v[46:47], v[44:45]
	s_delay_alu instid0(VALU_DEP_1) | instskip(NEXT) | instid1(VALU_DEP_1)
	v_fma_f64 v[46:47], -v[42:43], v[44:45], 1.0
	v_fma_f64 v[44:45], v[44:45], v[46:47], v[44:45]
	s_delay_alu instid0(VALU_DEP_1) | instskip(NEXT) | instid1(VALU_DEP_1)
	v_mul_f64 v[46:47], v[48:49], v[44:45]
	v_fma_f64 v[42:43], -v[42:43], v[46:47], v[48:49]
	s_delay_alu instid0(VALU_DEP_1) | instskip(NEXT) | instid1(VALU_DEP_1)
	v_div_fmas_f64 v[42:43], v[42:43], v[44:45], v[46:47]
	v_div_fixup_f64 v[39:40], v[42:43], v[39:40], 1.0
	scratch_store_b64 v41, v[39:40], off
	v_xor_b32_e32 v40, 0x80000000, v40
.LBB82_3:
	v_add_nc_u32_e32 v42, 0xa0, v41
	v_add_nc_u32_e32 v43, 0, v41
	s_cmpk_eq_i32 s0, 0x79
	s_mov_b32 s0, -1
	ds_store_b64 v41, v[39:40]
	s_cbranch_scc1 .LBB82_179
; %bb.4:
	scratch_load_b64 v[39:40], off, off offset:136
	v_cmp_eq_u32_e64 s1, 18, v0
	s_movk_i32 s0, 0x50
	s_movk_i32 s3, 0x60
	;; [unrolled: 1-line block ×4, first 2 shown]
	s_waitcnt vmcnt(0)
	ds_store_b64 v42, v[39:40]
	s_waitcnt lgkmcnt(0)
	s_waitcnt_vscnt null, 0x0
	s_barrier
	buffer_gl0_inv
	s_and_saveexec_b32 s6, s1
	s_cbranch_execz .LBB82_10
; %bb.5:
	s_and_b32 vcc_lo, exec_lo, s2
	s_cbranch_vccz .LBB82_7
; %bb.6:
	scratch_load_b64 v[39:40], v43, off
	ds_load_b64 v[44:45], v42
	s_waitcnt vmcnt(0) lgkmcnt(0)
	v_mul_f64 v[39:40], v[39:40], v[44:45]
	s_cbranch_execz .LBB82_8
	s_branch .LBB82_9
.LBB82_7:
                                        ; implicit-def: $vgpr39_vgpr40
.LBB82_8:
	ds_load_b64 v[39:40], v42
.LBB82_9:
	v_mov_b32_e32 v44, 0
	ds_load_b64 v[44:45], v44 offset:136
	s_waitcnt lgkmcnt(0)
	v_mul_f64 v[39:40], v[39:40], v[44:45]
	scratch_store_b64 off, v[39:40], off offset:136
.LBB82_10:
	s_or_b32 exec_lo, exec_lo, s6
	scratch_load_b64 v[39:40], off, off offset:128
	v_add_nc_u32_e64 v44, 0, 16
	v_add_nc_u32_e64 v45, 0, 32
	;; [unrolled: 1-line block ×8, first 2 shown]
	v_cmp_lt_u32_e64 s0, 16, v0
	s_waitcnt vmcnt(0)
	ds_store_b64 v42, v[39:40]
	s_waitcnt lgkmcnt(0)
	s_waitcnt_vscnt null, 0x0
	s_barrier
	buffer_gl0_inv
	s_and_saveexec_b32 s3, s0
	s_cbranch_execz .LBB82_18
; %bb.11:
	s_and_not1_b32 vcc_lo, exec_lo, s2
	s_cbranch_vccnz .LBB82_13
; %bb.12:
	scratch_load_b64 v[39:40], v43, off
	ds_load_b64 v[52:53], v42
	s_waitcnt vmcnt(0) lgkmcnt(0)
	v_mul_f64 v[39:40], v[39:40], v[52:53]
	s_cbranch_execz .LBB82_14
	s_branch .LBB82_15
.LBB82_13:
                                        ; implicit-def: $vgpr39_vgpr40
.LBB82_14:
	ds_load_b64 v[39:40], v42
.LBB82_15:
	s_and_saveexec_b32 s4, s1
	s_cbranch_execz .LBB82_17
; %bb.16:
	scratch_load_b64 v[52:53], off, off offset:136
	v_mov_b32_e32 v54, 0
	ds_load_b64 v[54:55], v54 offset:296
	s_waitcnt vmcnt(0) lgkmcnt(0)
	v_fma_f64 v[39:40], v[52:53], v[54:55], v[39:40]
.LBB82_17:
	s_or_b32 exec_lo, exec_lo, s4
	v_mov_b32_e32 v52, 0
	ds_load_b64 v[52:53], v52 offset:128
	s_waitcnt lgkmcnt(0)
	v_mul_f64 v[39:40], v[39:40], v[52:53]
	scratch_store_b64 off, v[39:40], off offset:128
.LBB82_18:
	s_or_b32 exec_lo, exec_lo, s3
	scratch_load_b64 v[39:40], off, off offset:120
	v_cmp_lt_u32_e64 s1, 15, v0
	s_waitcnt vmcnt(0)
	ds_store_b64 v42, v[39:40]
	s_waitcnt lgkmcnt(0)
	s_waitcnt_vscnt null, 0x0
	s_barrier
	buffer_gl0_inv
	s_and_saveexec_b32 s3, s1
	s_cbranch_execz .LBB82_28
; %bb.19:
	s_and_not1_b32 vcc_lo, exec_lo, s2
	s_cbranch_vccnz .LBB82_21
; %bb.20:
	scratch_load_b64 v[39:40], v43, off
	ds_load_b64 v[52:53], v42
	s_waitcnt vmcnt(0) lgkmcnt(0)
	v_mul_f64 v[39:40], v[39:40], v[52:53]
	s_cbranch_execz .LBB82_22
	s_branch .LBB82_23
.LBB82_21:
                                        ; implicit-def: $vgpr39_vgpr40
.LBB82_22:
	ds_load_b64 v[39:40], v42
.LBB82_23:
	s_and_saveexec_b32 s4, s0
	s_cbranch_execz .LBB82_27
; %bb.24:
	v_add_nc_u32_e32 v52, -16, v0
	s_movk_i32 s5, 0x120
	s_mov_b32 s0, 0
.LBB82_25:                              ; =>This Inner Loop Header: Depth=1
	scratch_load_b64 v[53:54], v51, off
	v_dual_mov_b32 v55, s5 :: v_dual_add_nc_u32 v52, -1, v52
	v_add_nc_u32_e32 v51, 8, v51
	s_add_i32 s5, s5, 8
	ds_load_b64 v[55:56], v55
	v_cmp_eq_u32_e32 vcc_lo, 0, v52
	s_or_b32 s0, vcc_lo, s0
	s_waitcnt vmcnt(0) lgkmcnt(0)
	v_fma_f64 v[39:40], v[53:54], v[55:56], v[39:40]
	s_and_not1_b32 exec_lo, exec_lo, s0
	s_cbranch_execnz .LBB82_25
; %bb.26:
	s_or_b32 exec_lo, exec_lo, s0
.LBB82_27:
	s_delay_alu instid0(SALU_CYCLE_1)
	s_or_b32 exec_lo, exec_lo, s4
	v_mov_b32_e32 v51, 0
	ds_load_b64 v[51:52], v51 offset:120
	s_waitcnt lgkmcnt(0)
	v_mul_f64 v[39:40], v[39:40], v[51:52]
	scratch_store_b64 off, v[39:40], off offset:120
.LBB82_28:
	s_or_b32 exec_lo, exec_lo, s3
	scratch_load_b64 v[39:40], off, off offset:112
	v_cmp_lt_u32_e64 s0, 14, v0
	s_waitcnt vmcnt(0)
	ds_store_b64 v42, v[39:40]
	s_waitcnt lgkmcnt(0)
	s_waitcnt_vscnt null, 0x0
	s_barrier
	buffer_gl0_inv
	s_and_saveexec_b32 s3, s0
	s_cbranch_execz .LBB82_38
; %bb.29:
	s_and_not1_b32 vcc_lo, exec_lo, s2
	s_cbranch_vccnz .LBB82_31
; %bb.30:
	scratch_load_b64 v[39:40], v43, off
	ds_load_b64 v[51:52], v42
	s_waitcnt vmcnt(0) lgkmcnt(0)
	v_mul_f64 v[39:40], v[39:40], v[51:52]
	s_cbranch_execz .LBB82_32
	s_branch .LBB82_33
.LBB82_31:
                                        ; implicit-def: $vgpr39_vgpr40
.LBB82_32:
	ds_load_b64 v[39:40], v42
.LBB82_33:
	s_and_saveexec_b32 s4, s1
	s_cbranch_execz .LBB82_37
; %bb.34:
	v_dual_mov_b32 v51, 0 :: v_dual_add_nc_u32 v52, -15, v0
	s_movk_i32 s5, 0x118
	s_mov_b32 s1, 0
	s_delay_alu instid0(VALU_DEP_1)
	v_add_nc_u32_e32 v51, 0x78, v51
.LBB82_35:                              ; =>This Inner Loop Header: Depth=1
	scratch_load_b64 v[53:54], v51, off
	v_dual_mov_b32 v55, s5 :: v_dual_add_nc_u32 v52, -1, v52
	v_add_nc_u32_e32 v51, 8, v51
	s_add_i32 s5, s5, 8
	ds_load_b64 v[55:56], v55
	v_cmp_eq_u32_e32 vcc_lo, 0, v52
	s_or_b32 s1, vcc_lo, s1
	s_waitcnt vmcnt(0) lgkmcnt(0)
	v_fma_f64 v[39:40], v[53:54], v[55:56], v[39:40]
	s_and_not1_b32 exec_lo, exec_lo, s1
	s_cbranch_execnz .LBB82_35
; %bb.36:
	s_or_b32 exec_lo, exec_lo, s1
.LBB82_37:
	s_delay_alu instid0(SALU_CYCLE_1)
	s_or_b32 exec_lo, exec_lo, s4
	v_mov_b32_e32 v51, 0
	ds_load_b64 v[51:52], v51 offset:112
	s_waitcnt lgkmcnt(0)
	v_mul_f64 v[39:40], v[39:40], v[51:52]
	scratch_store_b64 off, v[39:40], off offset:112
.LBB82_38:
	s_or_b32 exec_lo, exec_lo, s3
	scratch_load_b64 v[39:40], off, off offset:104
	v_cmp_lt_u32_e64 s1, 13, v0
	s_waitcnt vmcnt(0)
	ds_store_b64 v42, v[39:40]
	s_waitcnt lgkmcnt(0)
	s_waitcnt_vscnt null, 0x0
	s_barrier
	buffer_gl0_inv
	s_and_saveexec_b32 s3, s1
	s_cbranch_execz .LBB82_48
; %bb.39:
	s_and_not1_b32 vcc_lo, exec_lo, s2
	s_cbranch_vccnz .LBB82_41
; %bb.40:
	scratch_load_b64 v[39:40], v43, off
	ds_load_b64 v[51:52], v42
	s_waitcnt vmcnt(0) lgkmcnt(0)
	v_mul_f64 v[39:40], v[39:40], v[51:52]
	s_cbranch_execz .LBB82_42
	s_branch .LBB82_43
.LBB82_41:
                                        ; implicit-def: $vgpr39_vgpr40
.LBB82_42:
	ds_load_b64 v[39:40], v42
.LBB82_43:
	s_and_saveexec_b32 s4, s0
	s_cbranch_execz .LBB82_47
; %bb.44:
	v_add_nc_u32_e32 v51, -14, v0
	s_movk_i32 s5, 0x110
	s_mov_b32 s0, 0
.LBB82_45:                              ; =>This Inner Loop Header: Depth=1
	scratch_load_b64 v[52:53], v50, off
	v_dual_mov_b32 v54, s5 :: v_dual_add_nc_u32 v51, -1, v51
	v_add_nc_u32_e32 v50, 8, v50
	s_add_i32 s5, s5, 8
	ds_load_b64 v[54:55], v54
	v_cmp_eq_u32_e32 vcc_lo, 0, v51
	s_or_b32 s0, vcc_lo, s0
	s_waitcnt vmcnt(0) lgkmcnt(0)
	v_fma_f64 v[39:40], v[52:53], v[54:55], v[39:40]
	s_and_not1_b32 exec_lo, exec_lo, s0
	s_cbranch_execnz .LBB82_45
; %bb.46:
	s_or_b32 exec_lo, exec_lo, s0
.LBB82_47:
	s_delay_alu instid0(SALU_CYCLE_1)
	s_or_b32 exec_lo, exec_lo, s4
	v_mov_b32_e32 v50, 0
	ds_load_b64 v[50:51], v50 offset:104
	s_waitcnt lgkmcnt(0)
	v_mul_f64 v[39:40], v[39:40], v[50:51]
	scratch_store_b64 off, v[39:40], off offset:104
.LBB82_48:
	s_or_b32 exec_lo, exec_lo, s3
	scratch_load_b64 v[39:40], off, off offset:96
	v_cmp_lt_u32_e64 s0, 12, v0
	s_waitcnt vmcnt(0)
	ds_store_b64 v42, v[39:40]
	s_waitcnt lgkmcnt(0)
	s_waitcnt_vscnt null, 0x0
	s_barrier
	buffer_gl0_inv
	s_and_saveexec_b32 s3, s0
	s_cbranch_execz .LBB82_58
; %bb.49:
	s_and_not1_b32 vcc_lo, exec_lo, s2
	s_cbranch_vccnz .LBB82_51
; %bb.50:
	scratch_load_b64 v[39:40], v43, off
	ds_load_b64 v[50:51], v42
	s_waitcnt vmcnt(0) lgkmcnt(0)
	v_mul_f64 v[39:40], v[39:40], v[50:51]
	s_cbranch_execz .LBB82_52
	s_branch .LBB82_53
.LBB82_51:
                                        ; implicit-def: $vgpr39_vgpr40
.LBB82_52:
	ds_load_b64 v[39:40], v42
.LBB82_53:
	s_and_saveexec_b32 s4, s1
	s_cbranch_execz .LBB82_57
; %bb.54:
	v_dual_mov_b32 v50, 0 :: v_dual_add_nc_u32 v51, -13, v0
	s_movk_i32 s5, 0x108
	s_mov_b32 s1, 0
	s_delay_alu instid0(VALU_DEP_1)
	v_add_nc_u32_e32 v50, 0x68, v50
.LBB82_55:                              ; =>This Inner Loop Header: Depth=1
	scratch_load_b64 v[52:53], v50, off
	v_dual_mov_b32 v54, s5 :: v_dual_add_nc_u32 v51, -1, v51
	v_add_nc_u32_e32 v50, 8, v50
	s_add_i32 s5, s5, 8
	ds_load_b64 v[54:55], v54
	v_cmp_eq_u32_e32 vcc_lo, 0, v51
	s_or_b32 s1, vcc_lo, s1
	s_waitcnt vmcnt(0) lgkmcnt(0)
	v_fma_f64 v[39:40], v[52:53], v[54:55], v[39:40]
	s_and_not1_b32 exec_lo, exec_lo, s1
	s_cbranch_execnz .LBB82_55
; %bb.56:
	s_or_b32 exec_lo, exec_lo, s1
.LBB82_57:
	s_delay_alu instid0(SALU_CYCLE_1)
	s_or_b32 exec_lo, exec_lo, s4
	v_mov_b32_e32 v50, 0
	ds_load_b64 v[50:51], v50 offset:96
	s_waitcnt lgkmcnt(0)
	v_mul_f64 v[39:40], v[39:40], v[50:51]
	scratch_store_b64 off, v[39:40], off offset:96
.LBB82_58:
	s_or_b32 exec_lo, exec_lo, s3
	scratch_load_b64 v[39:40], off, off offset:88
	v_cmp_lt_u32_e64 s1, 11, v0
	s_waitcnt vmcnt(0)
	ds_store_b64 v42, v[39:40]
	s_waitcnt lgkmcnt(0)
	s_waitcnt_vscnt null, 0x0
	s_barrier
	buffer_gl0_inv
	s_and_saveexec_b32 s3, s1
	s_cbranch_execz .LBB82_68
; %bb.59:
	s_and_not1_b32 vcc_lo, exec_lo, s2
	s_cbranch_vccnz .LBB82_61
; %bb.60:
	scratch_load_b64 v[39:40], v43, off
	ds_load_b64 v[50:51], v42
	s_waitcnt vmcnt(0) lgkmcnt(0)
	v_mul_f64 v[39:40], v[39:40], v[50:51]
	s_cbranch_execz .LBB82_62
	s_branch .LBB82_63
.LBB82_61:
                                        ; implicit-def: $vgpr39_vgpr40
.LBB82_62:
	ds_load_b64 v[39:40], v42
.LBB82_63:
	s_and_saveexec_b32 s4, s0
	s_cbranch_execz .LBB82_67
; %bb.64:
	v_add_nc_u32_e32 v50, -12, v0
	s_movk_i32 s5, 0x100
	s_mov_b32 s0, 0
.LBB82_65:                              ; =>This Inner Loop Header: Depth=1
	scratch_load_b64 v[51:52], v49, off
	v_dual_mov_b32 v53, s5 :: v_dual_add_nc_u32 v50, -1, v50
	v_add_nc_u32_e32 v49, 8, v49
	s_add_i32 s5, s5, 8
	ds_load_b64 v[53:54], v53
	v_cmp_eq_u32_e32 vcc_lo, 0, v50
	s_or_b32 s0, vcc_lo, s0
	s_waitcnt vmcnt(0) lgkmcnt(0)
	v_fma_f64 v[39:40], v[51:52], v[53:54], v[39:40]
	s_and_not1_b32 exec_lo, exec_lo, s0
	s_cbranch_execnz .LBB82_65
; %bb.66:
	s_or_b32 exec_lo, exec_lo, s0
.LBB82_67:
	s_delay_alu instid0(SALU_CYCLE_1)
	s_or_b32 exec_lo, exec_lo, s4
	v_mov_b32_e32 v49, 0
	ds_load_b64 v[49:50], v49 offset:88
	s_waitcnt lgkmcnt(0)
	v_mul_f64 v[39:40], v[39:40], v[49:50]
	scratch_store_b64 off, v[39:40], off offset:88
.LBB82_68:
	s_or_b32 exec_lo, exec_lo, s3
	scratch_load_b64 v[39:40], off, off offset:80
	v_cmp_lt_u32_e64 s0, 10, v0
	s_waitcnt vmcnt(0)
	ds_store_b64 v42, v[39:40]
	s_waitcnt lgkmcnt(0)
	s_waitcnt_vscnt null, 0x0
	s_barrier
	buffer_gl0_inv
	s_and_saveexec_b32 s3, s0
	s_cbranch_execz .LBB82_78
; %bb.69:
	s_and_not1_b32 vcc_lo, exec_lo, s2
	s_cbranch_vccnz .LBB82_71
; %bb.70:
	scratch_load_b64 v[39:40], v43, off
	ds_load_b64 v[49:50], v42
	s_waitcnt vmcnt(0) lgkmcnt(0)
	v_mul_f64 v[39:40], v[39:40], v[49:50]
	s_cbranch_execz .LBB82_72
	s_branch .LBB82_73
.LBB82_71:
                                        ; implicit-def: $vgpr39_vgpr40
.LBB82_72:
	ds_load_b64 v[39:40], v42
.LBB82_73:
	s_and_saveexec_b32 s4, s1
	s_cbranch_execz .LBB82_77
; %bb.74:
	v_dual_mov_b32 v49, 0 :: v_dual_add_nc_u32 v50, -11, v0
	s_movk_i32 s5, 0xf8
	s_mov_b32 s1, 0
	s_delay_alu instid0(VALU_DEP_1)
	v_add_nc_u32_e32 v49, 0x58, v49
.LBB82_75:                              ; =>This Inner Loop Header: Depth=1
	scratch_load_b64 v[51:52], v49, off
	v_dual_mov_b32 v53, s5 :: v_dual_add_nc_u32 v50, -1, v50
	v_add_nc_u32_e32 v49, 8, v49
	s_add_i32 s5, s5, 8
	ds_load_b64 v[53:54], v53
	v_cmp_eq_u32_e32 vcc_lo, 0, v50
	s_or_b32 s1, vcc_lo, s1
	s_waitcnt vmcnt(0) lgkmcnt(0)
	v_fma_f64 v[39:40], v[51:52], v[53:54], v[39:40]
	s_and_not1_b32 exec_lo, exec_lo, s1
	s_cbranch_execnz .LBB82_75
; %bb.76:
	s_or_b32 exec_lo, exec_lo, s1
.LBB82_77:
	s_delay_alu instid0(SALU_CYCLE_1)
	s_or_b32 exec_lo, exec_lo, s4
	v_mov_b32_e32 v49, 0
	ds_load_b64 v[49:50], v49 offset:80
	s_waitcnt lgkmcnt(0)
	v_mul_f64 v[39:40], v[39:40], v[49:50]
	scratch_store_b64 off, v[39:40], off offset:80
.LBB82_78:
	s_or_b32 exec_lo, exec_lo, s3
	scratch_load_b64 v[39:40], off, off offset:72
	v_cmp_lt_u32_e64 s1, 9, v0
	s_waitcnt vmcnt(0)
	ds_store_b64 v42, v[39:40]
	s_waitcnt lgkmcnt(0)
	s_waitcnt_vscnt null, 0x0
	s_barrier
	buffer_gl0_inv
	s_and_saveexec_b32 s3, s1
	s_cbranch_execz .LBB82_88
; %bb.79:
	s_and_not1_b32 vcc_lo, exec_lo, s2
	s_cbranch_vccnz .LBB82_81
; %bb.80:
	scratch_load_b64 v[39:40], v43, off
	ds_load_b64 v[49:50], v42
	s_waitcnt vmcnt(0) lgkmcnt(0)
	v_mul_f64 v[39:40], v[39:40], v[49:50]
	s_cbranch_execz .LBB82_82
	s_branch .LBB82_83
.LBB82_81:
                                        ; implicit-def: $vgpr39_vgpr40
.LBB82_82:
	ds_load_b64 v[39:40], v42
.LBB82_83:
	s_and_saveexec_b32 s4, s0
	s_cbranch_execz .LBB82_87
; %bb.84:
	v_add_nc_u32_e32 v49, -10, v0
	s_movk_i32 s5, 0xf0
	s_mov_b32 s0, 0
.LBB82_85:                              ; =>This Inner Loop Header: Depth=1
	scratch_load_b64 v[50:51], v48, off
	v_dual_mov_b32 v52, s5 :: v_dual_add_nc_u32 v49, -1, v49
	v_add_nc_u32_e32 v48, 8, v48
	s_add_i32 s5, s5, 8
	ds_load_b64 v[52:53], v52
	v_cmp_eq_u32_e32 vcc_lo, 0, v49
	s_or_b32 s0, vcc_lo, s0
	s_waitcnt vmcnt(0) lgkmcnt(0)
	v_fma_f64 v[39:40], v[50:51], v[52:53], v[39:40]
	s_and_not1_b32 exec_lo, exec_lo, s0
	s_cbranch_execnz .LBB82_85
; %bb.86:
	s_or_b32 exec_lo, exec_lo, s0
.LBB82_87:
	s_delay_alu instid0(SALU_CYCLE_1)
	s_or_b32 exec_lo, exec_lo, s4
	v_mov_b32_e32 v48, 0
	ds_load_b64 v[48:49], v48 offset:72
	s_waitcnt lgkmcnt(0)
	v_mul_f64 v[39:40], v[39:40], v[48:49]
	scratch_store_b64 off, v[39:40], off offset:72
.LBB82_88:
	s_or_b32 exec_lo, exec_lo, s3
	scratch_load_b64 v[39:40], off, off offset:64
	v_cmp_lt_u32_e64 s0, 8, v0
	s_waitcnt vmcnt(0)
	ds_store_b64 v42, v[39:40]
	s_waitcnt lgkmcnt(0)
	s_waitcnt_vscnt null, 0x0
	s_barrier
	buffer_gl0_inv
	s_and_saveexec_b32 s3, s0
	s_cbranch_execz .LBB82_98
; %bb.89:
	s_and_not1_b32 vcc_lo, exec_lo, s2
	s_cbranch_vccnz .LBB82_91
; %bb.90:
	scratch_load_b64 v[39:40], v43, off
	ds_load_b64 v[48:49], v42
	s_waitcnt vmcnt(0) lgkmcnt(0)
	v_mul_f64 v[39:40], v[39:40], v[48:49]
	s_cbranch_execz .LBB82_92
	s_branch .LBB82_93
.LBB82_91:
                                        ; implicit-def: $vgpr39_vgpr40
.LBB82_92:
	ds_load_b64 v[39:40], v42
.LBB82_93:
	s_and_saveexec_b32 s4, s1
	s_cbranch_execz .LBB82_97
; %bb.94:
	v_dual_mov_b32 v48, 0 :: v_dual_add_nc_u32 v49, -9, v0
	s_movk_i32 s5, 0xe8
	s_mov_b32 s1, 0
	s_delay_alu instid0(VALU_DEP_1)
	v_add_nc_u32_e32 v48, 0x48, v48
.LBB82_95:                              ; =>This Inner Loop Header: Depth=1
	scratch_load_b64 v[50:51], v48, off
	v_dual_mov_b32 v52, s5 :: v_dual_add_nc_u32 v49, -1, v49
	v_add_nc_u32_e32 v48, 8, v48
	s_add_i32 s5, s5, 8
	ds_load_b64 v[52:53], v52
	v_cmp_eq_u32_e32 vcc_lo, 0, v49
	s_or_b32 s1, vcc_lo, s1
	s_waitcnt vmcnt(0) lgkmcnt(0)
	v_fma_f64 v[39:40], v[50:51], v[52:53], v[39:40]
	s_and_not1_b32 exec_lo, exec_lo, s1
	s_cbranch_execnz .LBB82_95
; %bb.96:
	s_or_b32 exec_lo, exec_lo, s1
.LBB82_97:
	s_delay_alu instid0(SALU_CYCLE_1)
	s_or_b32 exec_lo, exec_lo, s4
	v_mov_b32_e32 v48, 0
	ds_load_b64 v[48:49], v48 offset:64
	s_waitcnt lgkmcnt(0)
	v_mul_f64 v[39:40], v[39:40], v[48:49]
	scratch_store_b64 off, v[39:40], off offset:64
.LBB82_98:
	s_or_b32 exec_lo, exec_lo, s3
	scratch_load_b64 v[39:40], off, off offset:56
	v_cmp_lt_u32_e64 s1, 7, v0
	s_waitcnt vmcnt(0)
	ds_store_b64 v42, v[39:40]
	s_waitcnt lgkmcnt(0)
	s_waitcnt_vscnt null, 0x0
	s_barrier
	buffer_gl0_inv
	s_and_saveexec_b32 s3, s1
	s_cbranch_execz .LBB82_108
; %bb.99:
	s_and_not1_b32 vcc_lo, exec_lo, s2
	s_cbranch_vccnz .LBB82_101
; %bb.100:
	scratch_load_b64 v[39:40], v43, off
	ds_load_b64 v[48:49], v42
	s_waitcnt vmcnt(0) lgkmcnt(0)
	v_mul_f64 v[39:40], v[39:40], v[48:49]
	s_cbranch_execz .LBB82_102
	s_branch .LBB82_103
.LBB82_101:
                                        ; implicit-def: $vgpr39_vgpr40
.LBB82_102:
	ds_load_b64 v[39:40], v42
.LBB82_103:
	s_and_saveexec_b32 s4, s0
	s_cbranch_execz .LBB82_107
; %bb.104:
	v_add_nc_u32_e32 v48, -8, v0
	s_movk_i32 s5, 0xe0
	s_mov_b32 s0, 0
.LBB82_105:                             ; =>This Inner Loop Header: Depth=1
	scratch_load_b64 v[49:50], v47, off
	v_dual_mov_b32 v51, s5 :: v_dual_add_nc_u32 v48, -1, v48
	v_add_nc_u32_e32 v47, 8, v47
	s_add_i32 s5, s5, 8
	ds_load_b64 v[51:52], v51
	v_cmp_eq_u32_e32 vcc_lo, 0, v48
	s_or_b32 s0, vcc_lo, s0
	s_waitcnt vmcnt(0) lgkmcnt(0)
	v_fma_f64 v[39:40], v[49:50], v[51:52], v[39:40]
	s_and_not1_b32 exec_lo, exec_lo, s0
	s_cbranch_execnz .LBB82_105
; %bb.106:
	s_or_b32 exec_lo, exec_lo, s0
.LBB82_107:
	s_delay_alu instid0(SALU_CYCLE_1)
	s_or_b32 exec_lo, exec_lo, s4
	v_mov_b32_e32 v47, 0
	ds_load_b64 v[47:48], v47 offset:56
	s_waitcnt lgkmcnt(0)
	v_mul_f64 v[39:40], v[39:40], v[47:48]
	scratch_store_b64 off, v[39:40], off offset:56
.LBB82_108:
	s_or_b32 exec_lo, exec_lo, s3
	scratch_load_b64 v[39:40], off, off offset:48
	v_cmp_lt_u32_e64 s0, 6, v0
	s_waitcnt vmcnt(0)
	ds_store_b64 v42, v[39:40]
	s_waitcnt lgkmcnt(0)
	s_waitcnt_vscnt null, 0x0
	s_barrier
	buffer_gl0_inv
	s_and_saveexec_b32 s3, s0
	s_cbranch_execz .LBB82_118
; %bb.109:
	s_and_not1_b32 vcc_lo, exec_lo, s2
	s_cbranch_vccnz .LBB82_111
; %bb.110:
	scratch_load_b64 v[39:40], v43, off
	ds_load_b64 v[47:48], v42
	s_waitcnt vmcnt(0) lgkmcnt(0)
	v_mul_f64 v[39:40], v[39:40], v[47:48]
	s_cbranch_execz .LBB82_112
	s_branch .LBB82_113
.LBB82_111:
                                        ; implicit-def: $vgpr39_vgpr40
.LBB82_112:
	ds_load_b64 v[39:40], v42
.LBB82_113:
	s_and_saveexec_b32 s4, s1
	s_cbranch_execz .LBB82_117
; %bb.114:
	v_add_nc_u32_e64 v47, 0, 56
	v_add_nc_u32_e32 v48, -7, v0
	s_movk_i32 s5, 0xd8
	s_mov_b32 s1, 0
.LBB82_115:                             ; =>This Inner Loop Header: Depth=1
	scratch_load_b64 v[49:50], v47, off
	v_dual_mov_b32 v51, s5 :: v_dual_add_nc_u32 v48, -1, v48
	v_add_nc_u32_e32 v47, 8, v47
	s_add_i32 s5, s5, 8
	ds_load_b64 v[51:52], v51
	v_cmp_eq_u32_e32 vcc_lo, 0, v48
	s_or_b32 s1, vcc_lo, s1
	s_waitcnt vmcnt(0) lgkmcnt(0)
	v_fma_f64 v[39:40], v[49:50], v[51:52], v[39:40]
	s_and_not1_b32 exec_lo, exec_lo, s1
	s_cbranch_execnz .LBB82_115
; %bb.116:
	s_or_b32 exec_lo, exec_lo, s1
.LBB82_117:
	s_delay_alu instid0(SALU_CYCLE_1)
	s_or_b32 exec_lo, exec_lo, s4
	v_mov_b32_e32 v47, 0
	ds_load_b64 v[47:48], v47 offset:48
	s_waitcnt lgkmcnt(0)
	v_mul_f64 v[39:40], v[39:40], v[47:48]
	scratch_store_b64 off, v[39:40], off offset:48
.LBB82_118:
	s_or_b32 exec_lo, exec_lo, s3
	scratch_load_b64 v[39:40], off, off offset:40
	v_cmp_lt_u32_e64 s1, 5, v0
	s_waitcnt vmcnt(0)
	ds_store_b64 v42, v[39:40]
	s_waitcnt lgkmcnt(0)
	s_waitcnt_vscnt null, 0x0
	s_barrier
	buffer_gl0_inv
	s_and_saveexec_b32 s3, s1
	s_cbranch_execz .LBB82_128
; %bb.119:
	s_and_not1_b32 vcc_lo, exec_lo, s2
	s_cbranch_vccnz .LBB82_121
; %bb.120:
	scratch_load_b64 v[39:40], v43, off
	ds_load_b64 v[47:48], v42
	s_waitcnt vmcnt(0) lgkmcnt(0)
	v_mul_f64 v[39:40], v[39:40], v[47:48]
	s_cbranch_execz .LBB82_122
	s_branch .LBB82_123
.LBB82_121:
                                        ; implicit-def: $vgpr39_vgpr40
.LBB82_122:
	ds_load_b64 v[39:40], v42
.LBB82_123:
	s_and_saveexec_b32 s4, s0
	s_cbranch_execz .LBB82_127
; %bb.124:
	v_add_nc_u32_e32 v47, -6, v0
	s_movk_i32 s5, 0xd0
	s_mov_b32 s0, 0
.LBB82_125:                             ; =>This Inner Loop Header: Depth=1
	scratch_load_b64 v[48:49], v46, off
	v_dual_mov_b32 v50, s5 :: v_dual_add_nc_u32 v47, -1, v47
	v_add_nc_u32_e32 v46, 8, v46
	s_add_i32 s5, s5, 8
	ds_load_b64 v[50:51], v50
	v_cmp_eq_u32_e32 vcc_lo, 0, v47
	s_or_b32 s0, vcc_lo, s0
	s_waitcnt vmcnt(0) lgkmcnt(0)
	v_fma_f64 v[39:40], v[48:49], v[50:51], v[39:40]
	s_and_not1_b32 exec_lo, exec_lo, s0
	s_cbranch_execnz .LBB82_125
; %bb.126:
	s_or_b32 exec_lo, exec_lo, s0
.LBB82_127:
	s_delay_alu instid0(SALU_CYCLE_1)
	s_or_b32 exec_lo, exec_lo, s4
	v_mov_b32_e32 v46, 0
	ds_load_b64 v[46:47], v46 offset:40
	s_waitcnt lgkmcnt(0)
	v_mul_f64 v[39:40], v[39:40], v[46:47]
	scratch_store_b64 off, v[39:40], off offset:40
.LBB82_128:
	s_or_b32 exec_lo, exec_lo, s3
	scratch_load_b64 v[39:40], off, off offset:32
	v_cmp_lt_u32_e64 s0, 4, v0
	s_waitcnt vmcnt(0)
	ds_store_b64 v42, v[39:40]
	s_waitcnt lgkmcnt(0)
	s_waitcnt_vscnt null, 0x0
	s_barrier
	buffer_gl0_inv
	s_and_saveexec_b32 s3, s0
	s_cbranch_execz .LBB82_138
; %bb.129:
	s_and_not1_b32 vcc_lo, exec_lo, s2
	s_cbranch_vccnz .LBB82_131
; %bb.130:
	scratch_load_b64 v[39:40], v43, off
	ds_load_b64 v[46:47], v42
	s_waitcnt vmcnt(0) lgkmcnt(0)
	v_mul_f64 v[39:40], v[39:40], v[46:47]
	s_cbranch_execz .LBB82_132
	s_branch .LBB82_133
.LBB82_131:
                                        ; implicit-def: $vgpr39_vgpr40
.LBB82_132:
	ds_load_b64 v[39:40], v42
.LBB82_133:
	s_and_saveexec_b32 s4, s1
	s_cbranch_execz .LBB82_137
; %bb.134:
	v_add_nc_u32_e64 v46, 0, 40
	v_add_nc_u32_e32 v47, -5, v0
	s_movk_i32 s5, 0xc8
	s_mov_b32 s1, 0
.LBB82_135:                             ; =>This Inner Loop Header: Depth=1
	scratch_load_b64 v[48:49], v46, off
	v_dual_mov_b32 v50, s5 :: v_dual_add_nc_u32 v47, -1, v47
	v_add_nc_u32_e32 v46, 8, v46
	s_add_i32 s5, s5, 8
	ds_load_b64 v[50:51], v50
	v_cmp_eq_u32_e32 vcc_lo, 0, v47
	s_or_b32 s1, vcc_lo, s1
	s_waitcnt vmcnt(0) lgkmcnt(0)
	v_fma_f64 v[39:40], v[48:49], v[50:51], v[39:40]
	s_and_not1_b32 exec_lo, exec_lo, s1
	s_cbranch_execnz .LBB82_135
; %bb.136:
	s_or_b32 exec_lo, exec_lo, s1
.LBB82_137:
	s_delay_alu instid0(SALU_CYCLE_1)
	s_or_b32 exec_lo, exec_lo, s4
	v_mov_b32_e32 v46, 0
	ds_load_b64 v[46:47], v46 offset:32
	s_waitcnt lgkmcnt(0)
	v_mul_f64 v[39:40], v[39:40], v[46:47]
	scratch_store_b64 off, v[39:40], off offset:32
.LBB82_138:
	s_or_b32 exec_lo, exec_lo, s3
	scratch_load_b64 v[39:40], off, off offset:24
	v_cmp_lt_u32_e64 s1, 3, v0
	s_waitcnt vmcnt(0)
	ds_store_b64 v42, v[39:40]
	s_waitcnt lgkmcnt(0)
	s_waitcnt_vscnt null, 0x0
	s_barrier
	buffer_gl0_inv
	s_and_saveexec_b32 s3, s1
	s_cbranch_execz .LBB82_148
; %bb.139:
	s_and_not1_b32 vcc_lo, exec_lo, s2
	s_cbranch_vccnz .LBB82_141
; %bb.140:
	scratch_load_b64 v[39:40], v43, off
	ds_load_b64 v[46:47], v42
	s_waitcnt vmcnt(0) lgkmcnt(0)
	v_mul_f64 v[39:40], v[39:40], v[46:47]
	s_cbranch_execz .LBB82_142
	s_branch .LBB82_143
.LBB82_141:
                                        ; implicit-def: $vgpr39_vgpr40
.LBB82_142:
	ds_load_b64 v[39:40], v42
.LBB82_143:
	s_and_saveexec_b32 s4, s0
	s_cbranch_execz .LBB82_147
; %bb.144:
	v_add_nc_u32_e32 v46, -4, v0
	s_movk_i32 s5, 0xc0
	s_mov_b32 s0, 0
.LBB82_145:                             ; =>This Inner Loop Header: Depth=1
	scratch_load_b64 v[47:48], v45, off
	v_dual_mov_b32 v49, s5 :: v_dual_add_nc_u32 v46, -1, v46
	v_add_nc_u32_e32 v45, 8, v45
	s_add_i32 s5, s5, 8
	ds_load_b64 v[49:50], v49
	v_cmp_eq_u32_e32 vcc_lo, 0, v46
	s_or_b32 s0, vcc_lo, s0
	s_waitcnt vmcnt(0) lgkmcnt(0)
	v_fma_f64 v[39:40], v[47:48], v[49:50], v[39:40]
	s_and_not1_b32 exec_lo, exec_lo, s0
	s_cbranch_execnz .LBB82_145
; %bb.146:
	s_or_b32 exec_lo, exec_lo, s0
.LBB82_147:
	s_delay_alu instid0(SALU_CYCLE_1)
	s_or_b32 exec_lo, exec_lo, s4
	v_mov_b32_e32 v45, 0
	ds_load_b64 v[45:46], v45 offset:24
	s_waitcnt lgkmcnt(0)
	v_mul_f64 v[39:40], v[39:40], v[45:46]
	scratch_store_b64 off, v[39:40], off offset:24
.LBB82_148:
	s_or_b32 exec_lo, exec_lo, s3
	scratch_load_b64 v[39:40], off, off offset:16
	v_cmp_lt_u32_e64 s0, 2, v0
	s_waitcnt vmcnt(0)
	ds_store_b64 v42, v[39:40]
	s_waitcnt lgkmcnt(0)
	s_waitcnt_vscnt null, 0x0
	s_barrier
	buffer_gl0_inv
	s_and_saveexec_b32 s3, s0
	s_cbranch_execz .LBB82_158
; %bb.149:
	s_and_not1_b32 vcc_lo, exec_lo, s2
	s_cbranch_vccnz .LBB82_151
; %bb.150:
	scratch_load_b64 v[39:40], v43, off
	ds_load_b64 v[45:46], v42
	s_waitcnt vmcnt(0) lgkmcnt(0)
	v_mul_f64 v[39:40], v[39:40], v[45:46]
	s_cbranch_execz .LBB82_152
	s_branch .LBB82_153
.LBB82_151:
                                        ; implicit-def: $vgpr39_vgpr40
.LBB82_152:
	ds_load_b64 v[39:40], v42
.LBB82_153:
	s_and_saveexec_b32 s4, s1
	s_cbranch_execz .LBB82_157
; %bb.154:
	v_add_nc_u32_e64 v45, 0, 24
	v_add_nc_u32_e32 v46, -3, v0
	s_movk_i32 s5, 0xb8
	s_mov_b32 s1, 0
.LBB82_155:                             ; =>This Inner Loop Header: Depth=1
	scratch_load_b64 v[47:48], v45, off
	v_dual_mov_b32 v49, s5 :: v_dual_add_nc_u32 v46, -1, v46
	v_add_nc_u32_e32 v45, 8, v45
	s_add_i32 s5, s5, 8
	ds_load_b64 v[49:50], v49
	v_cmp_eq_u32_e32 vcc_lo, 0, v46
	s_or_b32 s1, vcc_lo, s1
	s_waitcnt vmcnt(0) lgkmcnt(0)
	v_fma_f64 v[39:40], v[47:48], v[49:50], v[39:40]
	s_and_not1_b32 exec_lo, exec_lo, s1
	s_cbranch_execnz .LBB82_155
; %bb.156:
	s_or_b32 exec_lo, exec_lo, s1
.LBB82_157:
	s_delay_alu instid0(SALU_CYCLE_1)
	s_or_b32 exec_lo, exec_lo, s4
	v_mov_b32_e32 v45, 0
	ds_load_b64 v[45:46], v45 offset:16
	s_waitcnt lgkmcnt(0)
	v_mul_f64 v[39:40], v[39:40], v[45:46]
	scratch_store_b64 off, v[39:40], off offset:16
.LBB82_158:
	s_or_b32 exec_lo, exec_lo, s3
	scratch_load_b64 v[39:40], off, off offset:8
	v_cmp_lt_u32_e64 s1, 1, v0
	s_waitcnt vmcnt(0)
	ds_store_b64 v42, v[39:40]
	s_waitcnt lgkmcnt(0)
	s_waitcnt_vscnt null, 0x0
	s_barrier
	buffer_gl0_inv
	s_and_saveexec_b32 s3, s1
	s_cbranch_execz .LBB82_168
; %bb.159:
	s_and_not1_b32 vcc_lo, exec_lo, s2
	s_cbranch_vccnz .LBB82_161
; %bb.160:
	scratch_load_b64 v[39:40], v43, off
	ds_load_b64 v[45:46], v42
	s_waitcnt vmcnt(0) lgkmcnt(0)
	v_mul_f64 v[39:40], v[39:40], v[45:46]
	s_cbranch_execz .LBB82_162
	s_branch .LBB82_163
.LBB82_161:
                                        ; implicit-def: $vgpr39_vgpr40
.LBB82_162:
	ds_load_b64 v[39:40], v42
.LBB82_163:
	s_and_saveexec_b32 s4, s0
	s_cbranch_execz .LBB82_167
; %bb.164:
	v_add_nc_u32_e32 v45, -2, v0
	s_movk_i32 s5, 0xb0
	s_mov_b32 s0, 0
.LBB82_165:                             ; =>This Inner Loop Header: Depth=1
	scratch_load_b64 v[46:47], v44, off
	v_dual_mov_b32 v48, s5 :: v_dual_add_nc_u32 v45, -1, v45
	v_add_nc_u32_e32 v44, 8, v44
	s_add_i32 s5, s5, 8
	ds_load_b64 v[48:49], v48
	v_cmp_eq_u32_e32 vcc_lo, 0, v45
	s_or_b32 s0, vcc_lo, s0
	s_waitcnt vmcnt(0) lgkmcnt(0)
	v_fma_f64 v[39:40], v[46:47], v[48:49], v[39:40]
	s_and_not1_b32 exec_lo, exec_lo, s0
	s_cbranch_execnz .LBB82_165
; %bb.166:
	s_or_b32 exec_lo, exec_lo, s0
.LBB82_167:
	s_delay_alu instid0(SALU_CYCLE_1)
	s_or_b32 exec_lo, exec_lo, s4
	v_mov_b32_e32 v44, 0
	ds_load_b64 v[44:45], v44 offset:8
	s_waitcnt lgkmcnt(0)
	v_mul_f64 v[39:40], v[39:40], v[44:45]
	scratch_store_b64 off, v[39:40], off offset:8
.LBB82_168:
	s_or_b32 exec_lo, exec_lo, s3
	scratch_load_b64 v[39:40], off, off
	s_mov_b32 s0, 0
	s_mov_b32 s3, exec_lo
	s_waitcnt vmcnt(0)
	ds_store_b64 v42, v[39:40]
	s_waitcnt lgkmcnt(0)
	s_waitcnt_vscnt null, 0x0
	s_barrier
	buffer_gl0_inv
	v_cmpx_ne_u32_e32 0, v0
	s_cbranch_execz .LBB82_178
; %bb.169:
	s_and_not1_b32 vcc_lo, exec_lo, s2
	s_cbranch_vccnz .LBB82_171
; %bb.170:
	scratch_load_b64 v[39:40], v43, off
	ds_load_b64 v[44:45], v42
	s_waitcnt vmcnt(0) lgkmcnt(0)
	v_mul_f64 v[39:40], v[39:40], v[44:45]
	s_cbranch_execz .LBB82_172
	s_branch .LBB82_173
.LBB82_171:
                                        ; implicit-def: $vgpr39_vgpr40
.LBB82_172:
	ds_load_b64 v[39:40], v42
.LBB82_173:
	s_and_saveexec_b32 s4, s1
	s_cbranch_execz .LBB82_177
; %bb.174:
	v_or_b32_e64 v44, 0, 8
	v_add_nc_u32_e32 v45, -1, v0
	s_movk_i32 s5, 0xa8
	s_mov_b32 s1, 0
.LBB82_175:                             ; =>This Inner Loop Header: Depth=1
	scratch_load_b64 v[46:47], v44, off
	v_dual_mov_b32 v48, s5 :: v_dual_add_nc_u32 v45, -1, v45
	v_add_nc_u32_e32 v44, 8, v44
	s_add_i32 s5, s5, 8
	ds_load_b64 v[48:49], v48
	v_cmp_eq_u32_e32 vcc_lo, 0, v45
	s_or_b32 s1, vcc_lo, s1
	s_waitcnt vmcnt(0) lgkmcnt(0)
	v_fma_f64 v[39:40], v[46:47], v[48:49], v[39:40]
	s_and_not1_b32 exec_lo, exec_lo, s1
	s_cbranch_execnz .LBB82_175
; %bb.176:
	s_or_b32 exec_lo, exec_lo, s1
.LBB82_177:
	s_delay_alu instid0(SALU_CYCLE_1)
	s_or_b32 exec_lo, exec_lo, s4
	v_mov_b32_e32 v44, 0
	ds_load_b64 v[44:45], v44
	s_waitcnt lgkmcnt(0)
	v_mul_f64 v[39:40], v[39:40], v[44:45]
	scratch_store_b64 off, v[39:40], off
.LBB82_178:
	s_or_b32 exec_lo, exec_lo, s3
.LBB82_179:
	s_delay_alu instid0(SALU_CYCLE_1)
	s_and_b32 vcc_lo, exec_lo, s0
	s_cbranch_vccz .LBB82_355
; %bb.180:
	scratch_load_b64 v[39:40], off, off offset:8
	v_cmp_eq_u32_e64 s0, 0, v0
	s_waitcnt vmcnt(0)
	ds_store_b64 v42, v[39:40]
	s_waitcnt lgkmcnt(0)
	s_waitcnt_vscnt null, 0x0
	s_barrier
	buffer_gl0_inv
	s_and_saveexec_b32 s1, s0
	s_cbranch_execz .LBB82_186
; %bb.181:
	s_and_b32 vcc_lo, exec_lo, s2
	s_cbranch_vccz .LBB82_183
; %bb.182:
	scratch_load_b64 v[39:40], v43, off
	ds_load_b64 v[44:45], v42
	s_waitcnt vmcnt(0) lgkmcnt(0)
	v_mul_f64 v[39:40], v[39:40], v[44:45]
	s_cbranch_execz .LBB82_184
	s_branch .LBB82_185
.LBB82_183:
                                        ; implicit-def: $vgpr39_vgpr40
.LBB82_184:
	ds_load_b64 v[39:40], v42
.LBB82_185:
	v_mov_b32_e32 v44, 0
	ds_load_b64 v[44:45], v44 offset:8
	s_waitcnt lgkmcnt(0)
	v_mul_f64 v[39:40], v[39:40], v[44:45]
	scratch_store_b64 off, v[39:40], off offset:8
.LBB82_186:
	s_or_b32 exec_lo, exec_lo, s1
	scratch_load_b64 v[39:40], off, off offset:16
	v_cndmask_b32_e64 v44, 0, 1, s2
	s_mov_b32 s1, exec_lo
	s_waitcnt vmcnt(0)
	ds_store_b64 v42, v[39:40]
	s_waitcnt lgkmcnt(0)
	s_waitcnt_vscnt null, 0x0
	s_barrier
	buffer_gl0_inv
	v_cmpx_gt_u32_e32 2, v0
	s_cbranch_execz .LBB82_194
; %bb.187:
	s_and_not1_b32 vcc_lo, exec_lo, s2
	s_cbranch_vccnz .LBB82_189
; %bb.188:
	scratch_load_b64 v[39:40], v43, off
	ds_load_b64 v[45:46], v42
	s_waitcnt vmcnt(0) lgkmcnt(0)
	v_mul_f64 v[39:40], v[39:40], v[45:46]
	s_cbranch_execz .LBB82_190
	s_branch .LBB82_191
.LBB82_189:
                                        ; implicit-def: $vgpr39_vgpr40
.LBB82_190:
	ds_load_b64 v[39:40], v42
.LBB82_191:
	s_and_saveexec_b32 s2, s0
	s_cbranch_execz .LBB82_193
; %bb.192:
	scratch_load_b64 v[45:46], v43, off offset:8
	ds_load_b64 v[47:48], v42 offset:8
	s_waitcnt vmcnt(0) lgkmcnt(0)
	v_fma_f64 v[39:40], v[45:46], v[47:48], v[39:40]
.LBB82_193:
	s_or_b32 exec_lo, exec_lo, s2
	v_mov_b32_e32 v45, 0
	ds_load_b64 v[45:46], v45 offset:16
	s_waitcnt lgkmcnt(0)
	v_mul_f64 v[39:40], v[39:40], v[45:46]
	scratch_store_b64 off, v[39:40], off offset:16
.LBB82_194:
	s_or_b32 exec_lo, exec_lo, s1
	scratch_load_b64 v[39:40], off, off offset:24
	s_mov_b32 s1, exec_lo
	s_waitcnt vmcnt(0)
	ds_store_b64 v42, v[39:40]
	s_waitcnt lgkmcnt(0)
	s_waitcnt_vscnt null, 0x0
	s_barrier
	buffer_gl0_inv
	v_cmpx_gt_u32_e32 3, v0
	s_cbranch_execz .LBB82_204
; %bb.195:
	v_cmp_ne_u32_e32 vcc_lo, 1, v44
	s_cbranch_vccnz .LBB82_197
; %bb.196:
	scratch_load_b64 v[39:40], v43, off
	ds_load_b64 v[45:46], v42
	s_waitcnt vmcnt(0) lgkmcnt(0)
	v_mul_f64 v[39:40], v[39:40], v[45:46]
	s_cbranch_execz .LBB82_198
	s_branch .LBB82_199
.LBB82_197:
                                        ; implicit-def: $vgpr39_vgpr40
.LBB82_198:
	ds_load_b64 v[39:40], v42
.LBB82_199:
	s_mov_b32 s2, exec_lo
	v_cmpx_ne_u32_e32 2, v0
	s_cbranch_execz .LBB82_203
; %bb.200:
	scratch_load_b64 v[45:46], v43, off offset:8
	ds_load_b64 v[47:48], v42 offset:8
	s_waitcnt vmcnt(0) lgkmcnt(0)
	v_fma_f64 v[39:40], v[45:46], v[47:48], v[39:40]
	s_and_saveexec_b32 s3, s0
	s_cbranch_execz .LBB82_202
; %bb.201:
	scratch_load_b64 v[45:46], off, off offset:16
	v_mov_b32_e32 v47, 0
	ds_load_b64 v[47:48], v47 offset:176
	s_waitcnt vmcnt(0) lgkmcnt(0)
	v_fma_f64 v[39:40], v[45:46], v[47:48], v[39:40]
.LBB82_202:
	s_or_b32 exec_lo, exec_lo, s3
.LBB82_203:
	s_delay_alu instid0(SALU_CYCLE_1)
	s_or_b32 exec_lo, exec_lo, s2
	v_mov_b32_e32 v45, 0
	ds_load_b64 v[45:46], v45 offset:24
	s_waitcnt lgkmcnt(0)
	v_mul_f64 v[39:40], v[39:40], v[45:46]
	scratch_store_b64 off, v[39:40], off offset:24
.LBB82_204:
	s_or_b32 exec_lo, exec_lo, s1
	scratch_load_b64 v[39:40], off, off offset:32
	s_mov_b32 s0, exec_lo
	s_waitcnt vmcnt(0)
	ds_store_b64 v42, v[39:40]
	s_waitcnt lgkmcnt(0)
	s_waitcnt_vscnt null, 0x0
	s_barrier
	buffer_gl0_inv
	v_cmpx_gt_u32_e32 4, v0
	s_cbranch_execz .LBB82_214
; %bb.205:
	v_cmp_ne_u32_e32 vcc_lo, 1, v44
	s_cbranch_vccnz .LBB82_207
; %bb.206:
	scratch_load_b64 v[39:40], v43, off
	ds_load_b64 v[45:46], v42
	s_waitcnt vmcnt(0) lgkmcnt(0)
	v_mul_f64 v[39:40], v[39:40], v[45:46]
	s_cbranch_execz .LBB82_208
	s_branch .LBB82_209
.LBB82_207:
                                        ; implicit-def: $vgpr39_vgpr40
.LBB82_208:
	ds_load_b64 v[39:40], v42
.LBB82_209:
	s_mov_b32 s1, exec_lo
	v_cmpx_ne_u32_e32 3, v0
	s_cbranch_execz .LBB82_213
; %bb.210:
	v_add_nc_u32_e32 v45, 0xa8, v41
	v_add3_u32 v46, 0, v41, 8
	v_mov_b32_e32 v47, v0
	s_mov_b32 s2, 0
.LBB82_211:                             ; =>This Inner Loop Header: Depth=1
	scratch_load_b64 v[48:49], v46, off
	ds_load_b64 v[50:51], v45
	v_add_nc_u32_e32 v47, 1, v47
	v_add_nc_u32_e32 v45, 8, v45
	v_add_nc_u32_e32 v46, 8, v46
	s_delay_alu instid0(VALU_DEP_3)
	v_cmp_lt_u32_e32 vcc_lo, 2, v47
	s_or_b32 s2, vcc_lo, s2
	s_waitcnt vmcnt(0) lgkmcnt(0)
	v_fma_f64 v[39:40], v[48:49], v[50:51], v[39:40]
	s_and_not1_b32 exec_lo, exec_lo, s2
	s_cbranch_execnz .LBB82_211
; %bb.212:
	s_or_b32 exec_lo, exec_lo, s2
.LBB82_213:
	s_delay_alu instid0(SALU_CYCLE_1)
	s_or_b32 exec_lo, exec_lo, s1
	v_mov_b32_e32 v45, 0
	ds_load_b64 v[45:46], v45 offset:32
	s_waitcnt lgkmcnt(0)
	v_mul_f64 v[39:40], v[39:40], v[45:46]
	scratch_store_b64 off, v[39:40], off offset:32
.LBB82_214:
	s_or_b32 exec_lo, exec_lo, s0
	scratch_load_b64 v[39:40], off, off offset:40
	s_mov_b32 s0, exec_lo
	s_waitcnt vmcnt(0)
	ds_store_b64 v42, v[39:40]
	s_waitcnt lgkmcnt(0)
	s_waitcnt_vscnt null, 0x0
	s_barrier
	buffer_gl0_inv
	v_cmpx_gt_u32_e32 5, v0
	s_cbranch_execz .LBB82_224
; %bb.215:
	v_cmp_ne_u32_e32 vcc_lo, 1, v44
	s_cbranch_vccnz .LBB82_217
; %bb.216:
	scratch_load_b64 v[39:40], v43, off
	ds_load_b64 v[45:46], v42
	s_waitcnt vmcnt(0) lgkmcnt(0)
	v_mul_f64 v[39:40], v[39:40], v[45:46]
	s_cbranch_execz .LBB82_218
	s_branch .LBB82_219
.LBB82_217:
                                        ; implicit-def: $vgpr39_vgpr40
.LBB82_218:
	ds_load_b64 v[39:40], v42
.LBB82_219:
	s_mov_b32 s1, exec_lo
	v_cmpx_ne_u32_e32 4, v0
	s_cbranch_execz .LBB82_223
; %bb.220:
	v_add_nc_u32_e32 v45, 0xa8, v41
	v_add3_u32 v46, 0, v41, 8
	v_mov_b32_e32 v47, v0
	s_mov_b32 s2, 0
.LBB82_221:                             ; =>This Inner Loop Header: Depth=1
	scratch_load_b64 v[48:49], v46, off
	ds_load_b64 v[50:51], v45
	v_add_nc_u32_e32 v47, 1, v47
	v_add_nc_u32_e32 v45, 8, v45
	v_add_nc_u32_e32 v46, 8, v46
	s_delay_alu instid0(VALU_DEP_3)
	v_cmp_lt_u32_e32 vcc_lo, 3, v47
	s_or_b32 s2, vcc_lo, s2
	s_waitcnt vmcnt(0) lgkmcnt(0)
	v_fma_f64 v[39:40], v[48:49], v[50:51], v[39:40]
	s_and_not1_b32 exec_lo, exec_lo, s2
	s_cbranch_execnz .LBB82_221
; %bb.222:
	s_or_b32 exec_lo, exec_lo, s2
.LBB82_223:
	s_delay_alu instid0(SALU_CYCLE_1)
	s_or_b32 exec_lo, exec_lo, s1
	v_mov_b32_e32 v45, 0
	ds_load_b64 v[45:46], v45 offset:40
	s_waitcnt lgkmcnt(0)
	v_mul_f64 v[39:40], v[39:40], v[45:46]
	scratch_store_b64 off, v[39:40], off offset:40
.LBB82_224:
	;; [unrolled: 58-line block ×13, first 2 shown]
	s_or_b32 exec_lo, exec_lo, s0
	scratch_load_b64 v[39:40], off, off offset:136
	v_cmp_gt_u32_e64 s0, 17, v0
	s_waitcnt vmcnt(0)
	ds_store_b64 v42, v[39:40]
	s_waitcnt lgkmcnt(0)
	s_waitcnt_vscnt null, 0x0
	s_barrier
	buffer_gl0_inv
	s_and_saveexec_b32 s1, s0
	s_cbranch_execz .LBB82_344
; %bb.335:
	v_cmp_ne_u32_e32 vcc_lo, 1, v44
	s_cbranch_vccnz .LBB82_337
; %bb.336:
	scratch_load_b64 v[39:40], v43, off
	ds_load_b64 v[45:46], v42
	s_waitcnt vmcnt(0) lgkmcnt(0)
	v_mul_f64 v[39:40], v[39:40], v[45:46]
	s_cbranch_execz .LBB82_338
	s_branch .LBB82_339
.LBB82_337:
                                        ; implicit-def: $vgpr39_vgpr40
.LBB82_338:
	ds_load_b64 v[39:40], v42
.LBB82_339:
	s_mov_b32 s2, exec_lo
	v_cmpx_ne_u32_e32 16, v0
	s_cbranch_execz .LBB82_343
; %bb.340:
	v_add_nc_u32_e32 v45, 0xa8, v41
	v_add3_u32 v46, 0, v41, 8
	v_mov_b32_e32 v47, v0
	s_mov_b32 s3, 0
.LBB82_341:                             ; =>This Inner Loop Header: Depth=1
	scratch_load_b64 v[48:49], v46, off
	ds_load_b64 v[50:51], v45
	v_add_nc_u32_e32 v47, 1, v47
	v_add_nc_u32_e32 v45, 8, v45
	;; [unrolled: 1-line block ×3, first 2 shown]
	s_delay_alu instid0(VALU_DEP_3)
	v_cmp_lt_u32_e32 vcc_lo, 15, v47
	s_or_b32 s3, vcc_lo, s3
	s_waitcnt vmcnt(0) lgkmcnt(0)
	v_fma_f64 v[39:40], v[48:49], v[50:51], v[39:40]
	s_and_not1_b32 exec_lo, exec_lo, s3
	s_cbranch_execnz .LBB82_341
; %bb.342:
	s_or_b32 exec_lo, exec_lo, s3
.LBB82_343:
	s_delay_alu instid0(SALU_CYCLE_1)
	s_or_b32 exec_lo, exec_lo, s2
	v_mov_b32_e32 v45, 0
	ds_load_b64 v[45:46], v45 offset:136
	s_waitcnt lgkmcnt(0)
	v_mul_f64 v[39:40], v[39:40], v[45:46]
	scratch_store_b64 off, v[39:40], off offset:136
.LBB82_344:
	s_or_b32 exec_lo, exec_lo, s1
	scratch_load_b64 v[39:40], off, off offset:144
	s_mov_b32 s1, exec_lo
	s_waitcnt vmcnt(0)
	ds_store_b64 v42, v[39:40]
	s_waitcnt lgkmcnt(0)
	s_waitcnt_vscnt null, 0x0
	s_barrier
	buffer_gl0_inv
	v_cmpx_ne_u32_e32 18, v0
	s_cbranch_execz .LBB82_354
; %bb.345:
	v_cmp_ne_u32_e32 vcc_lo, 1, v44
	s_cbranch_vccnz .LBB82_347
; %bb.346:
	scratch_load_b64 v[39:40], v43, off
	ds_load_b64 v[43:44], v42
	s_waitcnt vmcnt(0) lgkmcnt(0)
	v_mul_f64 v[39:40], v[39:40], v[43:44]
	s_cbranch_execz .LBB82_348
	s_branch .LBB82_349
.LBB82_347:
                                        ; implicit-def: $vgpr39_vgpr40
.LBB82_348:
	ds_load_b64 v[39:40], v42
.LBB82_349:
	s_and_saveexec_b32 s2, s0
	s_cbranch_execz .LBB82_353
; %bb.350:
	v_add_nc_u32_e32 v42, 0xa8, v41
	v_add3_u32 v41, 0, v41, 8
	s_mov_b32 s0, 0
.LBB82_351:                             ; =>This Inner Loop Header: Depth=1
	scratch_load_b64 v[43:44], v41, off
	ds_load_b64 v[45:46], v42
	v_add_nc_u32_e32 v0, 1, v0
	v_add_nc_u32_e32 v42, 8, v42
	v_add_nc_u32_e32 v41, 8, v41
	s_delay_alu instid0(VALU_DEP_3)
	v_cmp_lt_u32_e32 vcc_lo, 16, v0
	s_or_b32 s0, vcc_lo, s0
	s_waitcnt vmcnt(0) lgkmcnt(0)
	v_fma_f64 v[39:40], v[43:44], v[45:46], v[39:40]
	s_and_not1_b32 exec_lo, exec_lo, s0
	s_cbranch_execnz .LBB82_351
; %bb.352:
	s_or_b32 exec_lo, exec_lo, s0
.LBB82_353:
	s_delay_alu instid0(SALU_CYCLE_1)
	s_or_b32 exec_lo, exec_lo, s2
	v_mov_b32_e32 v0, 0
	ds_load_b64 v[41:42], v0 offset:144
	s_waitcnt lgkmcnt(0)
	v_mul_f64 v[39:40], v[39:40], v[41:42]
	scratch_store_b64 off, v[39:40], off offset:144
.LBB82_354:
	s_or_b32 exec_lo, exec_lo, s1
.LBB82_355:
	s_clause 0x9
	scratch_load_b128 v[39:42], off, off
	scratch_load_b128 v[43:46], off, off offset:16
	scratch_load_b128 v[47:50], off, off offset:32
	;; [unrolled: 1-line block ×8, first 2 shown]
	scratch_load_b64 v[75:76], off, off offset:144
	s_waitcnt vmcnt(9)
	s_clause 0x1
	global_store_b64 v[1:2], v[39:40], off
	global_store_b64 v[9:10], v[41:42], off
	s_waitcnt vmcnt(8)
	s_clause 0x1
	global_store_b64 v[3:4], v[43:44], off
	global_store_b64 v[5:6], v[45:46], off
	;; [unrolled: 4-line block ×9, first 2 shown]
	s_waitcnt vmcnt(0)
	global_store_b64 v[37:38], v[75:76], off
.LBB82_356:
	s_endpgm
	.section	.rodata,"a",@progbits
	.p2align	6, 0x0
	.amdhsa_kernel _ZN9rocsolver6v33100L18trti2_kernel_smallILi19EdPKPdEEv13rocblas_fill_17rocblas_diagonal_T1_iil
		.amdhsa_group_segment_fixed_size 312
		.amdhsa_private_segment_fixed_size 160
		.amdhsa_kernarg_size 32
		.amdhsa_user_sgpr_count 15
		.amdhsa_user_sgpr_dispatch_ptr 0
		.amdhsa_user_sgpr_queue_ptr 0
		.amdhsa_user_sgpr_kernarg_segment_ptr 1
		.amdhsa_user_sgpr_dispatch_id 0
		.amdhsa_user_sgpr_private_segment_size 0
		.amdhsa_wavefront_size32 1
		.amdhsa_uses_dynamic_stack 0
		.amdhsa_enable_private_segment 1
		.amdhsa_system_sgpr_workgroup_id_x 1
		.amdhsa_system_sgpr_workgroup_id_y 0
		.amdhsa_system_sgpr_workgroup_id_z 0
		.amdhsa_system_sgpr_workgroup_info 0
		.amdhsa_system_vgpr_workitem_id 0
		.amdhsa_next_free_vgpr 80
		.amdhsa_next_free_sgpr 16
		.amdhsa_reserve_vcc 1
		.amdhsa_float_round_mode_32 0
		.amdhsa_float_round_mode_16_64 0
		.amdhsa_float_denorm_mode_32 3
		.amdhsa_float_denorm_mode_16_64 3
		.amdhsa_dx10_clamp 1
		.amdhsa_ieee_mode 1
		.amdhsa_fp16_overflow 0
		.amdhsa_workgroup_processor_mode 1
		.amdhsa_memory_ordered 1
		.amdhsa_forward_progress 0
		.amdhsa_shared_vgpr_count 0
		.amdhsa_exception_fp_ieee_invalid_op 0
		.amdhsa_exception_fp_denorm_src 0
		.amdhsa_exception_fp_ieee_div_zero 0
		.amdhsa_exception_fp_ieee_overflow 0
		.amdhsa_exception_fp_ieee_underflow 0
		.amdhsa_exception_fp_ieee_inexact 0
		.amdhsa_exception_int_div_zero 0
	.end_amdhsa_kernel
	.section	.text._ZN9rocsolver6v33100L18trti2_kernel_smallILi19EdPKPdEEv13rocblas_fill_17rocblas_diagonal_T1_iil,"axG",@progbits,_ZN9rocsolver6v33100L18trti2_kernel_smallILi19EdPKPdEEv13rocblas_fill_17rocblas_diagonal_T1_iil,comdat
.Lfunc_end82:
	.size	_ZN9rocsolver6v33100L18trti2_kernel_smallILi19EdPKPdEEv13rocblas_fill_17rocblas_diagonal_T1_iil, .Lfunc_end82-_ZN9rocsolver6v33100L18trti2_kernel_smallILi19EdPKPdEEv13rocblas_fill_17rocblas_diagonal_T1_iil
                                        ; -- End function
	.section	.AMDGPU.csdata,"",@progbits
; Kernel info:
; codeLenInByte = 10020
; NumSgprs: 18
; NumVgprs: 80
; ScratchSize: 160
; MemoryBound: 0
; FloatMode: 240
; IeeeMode: 1
; LDSByteSize: 312 bytes/workgroup (compile time only)
; SGPRBlocks: 2
; VGPRBlocks: 9
; NumSGPRsForWavesPerEU: 18
; NumVGPRsForWavesPerEU: 80
; Occupancy: 16
; WaveLimiterHint : 1
; COMPUTE_PGM_RSRC2:SCRATCH_EN: 1
; COMPUTE_PGM_RSRC2:USER_SGPR: 15
; COMPUTE_PGM_RSRC2:TRAP_HANDLER: 0
; COMPUTE_PGM_RSRC2:TGID_X_EN: 1
; COMPUTE_PGM_RSRC2:TGID_Y_EN: 0
; COMPUTE_PGM_RSRC2:TGID_Z_EN: 0
; COMPUTE_PGM_RSRC2:TIDIG_COMP_CNT: 0
	.section	.text._ZN9rocsolver6v33100L18trti2_kernel_smallILi20EdPKPdEEv13rocblas_fill_17rocblas_diagonal_T1_iil,"axG",@progbits,_ZN9rocsolver6v33100L18trti2_kernel_smallILi20EdPKPdEEv13rocblas_fill_17rocblas_diagonal_T1_iil,comdat
	.globl	_ZN9rocsolver6v33100L18trti2_kernel_smallILi20EdPKPdEEv13rocblas_fill_17rocblas_diagonal_T1_iil ; -- Begin function _ZN9rocsolver6v33100L18trti2_kernel_smallILi20EdPKPdEEv13rocblas_fill_17rocblas_diagonal_T1_iil
	.p2align	8
	.type	_ZN9rocsolver6v33100L18trti2_kernel_smallILi20EdPKPdEEv13rocblas_fill_17rocblas_diagonal_T1_iil,@function
_ZN9rocsolver6v33100L18trti2_kernel_smallILi20EdPKPdEEv13rocblas_fill_17rocblas_diagonal_T1_iil: ; @_ZN9rocsolver6v33100L18trti2_kernel_smallILi20EdPKPdEEv13rocblas_fill_17rocblas_diagonal_T1_iil
; %bb.0:
	s_mov_b32 s2, exec_lo
	v_cmpx_gt_u32_e32 20, v0
	s_cbranch_execz .LBB83_376
; %bb.1:
	s_clause 0x1
	s_load_b64 s[4:5], s[0:1], 0x10
	s_load_b128 s[0:3], s[0:1], 0x0
	s_mov_b32 s6, s15
	s_ashr_i32 s7, s15, 31
	v_lshlrev_b32_e32 v43, 3, v0
	s_lshl_b64 s[6:7], s[6:7], 3
	s_waitcnt lgkmcnt(0)
	s_ashr_i32 s9, s4, 31
	s_add_u32 s2, s2, s6
	s_addc_u32 s3, s3, s7
	v_add3_u32 v1, s5, s5, v0
	s_load_b64 s[2:3], s[2:3], 0x0
	s_mov_b32 s8, s4
	s_mov_b32 s6, s5
	s_lshl_b64 s[8:9], s[8:9], 3
	v_add_nc_u32_e32 v3, s5, v1
	v_ashrrev_i32_e32 v2, 31, v1
	s_delay_alu instid0(VALU_DEP_2) | instskip(SKIP_1) | instid1(VALU_DEP_3)
	v_add_nc_u32_e32 v5, s5, v3
	v_ashrrev_i32_e32 v4, 31, v3
	v_lshlrev_b64 v[9:10], 3, v[1:2]
	s_delay_alu instid0(VALU_DEP_3) | instskip(NEXT) | instid1(VALU_DEP_3)
	v_add_nc_u32_e32 v7, s5, v5
	v_lshlrev_b64 v[11:12], 3, v[3:4]
	v_ashrrev_i32_e32 v6, 31, v5
	s_delay_alu instid0(VALU_DEP_3)
	v_add_nc_u32_e32 v15, s5, v7
	s_waitcnt lgkmcnt(0)
	s_add_u32 s2, s2, s8
	s_addc_u32 s3, s3, s9
	v_add_co_u32 v3, vcc_lo, s2, v9
	v_add_co_u32 v1, s4, s2, v43
	s_ashr_i32 s7, s5, 31
	v_add_co_ci_u32_e32 v4, vcc_lo, s3, v10, vcc_lo
	v_lshlrev_b64 v[13:14], 3, v[5:6]
	v_add_co_ci_u32_e64 v2, null, s3, 0, s4
	v_add_co_u32 v5, vcc_lo, s2, v11
	v_ashrrev_i32_e32 v8, 31, v7
	s_lshl_b64 s[6:7], s[6:7], 3
	v_add_co_ci_u32_e32 v6, vcc_lo, s3, v12, vcc_lo
	v_ashrrev_i32_e32 v16, 31, v15
	v_add_nc_u32_e32 v19, s5, v15
	v_add_co_u32 v9, vcc_lo, v1, s6
	v_add_co_ci_u32_e32 v10, vcc_lo, s7, v2, vcc_lo
	v_lshlrev_b64 v[17:18], 3, v[7:8]
	v_add_co_u32 v7, vcc_lo, s2, v13
	v_add_co_ci_u32_e32 v8, vcc_lo, s3, v14, vcc_lo
	v_lshlrev_b64 v[13:14], 3, v[15:16]
	v_add_nc_u32_e32 v15, s5, v19
	v_ashrrev_i32_e32 v20, 31, v19
	v_add_co_u32 v11, vcc_lo, s2, v17
	v_add_co_ci_u32_e32 v12, vcc_lo, s3, v18, vcc_lo
	s_delay_alu instid0(VALU_DEP_4) | instskip(NEXT) | instid1(VALU_DEP_4)
	v_ashrrev_i32_e32 v16, 31, v15
	v_lshlrev_b64 v[17:18], 3, v[19:20]
	v_add_nc_u32_e32 v21, s5, v15
	v_add_co_u32 v13, vcc_lo, s2, v13
	s_delay_alu instid0(VALU_DEP_4)
	v_lshlrev_b64 v[19:20], 3, v[15:16]
	v_add_co_ci_u32_e32 v14, vcc_lo, s3, v14, vcc_lo
	v_add_co_u32 v15, vcc_lo, s2, v17
	v_ashrrev_i32_e32 v22, 31, v21
	v_add_nc_u32_e32 v23, s5, v21
	v_add_co_ci_u32_e32 v16, vcc_lo, s3, v18, vcc_lo
	v_add_co_u32 v17, vcc_lo, s2, v19
	v_add_co_ci_u32_e32 v18, vcc_lo, s3, v20, vcc_lo
	v_lshlrev_b64 v[19:20], 3, v[21:22]
	v_add_nc_u32_e32 v21, s5, v23
	v_ashrrev_i32_e32 v24, 31, v23
	s_clause 0x8
	global_load_b64 v[44:45], v43, s[2:3]
	global_load_b64 v[46:47], v[9:10], off
	global_load_b64 v[48:49], v[3:4], off
	;; [unrolled: 1-line block ×8, first 2 shown]
	v_add_nc_u32_e32 v25, s5, v21
	v_ashrrev_i32_e32 v22, 31, v21
	v_lshlrev_b64 v[23:24], 3, v[23:24]
	v_add_co_u32 v19, vcc_lo, s2, v19
	s_delay_alu instid0(VALU_DEP_4) | instskip(NEXT) | instid1(VALU_DEP_4)
	v_ashrrev_i32_e32 v26, 31, v25
	v_lshlrev_b64 v[27:28], 3, v[21:22]
	v_add_nc_u32_e32 v31, s5, v25
	v_add_co_ci_u32_e32 v20, vcc_lo, s3, v20, vcc_lo
	v_add_co_u32 v21, vcc_lo, s2, v23
	v_lshlrev_b64 v[29:30], 3, v[25:26]
	v_add_co_ci_u32_e32 v22, vcc_lo, s3, v24, vcc_lo
	v_add_co_u32 v23, vcc_lo, s2, v27
	v_ashrrev_i32_e32 v32, 31, v31
	v_add_nc_u32_e32 v27, s5, v31
	v_add_co_ci_u32_e32 v24, vcc_lo, s3, v28, vcc_lo
	v_add_co_u32 v25, vcc_lo, s2, v29
	v_add_co_ci_u32_e32 v26, vcc_lo, s3, v30, vcc_lo
	v_lshlrev_b64 v[29:30], 3, v[31:32]
	v_add_nc_u32_e32 v31, s5, v27
	v_ashrrev_i32_e32 v28, 31, v27
	s_clause 0x3
	global_load_b64 v[62:63], v[19:20], off
	global_load_b64 v[64:65], v[21:22], off
	;; [unrolled: 1-line block ×4, first 2 shown]
	s_cmpk_lg_i32 s1, 0x84
	v_add_nc_u32_e32 v35, s5, v31
	v_lshlrev_b64 v[33:34], 3, v[27:28]
	v_ashrrev_i32_e32 v32, 31, v31
	v_add_co_u32 v27, vcc_lo, s2, v29
	s_delay_alu instid0(VALU_DEP_4) | instskip(SKIP_3) | instid1(VALU_DEP_4)
	v_add_nc_u32_e32 v37, s5, v35
	v_ashrrev_i32_e32 v36, 31, v35
	v_add_co_ci_u32_e32 v28, vcc_lo, s3, v30, vcc_lo
	v_lshlrev_b64 v[31:32], 3, v[31:32]
	v_add_nc_u32_e32 v39, s5, v37
	v_add_co_u32 v29, vcc_lo, s2, v33
	v_ashrrev_i32_e32 v38, 31, v37
	v_add_co_ci_u32_e32 v30, vcc_lo, s3, v34, vcc_lo
	v_lshlrev_b64 v[33:34], 3, v[35:36]
	v_add_nc_u32_e32 v41, s5, v39
	v_add_co_u32 v31, vcc_lo, s2, v31
	v_lshlrev_b64 v[37:38], 3, v[37:38]
	v_ashrrev_i32_e32 v40, 31, v39
	v_add_co_ci_u32_e32 v32, vcc_lo, s3, v32, vcc_lo
	v_add_co_u32 v35, vcc_lo, s2, v33
	v_ashrrev_i32_e32 v42, 31, v41
	v_add_co_ci_u32_e32 v36, vcc_lo, s3, v34, vcc_lo
	v_lshlrev_b64 v[33:34], 3, v[39:40]
	v_add_co_u32 v39, vcc_lo, s2, v37
	v_add_co_ci_u32_e32 v40, vcc_lo, s3, v38, vcc_lo
	v_lshlrev_b64 v[37:38], 3, v[41:42]
	s_delay_alu instid0(VALU_DEP_4)
	v_add_co_u32 v33, vcc_lo, s2, v33
	v_add_co_ci_u32_e32 v34, vcc_lo, s3, v34, vcc_lo
	v_mov_b32_e32 v41, 0
	v_mov_b32_e32 v42, 0xbff00000
	v_add_co_u32 v37, vcc_lo, s2, v37
	v_add_co_ci_u32_e32 v38, vcc_lo, s3, v38, vcc_lo
	s_clause 0x6
	global_load_b64 v[70:71], v[27:28], off
	global_load_b64 v[72:73], v[29:30], off
	;; [unrolled: 1-line block ×7, first 2 shown]
	s_cselect_b32 s2, -1, 0
	s_cmpk_eq_i32 s1, 0x84
	s_waitcnt vmcnt(18)
	scratch_store_b128 off, v[44:47], off
	s_waitcnt vmcnt(16)
	scratch_store_b128 off, v[48:51], off offset:16
	s_waitcnt vmcnt(14)
	scratch_store_b128 off, v[52:55], off offset:32
	;; [unrolled: 2-line block ×9, first 2 shown]
	s_cbranch_scc1 .LBB83_3
; %bb.2:
	scratch_load_b64 v[41:42], v43, off
	s_waitcnt vmcnt(0)
	v_div_scale_f64 v[44:45], null, v[41:42], v[41:42], 1.0
	v_div_scale_f64 v[50:51], vcc_lo, 1.0, v[41:42], 1.0
	s_delay_alu instid0(VALU_DEP_2) | instskip(SKIP_2) | instid1(VALU_DEP_1)
	v_rcp_f64_e32 v[46:47], v[44:45]
	s_waitcnt_depctr 0xfff
	v_fma_f64 v[48:49], -v[44:45], v[46:47], 1.0
	v_fma_f64 v[46:47], v[46:47], v[48:49], v[46:47]
	s_delay_alu instid0(VALU_DEP_1) | instskip(NEXT) | instid1(VALU_DEP_1)
	v_fma_f64 v[48:49], -v[44:45], v[46:47], 1.0
	v_fma_f64 v[46:47], v[46:47], v[48:49], v[46:47]
	s_delay_alu instid0(VALU_DEP_1) | instskip(NEXT) | instid1(VALU_DEP_1)
	v_mul_f64 v[48:49], v[50:51], v[46:47]
	v_fma_f64 v[44:45], -v[44:45], v[48:49], v[50:51]
	s_delay_alu instid0(VALU_DEP_1) | instskip(NEXT) | instid1(VALU_DEP_1)
	v_div_fmas_f64 v[44:45], v[44:45], v[46:47], v[48:49]
	v_div_fixup_f64 v[41:42], v[44:45], v[41:42], 1.0
	scratch_store_b64 v43, v[41:42], off
	v_xor_b32_e32 v42, 0x80000000, v42
.LBB83_3:
	v_add_nc_u32_e32 v44, 0xa0, v43
	v_add_nc_u32_e32 v45, 0, v43
	s_cmpk_eq_i32 s0, 0x79
	s_mov_b32 s0, -1
	ds_store_b64 v43, v[41:42]
	s_cbranch_scc1 .LBB83_189
; %bb.4:
	scratch_load_b64 v[41:42], off, off offset:144
	v_cmp_eq_u32_e64 s0, 19, v0
	s_movk_i32 s1, 0x50
	s_movk_i32 s3, 0x60
	;; [unrolled: 1-line block ×4, first 2 shown]
	s_waitcnt vmcnt(0)
	ds_store_b64 v44, v[41:42]
	s_waitcnt lgkmcnt(0)
	s_waitcnt_vscnt null, 0x0
	s_barrier
	buffer_gl0_inv
	s_and_saveexec_b32 s6, s0
	s_cbranch_execz .LBB83_10
; %bb.5:
	s_and_b32 vcc_lo, exec_lo, s2
	s_cbranch_vccz .LBB83_7
; %bb.6:
	scratch_load_b64 v[41:42], v45, off
	ds_load_b64 v[46:47], v44
	s_waitcnt vmcnt(0) lgkmcnt(0)
	v_mul_f64 v[41:42], v[41:42], v[46:47]
	s_cbranch_execz .LBB83_8
	s_branch .LBB83_9
.LBB83_7:
                                        ; implicit-def: $vgpr41_vgpr42
.LBB83_8:
	ds_load_b64 v[41:42], v44
.LBB83_9:
	v_mov_b32_e32 v46, 0
	ds_load_b64 v[46:47], v46 offset:144
	s_waitcnt lgkmcnt(0)
	v_mul_f64 v[41:42], v[41:42], v[46:47]
	scratch_store_b64 off, v[41:42], off offset:144
.LBB83_10:
	s_or_b32 exec_lo, exec_lo, s6
	scratch_load_b64 v[41:42], off, off offset:136
	v_add_nc_u32_e64 v46, 0, 16
	v_add_nc_u32_e64 v47, 0, 32
	v_add_nc_u32_e64 v48, 0, 48
	v_add_nc_u32_e64 v49, 0, 64
	v_add_nc_u32_e64 v50, s1, 0
	v_add_nc_u32_e64 v51, s3, 0
	v_add_nc_u32_e64 v52, s4, 0
	v_add_nc_u32_e64 v53, s5, 0
	v_cmp_lt_u32_e64 s1, 17, v0
	s_waitcnt vmcnt(0)
	ds_store_b64 v44, v[41:42]
	s_waitcnt lgkmcnt(0)
	s_waitcnt_vscnt null, 0x0
	s_barrier
	buffer_gl0_inv
	s_and_saveexec_b32 s3, s1
	s_cbranch_execz .LBB83_18
; %bb.11:
	s_and_not1_b32 vcc_lo, exec_lo, s2
	s_cbranch_vccnz .LBB83_13
; %bb.12:
	scratch_load_b64 v[41:42], v45, off
	ds_load_b64 v[54:55], v44
	s_waitcnt vmcnt(0) lgkmcnt(0)
	v_mul_f64 v[41:42], v[41:42], v[54:55]
	s_cbranch_execz .LBB83_14
	s_branch .LBB83_15
.LBB83_13:
                                        ; implicit-def: $vgpr41_vgpr42
.LBB83_14:
	ds_load_b64 v[41:42], v44
.LBB83_15:
	s_and_saveexec_b32 s4, s0
	s_cbranch_execz .LBB83_17
; %bb.16:
	scratch_load_b64 v[54:55], off, off offset:144
	v_mov_b32_e32 v56, 0
	ds_load_b64 v[56:57], v56 offset:304
	s_waitcnt vmcnt(0) lgkmcnt(0)
	v_fma_f64 v[41:42], v[54:55], v[56:57], v[41:42]
.LBB83_17:
	s_or_b32 exec_lo, exec_lo, s4
	v_mov_b32_e32 v54, 0
	ds_load_b64 v[54:55], v54 offset:136
	s_waitcnt lgkmcnt(0)
	v_mul_f64 v[41:42], v[41:42], v[54:55]
	scratch_store_b64 off, v[41:42], off offset:136
.LBB83_18:
	s_or_b32 exec_lo, exec_lo, s3
	scratch_load_b64 v[41:42], off, off offset:128
	v_cmp_lt_u32_e64 s0, 16, v0
	s_waitcnt vmcnt(0)
	ds_store_b64 v44, v[41:42]
	s_waitcnt lgkmcnt(0)
	s_waitcnt_vscnt null, 0x0
	s_barrier
	buffer_gl0_inv
	s_and_saveexec_b32 s3, s0
	s_cbranch_execz .LBB83_28
; %bb.19:
	s_and_not1_b32 vcc_lo, exec_lo, s2
	s_cbranch_vccnz .LBB83_21
; %bb.20:
	scratch_load_b64 v[41:42], v45, off
	ds_load_b64 v[54:55], v44
	s_waitcnt vmcnt(0) lgkmcnt(0)
	v_mul_f64 v[41:42], v[41:42], v[54:55]
	s_cbranch_execz .LBB83_22
	s_branch .LBB83_23
.LBB83_21:
                                        ; implicit-def: $vgpr41_vgpr42
.LBB83_22:
	ds_load_b64 v[41:42], v44
.LBB83_23:
	s_and_saveexec_b32 s4, s1
	s_cbranch_execz .LBB83_27
; %bb.24:
	v_mov_b32_e32 v54, 0
	v_subrev_nc_u32_e32 v55, 17, v0
	s_movk_i32 s5, 0x128
	s_mov_b32 s1, 0
	s_delay_alu instid0(VALU_DEP_2)
	v_add_nc_u32_e32 v54, 0x88, v54
.LBB83_25:                              ; =>This Inner Loop Header: Depth=1
	scratch_load_b64 v[56:57], v54, off
	v_dual_mov_b32 v58, s5 :: v_dual_add_nc_u32 v55, -1, v55
	v_add_nc_u32_e32 v54, 8, v54
	s_add_i32 s5, s5, 8
	ds_load_b64 v[58:59], v58
	v_cmp_eq_u32_e32 vcc_lo, 0, v55
	s_or_b32 s1, vcc_lo, s1
	s_waitcnt vmcnt(0) lgkmcnt(0)
	v_fma_f64 v[41:42], v[56:57], v[58:59], v[41:42]
	s_and_not1_b32 exec_lo, exec_lo, s1
	s_cbranch_execnz .LBB83_25
; %bb.26:
	s_or_b32 exec_lo, exec_lo, s1
.LBB83_27:
	s_delay_alu instid0(SALU_CYCLE_1)
	s_or_b32 exec_lo, exec_lo, s4
	v_mov_b32_e32 v54, 0
	ds_load_b64 v[54:55], v54 offset:128
	s_waitcnt lgkmcnt(0)
	v_mul_f64 v[41:42], v[41:42], v[54:55]
	scratch_store_b64 off, v[41:42], off offset:128
.LBB83_28:
	s_or_b32 exec_lo, exec_lo, s3
	scratch_load_b64 v[41:42], off, off offset:120
	v_cmp_lt_u32_e64 s1, 15, v0
	s_waitcnt vmcnt(0)
	ds_store_b64 v44, v[41:42]
	s_waitcnt lgkmcnt(0)
	s_waitcnt_vscnt null, 0x0
	s_barrier
	buffer_gl0_inv
	s_and_saveexec_b32 s3, s1
	s_cbranch_execz .LBB83_38
; %bb.29:
	s_and_not1_b32 vcc_lo, exec_lo, s2
	s_cbranch_vccnz .LBB83_31
; %bb.30:
	scratch_load_b64 v[41:42], v45, off
	ds_load_b64 v[54:55], v44
	s_waitcnt vmcnt(0) lgkmcnt(0)
	v_mul_f64 v[41:42], v[41:42], v[54:55]
	s_cbranch_execz .LBB83_32
	s_branch .LBB83_33
.LBB83_31:
                                        ; implicit-def: $vgpr41_vgpr42
.LBB83_32:
	ds_load_b64 v[41:42], v44
.LBB83_33:
	s_and_saveexec_b32 s4, s0
	s_cbranch_execz .LBB83_37
; %bb.34:
	v_add_nc_u32_e32 v54, -16, v0
	s_movk_i32 s5, 0x120
	s_mov_b32 s0, 0
.LBB83_35:                              ; =>This Inner Loop Header: Depth=1
	scratch_load_b64 v[55:56], v53, off
	v_dual_mov_b32 v57, s5 :: v_dual_add_nc_u32 v54, -1, v54
	v_add_nc_u32_e32 v53, 8, v53
	s_add_i32 s5, s5, 8
	ds_load_b64 v[57:58], v57
	v_cmp_eq_u32_e32 vcc_lo, 0, v54
	s_or_b32 s0, vcc_lo, s0
	s_waitcnt vmcnt(0) lgkmcnt(0)
	v_fma_f64 v[41:42], v[55:56], v[57:58], v[41:42]
	s_and_not1_b32 exec_lo, exec_lo, s0
	s_cbranch_execnz .LBB83_35
; %bb.36:
	s_or_b32 exec_lo, exec_lo, s0
.LBB83_37:
	s_delay_alu instid0(SALU_CYCLE_1)
	s_or_b32 exec_lo, exec_lo, s4
	v_mov_b32_e32 v53, 0
	ds_load_b64 v[53:54], v53 offset:120
	s_waitcnt lgkmcnt(0)
	v_mul_f64 v[41:42], v[41:42], v[53:54]
	scratch_store_b64 off, v[41:42], off offset:120
.LBB83_38:
	s_or_b32 exec_lo, exec_lo, s3
	scratch_load_b64 v[41:42], off, off offset:112
	v_cmp_lt_u32_e64 s0, 14, v0
	s_waitcnt vmcnt(0)
	ds_store_b64 v44, v[41:42]
	s_waitcnt lgkmcnt(0)
	s_waitcnt_vscnt null, 0x0
	s_barrier
	buffer_gl0_inv
	s_and_saveexec_b32 s3, s0
	s_cbranch_execz .LBB83_48
; %bb.39:
	s_and_not1_b32 vcc_lo, exec_lo, s2
	s_cbranch_vccnz .LBB83_41
; %bb.40:
	scratch_load_b64 v[41:42], v45, off
	ds_load_b64 v[53:54], v44
	s_waitcnt vmcnt(0) lgkmcnt(0)
	v_mul_f64 v[41:42], v[41:42], v[53:54]
	s_cbranch_execz .LBB83_42
	s_branch .LBB83_43
.LBB83_41:
                                        ; implicit-def: $vgpr41_vgpr42
.LBB83_42:
	ds_load_b64 v[41:42], v44
.LBB83_43:
	s_and_saveexec_b32 s4, s1
	s_cbranch_execz .LBB83_47
; %bb.44:
	v_dual_mov_b32 v53, 0 :: v_dual_add_nc_u32 v54, -15, v0
	s_movk_i32 s5, 0x118
	s_mov_b32 s1, 0
	s_delay_alu instid0(VALU_DEP_1)
	v_add_nc_u32_e32 v53, 0x78, v53
.LBB83_45:                              ; =>This Inner Loop Header: Depth=1
	scratch_load_b64 v[55:56], v53, off
	v_dual_mov_b32 v57, s5 :: v_dual_add_nc_u32 v54, -1, v54
	v_add_nc_u32_e32 v53, 8, v53
	s_add_i32 s5, s5, 8
	ds_load_b64 v[57:58], v57
	v_cmp_eq_u32_e32 vcc_lo, 0, v54
	s_or_b32 s1, vcc_lo, s1
	s_waitcnt vmcnt(0) lgkmcnt(0)
	v_fma_f64 v[41:42], v[55:56], v[57:58], v[41:42]
	s_and_not1_b32 exec_lo, exec_lo, s1
	s_cbranch_execnz .LBB83_45
; %bb.46:
	s_or_b32 exec_lo, exec_lo, s1
.LBB83_47:
	s_delay_alu instid0(SALU_CYCLE_1)
	s_or_b32 exec_lo, exec_lo, s4
	v_mov_b32_e32 v53, 0
	ds_load_b64 v[53:54], v53 offset:112
	s_waitcnt lgkmcnt(0)
	v_mul_f64 v[41:42], v[41:42], v[53:54]
	scratch_store_b64 off, v[41:42], off offset:112
.LBB83_48:
	s_or_b32 exec_lo, exec_lo, s3
	scratch_load_b64 v[41:42], off, off offset:104
	v_cmp_lt_u32_e64 s1, 13, v0
	s_waitcnt vmcnt(0)
	ds_store_b64 v44, v[41:42]
	s_waitcnt lgkmcnt(0)
	s_waitcnt_vscnt null, 0x0
	s_barrier
	buffer_gl0_inv
	s_and_saveexec_b32 s3, s1
	s_cbranch_execz .LBB83_58
; %bb.49:
	s_and_not1_b32 vcc_lo, exec_lo, s2
	s_cbranch_vccnz .LBB83_51
; %bb.50:
	scratch_load_b64 v[41:42], v45, off
	ds_load_b64 v[53:54], v44
	s_waitcnt vmcnt(0) lgkmcnt(0)
	v_mul_f64 v[41:42], v[41:42], v[53:54]
	s_cbranch_execz .LBB83_52
	s_branch .LBB83_53
.LBB83_51:
                                        ; implicit-def: $vgpr41_vgpr42
.LBB83_52:
	ds_load_b64 v[41:42], v44
.LBB83_53:
	s_and_saveexec_b32 s4, s0
	s_cbranch_execz .LBB83_57
; %bb.54:
	v_add_nc_u32_e32 v53, -14, v0
	s_movk_i32 s5, 0x110
	s_mov_b32 s0, 0
.LBB83_55:                              ; =>This Inner Loop Header: Depth=1
	scratch_load_b64 v[54:55], v52, off
	v_dual_mov_b32 v56, s5 :: v_dual_add_nc_u32 v53, -1, v53
	v_add_nc_u32_e32 v52, 8, v52
	s_add_i32 s5, s5, 8
	ds_load_b64 v[56:57], v56
	v_cmp_eq_u32_e32 vcc_lo, 0, v53
	s_or_b32 s0, vcc_lo, s0
	s_waitcnt vmcnt(0) lgkmcnt(0)
	v_fma_f64 v[41:42], v[54:55], v[56:57], v[41:42]
	s_and_not1_b32 exec_lo, exec_lo, s0
	s_cbranch_execnz .LBB83_55
; %bb.56:
	s_or_b32 exec_lo, exec_lo, s0
.LBB83_57:
	s_delay_alu instid0(SALU_CYCLE_1)
	s_or_b32 exec_lo, exec_lo, s4
	v_mov_b32_e32 v52, 0
	ds_load_b64 v[52:53], v52 offset:104
	s_waitcnt lgkmcnt(0)
	v_mul_f64 v[41:42], v[41:42], v[52:53]
	scratch_store_b64 off, v[41:42], off offset:104
.LBB83_58:
	s_or_b32 exec_lo, exec_lo, s3
	scratch_load_b64 v[41:42], off, off offset:96
	v_cmp_lt_u32_e64 s0, 12, v0
	s_waitcnt vmcnt(0)
	ds_store_b64 v44, v[41:42]
	s_waitcnt lgkmcnt(0)
	s_waitcnt_vscnt null, 0x0
	s_barrier
	buffer_gl0_inv
	s_and_saveexec_b32 s3, s0
	s_cbranch_execz .LBB83_68
; %bb.59:
	s_and_not1_b32 vcc_lo, exec_lo, s2
	s_cbranch_vccnz .LBB83_61
; %bb.60:
	scratch_load_b64 v[41:42], v45, off
	ds_load_b64 v[52:53], v44
	s_waitcnt vmcnt(0) lgkmcnt(0)
	v_mul_f64 v[41:42], v[41:42], v[52:53]
	s_cbranch_execz .LBB83_62
	s_branch .LBB83_63
.LBB83_61:
                                        ; implicit-def: $vgpr41_vgpr42
.LBB83_62:
	ds_load_b64 v[41:42], v44
.LBB83_63:
	s_and_saveexec_b32 s4, s1
	s_cbranch_execz .LBB83_67
; %bb.64:
	v_dual_mov_b32 v52, 0 :: v_dual_add_nc_u32 v53, -13, v0
	s_movk_i32 s5, 0x108
	s_mov_b32 s1, 0
	s_delay_alu instid0(VALU_DEP_1)
	v_add_nc_u32_e32 v52, 0x68, v52
.LBB83_65:                              ; =>This Inner Loop Header: Depth=1
	scratch_load_b64 v[54:55], v52, off
	v_dual_mov_b32 v56, s5 :: v_dual_add_nc_u32 v53, -1, v53
	v_add_nc_u32_e32 v52, 8, v52
	s_add_i32 s5, s5, 8
	ds_load_b64 v[56:57], v56
	v_cmp_eq_u32_e32 vcc_lo, 0, v53
	s_or_b32 s1, vcc_lo, s1
	s_waitcnt vmcnt(0) lgkmcnt(0)
	v_fma_f64 v[41:42], v[54:55], v[56:57], v[41:42]
	s_and_not1_b32 exec_lo, exec_lo, s1
	s_cbranch_execnz .LBB83_65
; %bb.66:
	s_or_b32 exec_lo, exec_lo, s1
.LBB83_67:
	s_delay_alu instid0(SALU_CYCLE_1)
	s_or_b32 exec_lo, exec_lo, s4
	v_mov_b32_e32 v52, 0
	ds_load_b64 v[52:53], v52 offset:96
	s_waitcnt lgkmcnt(0)
	v_mul_f64 v[41:42], v[41:42], v[52:53]
	scratch_store_b64 off, v[41:42], off offset:96
.LBB83_68:
	s_or_b32 exec_lo, exec_lo, s3
	scratch_load_b64 v[41:42], off, off offset:88
	v_cmp_lt_u32_e64 s1, 11, v0
	s_waitcnt vmcnt(0)
	ds_store_b64 v44, v[41:42]
	s_waitcnt lgkmcnt(0)
	s_waitcnt_vscnt null, 0x0
	s_barrier
	buffer_gl0_inv
	s_and_saveexec_b32 s3, s1
	s_cbranch_execz .LBB83_78
; %bb.69:
	s_and_not1_b32 vcc_lo, exec_lo, s2
	s_cbranch_vccnz .LBB83_71
; %bb.70:
	scratch_load_b64 v[41:42], v45, off
	ds_load_b64 v[52:53], v44
	s_waitcnt vmcnt(0) lgkmcnt(0)
	v_mul_f64 v[41:42], v[41:42], v[52:53]
	s_cbranch_execz .LBB83_72
	s_branch .LBB83_73
.LBB83_71:
                                        ; implicit-def: $vgpr41_vgpr42
.LBB83_72:
	ds_load_b64 v[41:42], v44
.LBB83_73:
	s_and_saveexec_b32 s4, s0
	s_cbranch_execz .LBB83_77
; %bb.74:
	v_add_nc_u32_e32 v52, -12, v0
	s_movk_i32 s5, 0x100
	s_mov_b32 s0, 0
.LBB83_75:                              ; =>This Inner Loop Header: Depth=1
	scratch_load_b64 v[53:54], v51, off
	v_dual_mov_b32 v55, s5 :: v_dual_add_nc_u32 v52, -1, v52
	v_add_nc_u32_e32 v51, 8, v51
	s_add_i32 s5, s5, 8
	ds_load_b64 v[55:56], v55
	v_cmp_eq_u32_e32 vcc_lo, 0, v52
	s_or_b32 s0, vcc_lo, s0
	s_waitcnt vmcnt(0) lgkmcnt(0)
	v_fma_f64 v[41:42], v[53:54], v[55:56], v[41:42]
	s_and_not1_b32 exec_lo, exec_lo, s0
	s_cbranch_execnz .LBB83_75
; %bb.76:
	s_or_b32 exec_lo, exec_lo, s0
.LBB83_77:
	s_delay_alu instid0(SALU_CYCLE_1)
	s_or_b32 exec_lo, exec_lo, s4
	v_mov_b32_e32 v51, 0
	ds_load_b64 v[51:52], v51 offset:88
	s_waitcnt lgkmcnt(0)
	v_mul_f64 v[41:42], v[41:42], v[51:52]
	scratch_store_b64 off, v[41:42], off offset:88
.LBB83_78:
	s_or_b32 exec_lo, exec_lo, s3
	scratch_load_b64 v[41:42], off, off offset:80
	v_cmp_lt_u32_e64 s0, 10, v0
	s_waitcnt vmcnt(0)
	ds_store_b64 v44, v[41:42]
	s_waitcnt lgkmcnt(0)
	s_waitcnt_vscnt null, 0x0
	s_barrier
	buffer_gl0_inv
	s_and_saveexec_b32 s3, s0
	s_cbranch_execz .LBB83_88
; %bb.79:
	s_and_not1_b32 vcc_lo, exec_lo, s2
	s_cbranch_vccnz .LBB83_81
; %bb.80:
	scratch_load_b64 v[41:42], v45, off
	ds_load_b64 v[51:52], v44
	s_waitcnt vmcnt(0) lgkmcnt(0)
	v_mul_f64 v[41:42], v[41:42], v[51:52]
	s_cbranch_execz .LBB83_82
	s_branch .LBB83_83
.LBB83_81:
                                        ; implicit-def: $vgpr41_vgpr42
.LBB83_82:
	ds_load_b64 v[41:42], v44
.LBB83_83:
	s_and_saveexec_b32 s4, s1
	s_cbranch_execz .LBB83_87
; %bb.84:
	v_dual_mov_b32 v51, 0 :: v_dual_add_nc_u32 v52, -11, v0
	s_movk_i32 s5, 0xf8
	s_mov_b32 s1, 0
	s_delay_alu instid0(VALU_DEP_1)
	v_add_nc_u32_e32 v51, 0x58, v51
.LBB83_85:                              ; =>This Inner Loop Header: Depth=1
	scratch_load_b64 v[53:54], v51, off
	v_dual_mov_b32 v55, s5 :: v_dual_add_nc_u32 v52, -1, v52
	v_add_nc_u32_e32 v51, 8, v51
	s_add_i32 s5, s5, 8
	ds_load_b64 v[55:56], v55
	v_cmp_eq_u32_e32 vcc_lo, 0, v52
	s_or_b32 s1, vcc_lo, s1
	s_waitcnt vmcnt(0) lgkmcnt(0)
	v_fma_f64 v[41:42], v[53:54], v[55:56], v[41:42]
	s_and_not1_b32 exec_lo, exec_lo, s1
	s_cbranch_execnz .LBB83_85
; %bb.86:
	s_or_b32 exec_lo, exec_lo, s1
.LBB83_87:
	s_delay_alu instid0(SALU_CYCLE_1)
	s_or_b32 exec_lo, exec_lo, s4
	v_mov_b32_e32 v51, 0
	ds_load_b64 v[51:52], v51 offset:80
	s_waitcnt lgkmcnt(0)
	v_mul_f64 v[41:42], v[41:42], v[51:52]
	scratch_store_b64 off, v[41:42], off offset:80
.LBB83_88:
	s_or_b32 exec_lo, exec_lo, s3
	scratch_load_b64 v[41:42], off, off offset:72
	v_cmp_lt_u32_e64 s1, 9, v0
	s_waitcnt vmcnt(0)
	ds_store_b64 v44, v[41:42]
	s_waitcnt lgkmcnt(0)
	s_waitcnt_vscnt null, 0x0
	s_barrier
	buffer_gl0_inv
	s_and_saveexec_b32 s3, s1
	s_cbranch_execz .LBB83_98
; %bb.89:
	s_and_not1_b32 vcc_lo, exec_lo, s2
	s_cbranch_vccnz .LBB83_91
; %bb.90:
	scratch_load_b64 v[41:42], v45, off
	ds_load_b64 v[51:52], v44
	s_waitcnt vmcnt(0) lgkmcnt(0)
	v_mul_f64 v[41:42], v[41:42], v[51:52]
	s_cbranch_execz .LBB83_92
	s_branch .LBB83_93
.LBB83_91:
                                        ; implicit-def: $vgpr41_vgpr42
.LBB83_92:
	ds_load_b64 v[41:42], v44
.LBB83_93:
	s_and_saveexec_b32 s4, s0
	s_cbranch_execz .LBB83_97
; %bb.94:
	v_add_nc_u32_e32 v51, -10, v0
	s_movk_i32 s5, 0xf0
	s_mov_b32 s0, 0
.LBB83_95:                              ; =>This Inner Loop Header: Depth=1
	scratch_load_b64 v[52:53], v50, off
	v_dual_mov_b32 v54, s5 :: v_dual_add_nc_u32 v51, -1, v51
	v_add_nc_u32_e32 v50, 8, v50
	s_add_i32 s5, s5, 8
	ds_load_b64 v[54:55], v54
	v_cmp_eq_u32_e32 vcc_lo, 0, v51
	s_or_b32 s0, vcc_lo, s0
	s_waitcnt vmcnt(0) lgkmcnt(0)
	v_fma_f64 v[41:42], v[52:53], v[54:55], v[41:42]
	s_and_not1_b32 exec_lo, exec_lo, s0
	s_cbranch_execnz .LBB83_95
; %bb.96:
	s_or_b32 exec_lo, exec_lo, s0
.LBB83_97:
	s_delay_alu instid0(SALU_CYCLE_1)
	s_or_b32 exec_lo, exec_lo, s4
	v_mov_b32_e32 v50, 0
	ds_load_b64 v[50:51], v50 offset:72
	s_waitcnt lgkmcnt(0)
	v_mul_f64 v[41:42], v[41:42], v[50:51]
	scratch_store_b64 off, v[41:42], off offset:72
.LBB83_98:
	s_or_b32 exec_lo, exec_lo, s3
	scratch_load_b64 v[41:42], off, off offset:64
	v_cmp_lt_u32_e64 s0, 8, v0
	s_waitcnt vmcnt(0)
	ds_store_b64 v44, v[41:42]
	s_waitcnt lgkmcnt(0)
	s_waitcnt_vscnt null, 0x0
	s_barrier
	buffer_gl0_inv
	s_and_saveexec_b32 s3, s0
	s_cbranch_execz .LBB83_108
; %bb.99:
	s_and_not1_b32 vcc_lo, exec_lo, s2
	s_cbranch_vccnz .LBB83_101
; %bb.100:
	scratch_load_b64 v[41:42], v45, off
	ds_load_b64 v[50:51], v44
	s_waitcnt vmcnt(0) lgkmcnt(0)
	v_mul_f64 v[41:42], v[41:42], v[50:51]
	s_cbranch_execz .LBB83_102
	s_branch .LBB83_103
.LBB83_101:
                                        ; implicit-def: $vgpr41_vgpr42
.LBB83_102:
	ds_load_b64 v[41:42], v44
.LBB83_103:
	s_and_saveexec_b32 s4, s1
	s_cbranch_execz .LBB83_107
; %bb.104:
	v_dual_mov_b32 v50, 0 :: v_dual_add_nc_u32 v51, -9, v0
	s_movk_i32 s5, 0xe8
	s_mov_b32 s1, 0
	s_delay_alu instid0(VALU_DEP_1)
	v_add_nc_u32_e32 v50, 0x48, v50
.LBB83_105:                             ; =>This Inner Loop Header: Depth=1
	scratch_load_b64 v[52:53], v50, off
	v_dual_mov_b32 v54, s5 :: v_dual_add_nc_u32 v51, -1, v51
	v_add_nc_u32_e32 v50, 8, v50
	s_add_i32 s5, s5, 8
	ds_load_b64 v[54:55], v54
	v_cmp_eq_u32_e32 vcc_lo, 0, v51
	s_or_b32 s1, vcc_lo, s1
	s_waitcnt vmcnt(0) lgkmcnt(0)
	v_fma_f64 v[41:42], v[52:53], v[54:55], v[41:42]
	s_and_not1_b32 exec_lo, exec_lo, s1
	s_cbranch_execnz .LBB83_105
; %bb.106:
	s_or_b32 exec_lo, exec_lo, s1
.LBB83_107:
	s_delay_alu instid0(SALU_CYCLE_1)
	s_or_b32 exec_lo, exec_lo, s4
	v_mov_b32_e32 v50, 0
	ds_load_b64 v[50:51], v50 offset:64
	s_waitcnt lgkmcnt(0)
	v_mul_f64 v[41:42], v[41:42], v[50:51]
	scratch_store_b64 off, v[41:42], off offset:64
.LBB83_108:
	s_or_b32 exec_lo, exec_lo, s3
	scratch_load_b64 v[41:42], off, off offset:56
	v_cmp_lt_u32_e64 s1, 7, v0
	s_waitcnt vmcnt(0)
	ds_store_b64 v44, v[41:42]
	s_waitcnt lgkmcnt(0)
	s_waitcnt_vscnt null, 0x0
	s_barrier
	buffer_gl0_inv
	s_and_saveexec_b32 s3, s1
	s_cbranch_execz .LBB83_118
; %bb.109:
	s_and_not1_b32 vcc_lo, exec_lo, s2
	s_cbranch_vccnz .LBB83_111
; %bb.110:
	scratch_load_b64 v[41:42], v45, off
	ds_load_b64 v[50:51], v44
	s_waitcnt vmcnt(0) lgkmcnt(0)
	v_mul_f64 v[41:42], v[41:42], v[50:51]
	s_cbranch_execz .LBB83_112
	s_branch .LBB83_113
.LBB83_111:
                                        ; implicit-def: $vgpr41_vgpr42
.LBB83_112:
	ds_load_b64 v[41:42], v44
.LBB83_113:
	s_and_saveexec_b32 s4, s0
	s_cbranch_execz .LBB83_117
; %bb.114:
	v_add_nc_u32_e32 v50, -8, v0
	s_movk_i32 s5, 0xe0
	s_mov_b32 s0, 0
.LBB83_115:                             ; =>This Inner Loop Header: Depth=1
	scratch_load_b64 v[51:52], v49, off
	v_dual_mov_b32 v53, s5 :: v_dual_add_nc_u32 v50, -1, v50
	v_add_nc_u32_e32 v49, 8, v49
	s_add_i32 s5, s5, 8
	ds_load_b64 v[53:54], v53
	v_cmp_eq_u32_e32 vcc_lo, 0, v50
	s_or_b32 s0, vcc_lo, s0
	s_waitcnt vmcnt(0) lgkmcnt(0)
	v_fma_f64 v[41:42], v[51:52], v[53:54], v[41:42]
	s_and_not1_b32 exec_lo, exec_lo, s0
	s_cbranch_execnz .LBB83_115
; %bb.116:
	s_or_b32 exec_lo, exec_lo, s0
.LBB83_117:
	s_delay_alu instid0(SALU_CYCLE_1)
	s_or_b32 exec_lo, exec_lo, s4
	v_mov_b32_e32 v49, 0
	ds_load_b64 v[49:50], v49 offset:56
	s_waitcnt lgkmcnt(0)
	v_mul_f64 v[41:42], v[41:42], v[49:50]
	scratch_store_b64 off, v[41:42], off offset:56
.LBB83_118:
	s_or_b32 exec_lo, exec_lo, s3
	scratch_load_b64 v[41:42], off, off offset:48
	v_cmp_lt_u32_e64 s0, 6, v0
	s_waitcnt vmcnt(0)
	ds_store_b64 v44, v[41:42]
	s_waitcnt lgkmcnt(0)
	s_waitcnt_vscnt null, 0x0
	s_barrier
	buffer_gl0_inv
	s_and_saveexec_b32 s3, s0
	s_cbranch_execz .LBB83_128
; %bb.119:
	s_and_not1_b32 vcc_lo, exec_lo, s2
	s_cbranch_vccnz .LBB83_121
; %bb.120:
	scratch_load_b64 v[41:42], v45, off
	ds_load_b64 v[49:50], v44
	s_waitcnt vmcnt(0) lgkmcnt(0)
	v_mul_f64 v[41:42], v[41:42], v[49:50]
	s_cbranch_execz .LBB83_122
	s_branch .LBB83_123
.LBB83_121:
                                        ; implicit-def: $vgpr41_vgpr42
.LBB83_122:
	ds_load_b64 v[41:42], v44
.LBB83_123:
	s_and_saveexec_b32 s4, s1
	s_cbranch_execz .LBB83_127
; %bb.124:
	v_add_nc_u32_e64 v49, 0, 56
	v_add_nc_u32_e32 v50, -7, v0
	s_movk_i32 s5, 0xd8
	s_mov_b32 s1, 0
.LBB83_125:                             ; =>This Inner Loop Header: Depth=1
	scratch_load_b64 v[51:52], v49, off
	v_dual_mov_b32 v53, s5 :: v_dual_add_nc_u32 v50, -1, v50
	v_add_nc_u32_e32 v49, 8, v49
	s_add_i32 s5, s5, 8
	ds_load_b64 v[53:54], v53
	v_cmp_eq_u32_e32 vcc_lo, 0, v50
	s_or_b32 s1, vcc_lo, s1
	s_waitcnt vmcnt(0) lgkmcnt(0)
	v_fma_f64 v[41:42], v[51:52], v[53:54], v[41:42]
	s_and_not1_b32 exec_lo, exec_lo, s1
	s_cbranch_execnz .LBB83_125
; %bb.126:
	s_or_b32 exec_lo, exec_lo, s1
.LBB83_127:
	s_delay_alu instid0(SALU_CYCLE_1)
	s_or_b32 exec_lo, exec_lo, s4
	v_mov_b32_e32 v49, 0
	ds_load_b64 v[49:50], v49 offset:48
	s_waitcnt lgkmcnt(0)
	v_mul_f64 v[41:42], v[41:42], v[49:50]
	scratch_store_b64 off, v[41:42], off offset:48
.LBB83_128:
	s_or_b32 exec_lo, exec_lo, s3
	scratch_load_b64 v[41:42], off, off offset:40
	v_cmp_lt_u32_e64 s1, 5, v0
	s_waitcnt vmcnt(0)
	ds_store_b64 v44, v[41:42]
	s_waitcnt lgkmcnt(0)
	s_waitcnt_vscnt null, 0x0
	s_barrier
	buffer_gl0_inv
	s_and_saveexec_b32 s3, s1
	s_cbranch_execz .LBB83_138
; %bb.129:
	s_and_not1_b32 vcc_lo, exec_lo, s2
	s_cbranch_vccnz .LBB83_131
; %bb.130:
	scratch_load_b64 v[41:42], v45, off
	ds_load_b64 v[49:50], v44
	s_waitcnt vmcnt(0) lgkmcnt(0)
	v_mul_f64 v[41:42], v[41:42], v[49:50]
	s_cbranch_execz .LBB83_132
	s_branch .LBB83_133
.LBB83_131:
                                        ; implicit-def: $vgpr41_vgpr42
.LBB83_132:
	ds_load_b64 v[41:42], v44
.LBB83_133:
	s_and_saveexec_b32 s4, s0
	s_cbranch_execz .LBB83_137
; %bb.134:
	v_add_nc_u32_e32 v49, -6, v0
	s_movk_i32 s5, 0xd0
	s_mov_b32 s0, 0
.LBB83_135:                             ; =>This Inner Loop Header: Depth=1
	scratch_load_b64 v[50:51], v48, off
	v_dual_mov_b32 v52, s5 :: v_dual_add_nc_u32 v49, -1, v49
	v_add_nc_u32_e32 v48, 8, v48
	s_add_i32 s5, s5, 8
	ds_load_b64 v[52:53], v52
	v_cmp_eq_u32_e32 vcc_lo, 0, v49
	s_or_b32 s0, vcc_lo, s0
	s_waitcnt vmcnt(0) lgkmcnt(0)
	v_fma_f64 v[41:42], v[50:51], v[52:53], v[41:42]
	s_and_not1_b32 exec_lo, exec_lo, s0
	s_cbranch_execnz .LBB83_135
; %bb.136:
	s_or_b32 exec_lo, exec_lo, s0
.LBB83_137:
	s_delay_alu instid0(SALU_CYCLE_1)
	s_or_b32 exec_lo, exec_lo, s4
	v_mov_b32_e32 v48, 0
	ds_load_b64 v[48:49], v48 offset:40
	s_waitcnt lgkmcnt(0)
	v_mul_f64 v[41:42], v[41:42], v[48:49]
	scratch_store_b64 off, v[41:42], off offset:40
.LBB83_138:
	s_or_b32 exec_lo, exec_lo, s3
	scratch_load_b64 v[41:42], off, off offset:32
	v_cmp_lt_u32_e64 s0, 4, v0
	s_waitcnt vmcnt(0)
	ds_store_b64 v44, v[41:42]
	s_waitcnt lgkmcnt(0)
	s_waitcnt_vscnt null, 0x0
	s_barrier
	buffer_gl0_inv
	s_and_saveexec_b32 s3, s0
	s_cbranch_execz .LBB83_148
; %bb.139:
	s_and_not1_b32 vcc_lo, exec_lo, s2
	s_cbranch_vccnz .LBB83_141
; %bb.140:
	scratch_load_b64 v[41:42], v45, off
	ds_load_b64 v[48:49], v44
	s_waitcnt vmcnt(0) lgkmcnt(0)
	v_mul_f64 v[41:42], v[41:42], v[48:49]
	s_cbranch_execz .LBB83_142
	s_branch .LBB83_143
.LBB83_141:
                                        ; implicit-def: $vgpr41_vgpr42
.LBB83_142:
	ds_load_b64 v[41:42], v44
.LBB83_143:
	s_and_saveexec_b32 s4, s1
	s_cbranch_execz .LBB83_147
; %bb.144:
	v_add_nc_u32_e64 v48, 0, 40
	v_add_nc_u32_e32 v49, -5, v0
	s_movk_i32 s5, 0xc8
	s_mov_b32 s1, 0
.LBB83_145:                             ; =>This Inner Loop Header: Depth=1
	scratch_load_b64 v[50:51], v48, off
	v_dual_mov_b32 v52, s5 :: v_dual_add_nc_u32 v49, -1, v49
	v_add_nc_u32_e32 v48, 8, v48
	s_add_i32 s5, s5, 8
	ds_load_b64 v[52:53], v52
	v_cmp_eq_u32_e32 vcc_lo, 0, v49
	s_or_b32 s1, vcc_lo, s1
	s_waitcnt vmcnt(0) lgkmcnt(0)
	v_fma_f64 v[41:42], v[50:51], v[52:53], v[41:42]
	s_and_not1_b32 exec_lo, exec_lo, s1
	s_cbranch_execnz .LBB83_145
; %bb.146:
	s_or_b32 exec_lo, exec_lo, s1
.LBB83_147:
	s_delay_alu instid0(SALU_CYCLE_1)
	s_or_b32 exec_lo, exec_lo, s4
	v_mov_b32_e32 v48, 0
	ds_load_b64 v[48:49], v48 offset:32
	s_waitcnt lgkmcnt(0)
	v_mul_f64 v[41:42], v[41:42], v[48:49]
	scratch_store_b64 off, v[41:42], off offset:32
.LBB83_148:
	s_or_b32 exec_lo, exec_lo, s3
	scratch_load_b64 v[41:42], off, off offset:24
	v_cmp_lt_u32_e64 s1, 3, v0
	s_waitcnt vmcnt(0)
	ds_store_b64 v44, v[41:42]
	s_waitcnt lgkmcnt(0)
	s_waitcnt_vscnt null, 0x0
	s_barrier
	buffer_gl0_inv
	s_and_saveexec_b32 s3, s1
	s_cbranch_execz .LBB83_158
; %bb.149:
	s_and_not1_b32 vcc_lo, exec_lo, s2
	s_cbranch_vccnz .LBB83_151
; %bb.150:
	scratch_load_b64 v[41:42], v45, off
	ds_load_b64 v[48:49], v44
	s_waitcnt vmcnt(0) lgkmcnt(0)
	v_mul_f64 v[41:42], v[41:42], v[48:49]
	s_cbranch_execz .LBB83_152
	s_branch .LBB83_153
.LBB83_151:
                                        ; implicit-def: $vgpr41_vgpr42
.LBB83_152:
	ds_load_b64 v[41:42], v44
.LBB83_153:
	s_and_saveexec_b32 s4, s0
	s_cbranch_execz .LBB83_157
; %bb.154:
	v_add_nc_u32_e32 v48, -4, v0
	s_movk_i32 s5, 0xc0
	s_mov_b32 s0, 0
.LBB83_155:                             ; =>This Inner Loop Header: Depth=1
	scratch_load_b64 v[49:50], v47, off
	v_dual_mov_b32 v51, s5 :: v_dual_add_nc_u32 v48, -1, v48
	v_add_nc_u32_e32 v47, 8, v47
	s_add_i32 s5, s5, 8
	ds_load_b64 v[51:52], v51
	v_cmp_eq_u32_e32 vcc_lo, 0, v48
	s_or_b32 s0, vcc_lo, s0
	s_waitcnt vmcnt(0) lgkmcnt(0)
	v_fma_f64 v[41:42], v[49:50], v[51:52], v[41:42]
	s_and_not1_b32 exec_lo, exec_lo, s0
	s_cbranch_execnz .LBB83_155
; %bb.156:
	s_or_b32 exec_lo, exec_lo, s0
.LBB83_157:
	s_delay_alu instid0(SALU_CYCLE_1)
	s_or_b32 exec_lo, exec_lo, s4
	v_mov_b32_e32 v47, 0
	ds_load_b64 v[47:48], v47 offset:24
	s_waitcnt lgkmcnt(0)
	v_mul_f64 v[41:42], v[41:42], v[47:48]
	scratch_store_b64 off, v[41:42], off offset:24
.LBB83_158:
	s_or_b32 exec_lo, exec_lo, s3
	scratch_load_b64 v[41:42], off, off offset:16
	v_cmp_lt_u32_e64 s0, 2, v0
	s_waitcnt vmcnt(0)
	ds_store_b64 v44, v[41:42]
	s_waitcnt lgkmcnt(0)
	s_waitcnt_vscnt null, 0x0
	s_barrier
	buffer_gl0_inv
	s_and_saveexec_b32 s3, s0
	s_cbranch_execz .LBB83_168
; %bb.159:
	s_and_not1_b32 vcc_lo, exec_lo, s2
	s_cbranch_vccnz .LBB83_161
; %bb.160:
	scratch_load_b64 v[41:42], v45, off
	ds_load_b64 v[47:48], v44
	s_waitcnt vmcnt(0) lgkmcnt(0)
	v_mul_f64 v[41:42], v[41:42], v[47:48]
	s_cbranch_execz .LBB83_162
	s_branch .LBB83_163
.LBB83_161:
                                        ; implicit-def: $vgpr41_vgpr42
.LBB83_162:
	ds_load_b64 v[41:42], v44
.LBB83_163:
	s_and_saveexec_b32 s4, s1
	s_cbranch_execz .LBB83_167
; %bb.164:
	v_add_nc_u32_e64 v47, 0, 24
	v_add_nc_u32_e32 v48, -3, v0
	s_movk_i32 s5, 0xb8
	s_mov_b32 s1, 0
.LBB83_165:                             ; =>This Inner Loop Header: Depth=1
	scratch_load_b64 v[49:50], v47, off
	v_dual_mov_b32 v51, s5 :: v_dual_add_nc_u32 v48, -1, v48
	v_add_nc_u32_e32 v47, 8, v47
	s_add_i32 s5, s5, 8
	ds_load_b64 v[51:52], v51
	v_cmp_eq_u32_e32 vcc_lo, 0, v48
	s_or_b32 s1, vcc_lo, s1
	s_waitcnt vmcnt(0) lgkmcnt(0)
	v_fma_f64 v[41:42], v[49:50], v[51:52], v[41:42]
	s_and_not1_b32 exec_lo, exec_lo, s1
	s_cbranch_execnz .LBB83_165
; %bb.166:
	s_or_b32 exec_lo, exec_lo, s1
.LBB83_167:
	s_delay_alu instid0(SALU_CYCLE_1)
	s_or_b32 exec_lo, exec_lo, s4
	v_mov_b32_e32 v47, 0
	ds_load_b64 v[47:48], v47 offset:16
	s_waitcnt lgkmcnt(0)
	v_mul_f64 v[41:42], v[41:42], v[47:48]
	scratch_store_b64 off, v[41:42], off offset:16
.LBB83_168:
	s_or_b32 exec_lo, exec_lo, s3
	scratch_load_b64 v[41:42], off, off offset:8
	v_cmp_lt_u32_e64 s1, 1, v0
	s_waitcnt vmcnt(0)
	ds_store_b64 v44, v[41:42]
	s_waitcnt lgkmcnt(0)
	s_waitcnt_vscnt null, 0x0
	s_barrier
	buffer_gl0_inv
	s_and_saveexec_b32 s3, s1
	s_cbranch_execz .LBB83_178
; %bb.169:
	s_and_not1_b32 vcc_lo, exec_lo, s2
	s_cbranch_vccnz .LBB83_171
; %bb.170:
	scratch_load_b64 v[41:42], v45, off
	ds_load_b64 v[47:48], v44
	s_waitcnt vmcnt(0) lgkmcnt(0)
	v_mul_f64 v[41:42], v[41:42], v[47:48]
	s_cbranch_execz .LBB83_172
	s_branch .LBB83_173
.LBB83_171:
                                        ; implicit-def: $vgpr41_vgpr42
.LBB83_172:
	ds_load_b64 v[41:42], v44
.LBB83_173:
	s_and_saveexec_b32 s4, s0
	s_cbranch_execz .LBB83_177
; %bb.174:
	v_add_nc_u32_e32 v47, -2, v0
	s_movk_i32 s5, 0xb0
	s_mov_b32 s0, 0
.LBB83_175:                             ; =>This Inner Loop Header: Depth=1
	scratch_load_b64 v[48:49], v46, off
	v_dual_mov_b32 v50, s5 :: v_dual_add_nc_u32 v47, -1, v47
	v_add_nc_u32_e32 v46, 8, v46
	s_add_i32 s5, s5, 8
	ds_load_b64 v[50:51], v50
	v_cmp_eq_u32_e32 vcc_lo, 0, v47
	s_or_b32 s0, vcc_lo, s0
	s_waitcnt vmcnt(0) lgkmcnt(0)
	v_fma_f64 v[41:42], v[48:49], v[50:51], v[41:42]
	s_and_not1_b32 exec_lo, exec_lo, s0
	s_cbranch_execnz .LBB83_175
; %bb.176:
	s_or_b32 exec_lo, exec_lo, s0
.LBB83_177:
	s_delay_alu instid0(SALU_CYCLE_1)
	s_or_b32 exec_lo, exec_lo, s4
	v_mov_b32_e32 v46, 0
	ds_load_b64 v[46:47], v46 offset:8
	s_waitcnt lgkmcnt(0)
	v_mul_f64 v[41:42], v[41:42], v[46:47]
	scratch_store_b64 off, v[41:42], off offset:8
.LBB83_178:
	s_or_b32 exec_lo, exec_lo, s3
	scratch_load_b64 v[41:42], off, off
	s_mov_b32 s0, 0
	s_mov_b32 s3, exec_lo
	s_waitcnt vmcnt(0)
	ds_store_b64 v44, v[41:42]
	s_waitcnt lgkmcnt(0)
	s_waitcnt_vscnt null, 0x0
	s_barrier
	buffer_gl0_inv
	v_cmpx_ne_u32_e32 0, v0
	s_cbranch_execz .LBB83_188
; %bb.179:
	s_and_not1_b32 vcc_lo, exec_lo, s2
	s_cbranch_vccnz .LBB83_181
; %bb.180:
	scratch_load_b64 v[41:42], v45, off
	ds_load_b64 v[46:47], v44
	s_waitcnt vmcnt(0) lgkmcnt(0)
	v_mul_f64 v[41:42], v[41:42], v[46:47]
	s_cbranch_execz .LBB83_182
	s_branch .LBB83_183
.LBB83_181:
                                        ; implicit-def: $vgpr41_vgpr42
.LBB83_182:
	ds_load_b64 v[41:42], v44
.LBB83_183:
	s_and_saveexec_b32 s4, s1
	s_cbranch_execz .LBB83_187
; %bb.184:
	v_or_b32_e64 v46, 0, 8
	v_add_nc_u32_e32 v47, -1, v0
	s_movk_i32 s5, 0xa8
	s_mov_b32 s1, 0
.LBB83_185:                             ; =>This Inner Loop Header: Depth=1
	scratch_load_b64 v[48:49], v46, off
	v_dual_mov_b32 v50, s5 :: v_dual_add_nc_u32 v47, -1, v47
	v_add_nc_u32_e32 v46, 8, v46
	s_add_i32 s5, s5, 8
	ds_load_b64 v[50:51], v50
	v_cmp_eq_u32_e32 vcc_lo, 0, v47
	s_or_b32 s1, vcc_lo, s1
	s_waitcnt vmcnt(0) lgkmcnt(0)
	v_fma_f64 v[41:42], v[48:49], v[50:51], v[41:42]
	s_and_not1_b32 exec_lo, exec_lo, s1
	s_cbranch_execnz .LBB83_185
; %bb.186:
	s_or_b32 exec_lo, exec_lo, s1
.LBB83_187:
	s_delay_alu instid0(SALU_CYCLE_1)
	s_or_b32 exec_lo, exec_lo, s4
	v_mov_b32_e32 v46, 0
	ds_load_b64 v[46:47], v46
	s_waitcnt lgkmcnt(0)
	v_mul_f64 v[41:42], v[41:42], v[46:47]
	scratch_store_b64 off, v[41:42], off
.LBB83_188:
	s_or_b32 exec_lo, exec_lo, s3
.LBB83_189:
	s_delay_alu instid0(SALU_CYCLE_1)
	s_and_b32 vcc_lo, exec_lo, s0
	s_cbranch_vccz .LBB83_375
; %bb.190:
	scratch_load_b64 v[41:42], off, off offset:8
	v_cmp_eq_u32_e64 s0, 0, v0
	s_waitcnt vmcnt(0)
	ds_store_b64 v44, v[41:42]
	s_waitcnt lgkmcnt(0)
	s_waitcnt_vscnt null, 0x0
	s_barrier
	buffer_gl0_inv
	s_and_saveexec_b32 s1, s0
	s_cbranch_execz .LBB83_196
; %bb.191:
	s_and_b32 vcc_lo, exec_lo, s2
	s_cbranch_vccz .LBB83_193
; %bb.192:
	scratch_load_b64 v[41:42], v45, off
	ds_load_b64 v[46:47], v44
	s_waitcnt vmcnt(0) lgkmcnt(0)
	v_mul_f64 v[41:42], v[41:42], v[46:47]
	s_cbranch_execz .LBB83_194
	s_branch .LBB83_195
.LBB83_193:
                                        ; implicit-def: $vgpr41_vgpr42
.LBB83_194:
	ds_load_b64 v[41:42], v44
.LBB83_195:
	v_mov_b32_e32 v46, 0
	ds_load_b64 v[46:47], v46 offset:8
	s_waitcnt lgkmcnt(0)
	v_mul_f64 v[41:42], v[41:42], v[46:47]
	scratch_store_b64 off, v[41:42], off offset:8
.LBB83_196:
	s_or_b32 exec_lo, exec_lo, s1
	scratch_load_b64 v[41:42], off, off offset:16
	v_cndmask_b32_e64 v46, 0, 1, s2
	s_mov_b32 s1, exec_lo
	s_waitcnt vmcnt(0)
	ds_store_b64 v44, v[41:42]
	s_waitcnt lgkmcnt(0)
	s_waitcnt_vscnt null, 0x0
	s_barrier
	buffer_gl0_inv
	v_cmpx_gt_u32_e32 2, v0
	s_cbranch_execz .LBB83_204
; %bb.197:
	s_and_not1_b32 vcc_lo, exec_lo, s2
	s_cbranch_vccnz .LBB83_199
; %bb.198:
	scratch_load_b64 v[41:42], v45, off
	ds_load_b64 v[47:48], v44
	s_waitcnt vmcnt(0) lgkmcnt(0)
	v_mul_f64 v[41:42], v[41:42], v[47:48]
	s_cbranch_execz .LBB83_200
	s_branch .LBB83_201
.LBB83_199:
                                        ; implicit-def: $vgpr41_vgpr42
.LBB83_200:
	ds_load_b64 v[41:42], v44
.LBB83_201:
	s_and_saveexec_b32 s2, s0
	s_cbranch_execz .LBB83_203
; %bb.202:
	scratch_load_b64 v[47:48], v45, off offset:8
	ds_load_b64 v[49:50], v44 offset:8
	s_waitcnt vmcnt(0) lgkmcnt(0)
	v_fma_f64 v[41:42], v[47:48], v[49:50], v[41:42]
.LBB83_203:
	s_or_b32 exec_lo, exec_lo, s2
	v_mov_b32_e32 v47, 0
	ds_load_b64 v[47:48], v47 offset:16
	s_waitcnt lgkmcnt(0)
	v_mul_f64 v[41:42], v[41:42], v[47:48]
	scratch_store_b64 off, v[41:42], off offset:16
.LBB83_204:
	s_or_b32 exec_lo, exec_lo, s1
	scratch_load_b64 v[41:42], off, off offset:24
	s_mov_b32 s1, exec_lo
	s_waitcnt vmcnt(0)
	ds_store_b64 v44, v[41:42]
	s_waitcnt lgkmcnt(0)
	s_waitcnt_vscnt null, 0x0
	s_barrier
	buffer_gl0_inv
	v_cmpx_gt_u32_e32 3, v0
	s_cbranch_execz .LBB83_214
; %bb.205:
	v_cmp_ne_u32_e32 vcc_lo, 1, v46
	s_cbranch_vccnz .LBB83_207
; %bb.206:
	scratch_load_b64 v[41:42], v45, off
	ds_load_b64 v[47:48], v44
	s_waitcnt vmcnt(0) lgkmcnt(0)
	v_mul_f64 v[41:42], v[41:42], v[47:48]
	s_cbranch_execz .LBB83_208
	s_branch .LBB83_209
.LBB83_207:
                                        ; implicit-def: $vgpr41_vgpr42
.LBB83_208:
	ds_load_b64 v[41:42], v44
.LBB83_209:
	s_mov_b32 s2, exec_lo
	v_cmpx_ne_u32_e32 2, v0
	s_cbranch_execz .LBB83_213
; %bb.210:
	scratch_load_b64 v[47:48], v45, off offset:8
	ds_load_b64 v[49:50], v44 offset:8
	s_waitcnt vmcnt(0) lgkmcnt(0)
	v_fma_f64 v[41:42], v[47:48], v[49:50], v[41:42]
	s_and_saveexec_b32 s3, s0
	s_cbranch_execz .LBB83_212
; %bb.211:
	scratch_load_b64 v[47:48], off, off offset:16
	v_mov_b32_e32 v49, 0
	ds_load_b64 v[49:50], v49 offset:176
	s_waitcnt vmcnt(0) lgkmcnt(0)
	v_fma_f64 v[41:42], v[47:48], v[49:50], v[41:42]
.LBB83_212:
	s_or_b32 exec_lo, exec_lo, s3
.LBB83_213:
	s_delay_alu instid0(SALU_CYCLE_1)
	s_or_b32 exec_lo, exec_lo, s2
	v_mov_b32_e32 v47, 0
	ds_load_b64 v[47:48], v47 offset:24
	s_waitcnt lgkmcnt(0)
	v_mul_f64 v[41:42], v[41:42], v[47:48]
	scratch_store_b64 off, v[41:42], off offset:24
.LBB83_214:
	s_or_b32 exec_lo, exec_lo, s1
	scratch_load_b64 v[41:42], off, off offset:32
	s_mov_b32 s0, exec_lo
	s_waitcnt vmcnt(0)
	ds_store_b64 v44, v[41:42]
	s_waitcnt lgkmcnt(0)
	s_waitcnt_vscnt null, 0x0
	s_barrier
	buffer_gl0_inv
	v_cmpx_gt_u32_e32 4, v0
	s_cbranch_execz .LBB83_224
; %bb.215:
	v_cmp_ne_u32_e32 vcc_lo, 1, v46
	s_cbranch_vccnz .LBB83_217
; %bb.216:
	scratch_load_b64 v[41:42], v45, off
	ds_load_b64 v[47:48], v44
	s_waitcnt vmcnt(0) lgkmcnt(0)
	v_mul_f64 v[41:42], v[41:42], v[47:48]
	s_cbranch_execz .LBB83_218
	s_branch .LBB83_219
.LBB83_217:
                                        ; implicit-def: $vgpr41_vgpr42
.LBB83_218:
	ds_load_b64 v[41:42], v44
.LBB83_219:
	s_mov_b32 s1, exec_lo
	v_cmpx_ne_u32_e32 3, v0
	s_cbranch_execz .LBB83_223
; %bb.220:
	v_add_nc_u32_e32 v47, 0xa8, v43
	v_add3_u32 v48, 0, v43, 8
	v_mov_b32_e32 v49, v0
	s_mov_b32 s2, 0
.LBB83_221:                             ; =>This Inner Loop Header: Depth=1
	scratch_load_b64 v[50:51], v48, off
	ds_load_b64 v[52:53], v47
	v_add_nc_u32_e32 v49, 1, v49
	v_add_nc_u32_e32 v47, 8, v47
	v_add_nc_u32_e32 v48, 8, v48
	s_delay_alu instid0(VALU_DEP_3)
	v_cmp_lt_u32_e32 vcc_lo, 2, v49
	s_or_b32 s2, vcc_lo, s2
	s_waitcnt vmcnt(0) lgkmcnt(0)
	v_fma_f64 v[41:42], v[50:51], v[52:53], v[41:42]
	s_and_not1_b32 exec_lo, exec_lo, s2
	s_cbranch_execnz .LBB83_221
; %bb.222:
	s_or_b32 exec_lo, exec_lo, s2
.LBB83_223:
	s_delay_alu instid0(SALU_CYCLE_1)
	s_or_b32 exec_lo, exec_lo, s1
	v_mov_b32_e32 v47, 0
	ds_load_b64 v[47:48], v47 offset:32
	s_waitcnt lgkmcnt(0)
	v_mul_f64 v[41:42], v[41:42], v[47:48]
	scratch_store_b64 off, v[41:42], off offset:32
.LBB83_224:
	s_or_b32 exec_lo, exec_lo, s0
	scratch_load_b64 v[41:42], off, off offset:40
	s_mov_b32 s0, exec_lo
	s_waitcnt vmcnt(0)
	ds_store_b64 v44, v[41:42]
	s_waitcnt lgkmcnt(0)
	s_waitcnt_vscnt null, 0x0
	s_barrier
	buffer_gl0_inv
	v_cmpx_gt_u32_e32 5, v0
	s_cbranch_execz .LBB83_234
; %bb.225:
	v_cmp_ne_u32_e32 vcc_lo, 1, v46
	s_cbranch_vccnz .LBB83_227
; %bb.226:
	scratch_load_b64 v[41:42], v45, off
	ds_load_b64 v[47:48], v44
	s_waitcnt vmcnt(0) lgkmcnt(0)
	v_mul_f64 v[41:42], v[41:42], v[47:48]
	s_cbranch_execz .LBB83_228
	s_branch .LBB83_229
.LBB83_227:
                                        ; implicit-def: $vgpr41_vgpr42
.LBB83_228:
	ds_load_b64 v[41:42], v44
.LBB83_229:
	s_mov_b32 s1, exec_lo
	v_cmpx_ne_u32_e32 4, v0
	s_cbranch_execz .LBB83_233
; %bb.230:
	v_add_nc_u32_e32 v47, 0xa8, v43
	v_add3_u32 v48, 0, v43, 8
	v_mov_b32_e32 v49, v0
	s_mov_b32 s2, 0
.LBB83_231:                             ; =>This Inner Loop Header: Depth=1
	scratch_load_b64 v[50:51], v48, off
	ds_load_b64 v[52:53], v47
	v_add_nc_u32_e32 v49, 1, v49
	v_add_nc_u32_e32 v47, 8, v47
	v_add_nc_u32_e32 v48, 8, v48
	s_delay_alu instid0(VALU_DEP_3)
	v_cmp_lt_u32_e32 vcc_lo, 3, v49
	s_or_b32 s2, vcc_lo, s2
	s_waitcnt vmcnt(0) lgkmcnt(0)
	v_fma_f64 v[41:42], v[50:51], v[52:53], v[41:42]
	s_and_not1_b32 exec_lo, exec_lo, s2
	s_cbranch_execnz .LBB83_231
; %bb.232:
	s_or_b32 exec_lo, exec_lo, s2
.LBB83_233:
	s_delay_alu instid0(SALU_CYCLE_1)
	s_or_b32 exec_lo, exec_lo, s1
	v_mov_b32_e32 v47, 0
	ds_load_b64 v[47:48], v47 offset:40
	s_waitcnt lgkmcnt(0)
	v_mul_f64 v[41:42], v[41:42], v[47:48]
	scratch_store_b64 off, v[41:42], off offset:40
.LBB83_234:
	;; [unrolled: 58-line block ×14, first 2 shown]
	s_or_b32 exec_lo, exec_lo, s0
	scratch_load_b64 v[41:42], off, off offset:144
	v_cmp_gt_u32_e64 s0, 18, v0
	s_waitcnt vmcnt(0)
	ds_store_b64 v44, v[41:42]
	s_waitcnt lgkmcnt(0)
	s_waitcnt_vscnt null, 0x0
	s_barrier
	buffer_gl0_inv
	s_and_saveexec_b32 s1, s0
	s_cbranch_execz .LBB83_364
; %bb.355:
	v_cmp_ne_u32_e32 vcc_lo, 1, v46
	s_cbranch_vccnz .LBB83_357
; %bb.356:
	scratch_load_b64 v[41:42], v45, off
	ds_load_b64 v[47:48], v44
	s_waitcnt vmcnt(0) lgkmcnt(0)
	v_mul_f64 v[41:42], v[41:42], v[47:48]
	s_cbranch_execz .LBB83_358
	s_branch .LBB83_359
.LBB83_357:
                                        ; implicit-def: $vgpr41_vgpr42
.LBB83_358:
	ds_load_b64 v[41:42], v44
.LBB83_359:
	s_mov_b32 s2, exec_lo
	v_cmpx_ne_u32_e32 17, v0
	s_cbranch_execz .LBB83_363
; %bb.360:
	v_add_nc_u32_e32 v47, 0xa8, v43
	v_add3_u32 v48, 0, v43, 8
	v_mov_b32_e32 v49, v0
	s_mov_b32 s3, 0
.LBB83_361:                             ; =>This Inner Loop Header: Depth=1
	scratch_load_b64 v[50:51], v48, off
	ds_load_b64 v[52:53], v47
	v_add_nc_u32_e32 v49, 1, v49
	v_add_nc_u32_e32 v47, 8, v47
	;; [unrolled: 1-line block ×3, first 2 shown]
	s_delay_alu instid0(VALU_DEP_3)
	v_cmp_lt_u32_e32 vcc_lo, 16, v49
	s_or_b32 s3, vcc_lo, s3
	s_waitcnt vmcnt(0) lgkmcnt(0)
	v_fma_f64 v[41:42], v[50:51], v[52:53], v[41:42]
	s_and_not1_b32 exec_lo, exec_lo, s3
	s_cbranch_execnz .LBB83_361
; %bb.362:
	s_or_b32 exec_lo, exec_lo, s3
.LBB83_363:
	s_delay_alu instid0(SALU_CYCLE_1)
	s_or_b32 exec_lo, exec_lo, s2
	v_mov_b32_e32 v47, 0
	ds_load_b64 v[47:48], v47 offset:144
	s_waitcnt lgkmcnt(0)
	v_mul_f64 v[41:42], v[41:42], v[47:48]
	scratch_store_b64 off, v[41:42], off offset:144
.LBB83_364:
	s_or_b32 exec_lo, exec_lo, s1
	scratch_load_b64 v[41:42], off, off offset:152
	s_mov_b32 s1, exec_lo
	s_waitcnt vmcnt(0)
	ds_store_b64 v44, v[41:42]
	s_waitcnt lgkmcnt(0)
	s_waitcnt_vscnt null, 0x0
	s_barrier
	buffer_gl0_inv
	v_cmpx_ne_u32_e32 19, v0
	s_cbranch_execz .LBB83_374
; %bb.365:
	v_cmp_ne_u32_e32 vcc_lo, 1, v46
	s_cbranch_vccnz .LBB83_367
; %bb.366:
	scratch_load_b64 v[41:42], v45, off
	ds_load_b64 v[45:46], v44
	s_waitcnt vmcnt(0) lgkmcnt(0)
	v_mul_f64 v[41:42], v[41:42], v[45:46]
	s_cbranch_execz .LBB83_368
	s_branch .LBB83_369
.LBB83_367:
                                        ; implicit-def: $vgpr41_vgpr42
.LBB83_368:
	ds_load_b64 v[41:42], v44
.LBB83_369:
	s_and_saveexec_b32 s2, s0
	s_cbranch_execz .LBB83_373
; %bb.370:
	v_add_nc_u32_e32 v44, 0xa8, v43
	v_add3_u32 v43, 0, v43, 8
	s_mov_b32 s0, 0
.LBB83_371:                             ; =>This Inner Loop Header: Depth=1
	scratch_load_b64 v[45:46], v43, off
	ds_load_b64 v[47:48], v44
	v_add_nc_u32_e32 v0, 1, v0
	v_add_nc_u32_e32 v44, 8, v44
	;; [unrolled: 1-line block ×3, first 2 shown]
	s_delay_alu instid0(VALU_DEP_3)
	v_cmp_lt_u32_e32 vcc_lo, 17, v0
	s_or_b32 s0, vcc_lo, s0
	s_waitcnt vmcnt(0) lgkmcnt(0)
	v_fma_f64 v[41:42], v[45:46], v[47:48], v[41:42]
	s_and_not1_b32 exec_lo, exec_lo, s0
	s_cbranch_execnz .LBB83_371
; %bb.372:
	s_or_b32 exec_lo, exec_lo, s0
.LBB83_373:
	s_delay_alu instid0(SALU_CYCLE_1)
	s_or_b32 exec_lo, exec_lo, s2
	v_mov_b32_e32 v0, 0
	ds_load_b64 v[43:44], v0 offset:152
	s_waitcnt lgkmcnt(0)
	v_mul_f64 v[41:42], v[41:42], v[43:44]
	scratch_store_b64 off, v[41:42], off offset:152
.LBB83_374:
	s_or_b32 exec_lo, exec_lo, s1
.LBB83_375:
	s_clause 0x9
	scratch_load_b128 v[41:44], off, off
	scratch_load_b128 v[45:48], off, off offset:16
	scratch_load_b128 v[49:52], off, off offset:32
	;; [unrolled: 1-line block ×9, first 2 shown]
	s_waitcnt vmcnt(9)
	s_clause 0x1
	global_store_b64 v[1:2], v[41:42], off
	global_store_b64 v[9:10], v[43:44], off
	s_waitcnt vmcnt(8)
	s_clause 0x1
	global_store_b64 v[3:4], v[45:46], off
	global_store_b64 v[5:6], v[47:48], off
	;; [unrolled: 4-line block ×10, first 2 shown]
.LBB83_376:
	s_endpgm
	.section	.rodata,"a",@progbits
	.p2align	6, 0x0
	.amdhsa_kernel _ZN9rocsolver6v33100L18trti2_kernel_smallILi20EdPKPdEEv13rocblas_fill_17rocblas_diagonal_T1_iil
		.amdhsa_group_segment_fixed_size 320
		.amdhsa_private_segment_fixed_size 176
		.amdhsa_kernarg_size 32
		.amdhsa_user_sgpr_count 15
		.amdhsa_user_sgpr_dispatch_ptr 0
		.amdhsa_user_sgpr_queue_ptr 0
		.amdhsa_user_sgpr_kernarg_segment_ptr 1
		.amdhsa_user_sgpr_dispatch_id 0
		.amdhsa_user_sgpr_private_segment_size 0
		.amdhsa_wavefront_size32 1
		.amdhsa_uses_dynamic_stack 0
		.amdhsa_enable_private_segment 1
		.amdhsa_system_sgpr_workgroup_id_x 1
		.amdhsa_system_sgpr_workgroup_id_y 0
		.amdhsa_system_sgpr_workgroup_id_z 0
		.amdhsa_system_sgpr_workgroup_info 0
		.amdhsa_system_vgpr_workitem_id 0
		.amdhsa_next_free_vgpr 84
		.amdhsa_next_free_sgpr 16
		.amdhsa_reserve_vcc 1
		.amdhsa_float_round_mode_32 0
		.amdhsa_float_round_mode_16_64 0
		.amdhsa_float_denorm_mode_32 3
		.amdhsa_float_denorm_mode_16_64 3
		.amdhsa_dx10_clamp 1
		.amdhsa_ieee_mode 1
		.amdhsa_fp16_overflow 0
		.amdhsa_workgroup_processor_mode 1
		.amdhsa_memory_ordered 1
		.amdhsa_forward_progress 0
		.amdhsa_shared_vgpr_count 0
		.amdhsa_exception_fp_ieee_invalid_op 0
		.amdhsa_exception_fp_denorm_src 0
		.amdhsa_exception_fp_ieee_div_zero 0
		.amdhsa_exception_fp_ieee_overflow 0
		.amdhsa_exception_fp_ieee_underflow 0
		.amdhsa_exception_fp_ieee_inexact 0
		.amdhsa_exception_int_div_zero 0
	.end_amdhsa_kernel
	.section	.text._ZN9rocsolver6v33100L18trti2_kernel_smallILi20EdPKPdEEv13rocblas_fill_17rocblas_diagonal_T1_iil,"axG",@progbits,_ZN9rocsolver6v33100L18trti2_kernel_smallILi20EdPKPdEEv13rocblas_fill_17rocblas_diagonal_T1_iil,comdat
.Lfunc_end83:
	.size	_ZN9rocsolver6v33100L18trti2_kernel_smallILi20EdPKPdEEv13rocblas_fill_17rocblas_diagonal_T1_iil, .Lfunc_end83-_ZN9rocsolver6v33100L18trti2_kernel_smallILi20EdPKPdEEv13rocblas_fill_17rocblas_diagonal_T1_iil
                                        ; -- End function
	.section	.AMDGPU.csdata,"",@progbits
; Kernel info:
; codeLenInByte = 10560
; NumSgprs: 18
; NumVgprs: 84
; ScratchSize: 176
; MemoryBound: 0
; FloatMode: 240
; IeeeMode: 1
; LDSByteSize: 320 bytes/workgroup (compile time only)
; SGPRBlocks: 2
; VGPRBlocks: 10
; NumSGPRsForWavesPerEU: 18
; NumVGPRsForWavesPerEU: 84
; Occupancy: 16
; WaveLimiterHint : 1
; COMPUTE_PGM_RSRC2:SCRATCH_EN: 1
; COMPUTE_PGM_RSRC2:USER_SGPR: 15
; COMPUTE_PGM_RSRC2:TRAP_HANDLER: 0
; COMPUTE_PGM_RSRC2:TGID_X_EN: 1
; COMPUTE_PGM_RSRC2:TGID_Y_EN: 0
; COMPUTE_PGM_RSRC2:TGID_Z_EN: 0
; COMPUTE_PGM_RSRC2:TIDIG_COMP_CNT: 0
	.section	.text._ZN9rocsolver6v33100L18trti2_kernel_smallILi21EdPKPdEEv13rocblas_fill_17rocblas_diagonal_T1_iil,"axG",@progbits,_ZN9rocsolver6v33100L18trti2_kernel_smallILi21EdPKPdEEv13rocblas_fill_17rocblas_diagonal_T1_iil,comdat
	.globl	_ZN9rocsolver6v33100L18trti2_kernel_smallILi21EdPKPdEEv13rocblas_fill_17rocblas_diagonal_T1_iil ; -- Begin function _ZN9rocsolver6v33100L18trti2_kernel_smallILi21EdPKPdEEv13rocblas_fill_17rocblas_diagonal_T1_iil
	.p2align	8
	.type	_ZN9rocsolver6v33100L18trti2_kernel_smallILi21EdPKPdEEv13rocblas_fill_17rocblas_diagonal_T1_iil,@function
_ZN9rocsolver6v33100L18trti2_kernel_smallILi21EdPKPdEEv13rocblas_fill_17rocblas_diagonal_T1_iil: ; @_ZN9rocsolver6v33100L18trti2_kernel_smallILi21EdPKPdEEv13rocblas_fill_17rocblas_diagonal_T1_iil
; %bb.0:
	s_mov_b32 s2, exec_lo
	v_cmpx_gt_u32_e32 21, v0
	s_cbranch_execz .LBB84_396
; %bb.1:
	s_clause 0x1
	s_load_b64 s[4:5], s[0:1], 0x10
	s_load_b128 s[0:3], s[0:1], 0x0
	s_mov_b32 s6, s15
	s_ashr_i32 s7, s15, 31
	v_lshlrev_b32_e32 v45, 3, v0
	s_lshl_b64 s[6:7], s[6:7], 3
	s_waitcnt lgkmcnt(0)
	s_ashr_i32 s9, s4, 31
	s_add_u32 s2, s2, s6
	s_addc_u32 s3, s3, s7
	v_add3_u32 v1, s5, s5, v0
	s_load_b64 s[2:3], s[2:3], 0x0
	s_mov_b32 s8, s4
	s_mov_b32 s6, s5
	s_lshl_b64 s[8:9], s[8:9], 3
	v_add_nc_u32_e32 v3, s5, v1
	v_ashrrev_i32_e32 v2, 31, v1
	s_delay_alu instid0(VALU_DEP_2) | instskip(SKIP_1) | instid1(VALU_DEP_3)
	v_add_nc_u32_e32 v5, s5, v3
	v_ashrrev_i32_e32 v4, 31, v3
	v_lshlrev_b64 v[9:10], 3, v[1:2]
	s_delay_alu instid0(VALU_DEP_3) | instskip(NEXT) | instid1(VALU_DEP_3)
	v_add_nc_u32_e32 v7, s5, v5
	v_lshlrev_b64 v[11:12], 3, v[3:4]
	v_ashrrev_i32_e32 v6, 31, v5
	s_delay_alu instid0(VALU_DEP_3)
	v_add_nc_u32_e32 v15, s5, v7
	s_waitcnt lgkmcnt(0)
	s_add_u32 s2, s2, s8
	s_addc_u32 s3, s3, s9
	v_add_co_u32 v3, vcc_lo, s2, v9
	v_add_co_u32 v1, s4, s2, v45
	s_ashr_i32 s7, s5, 31
	v_add_co_ci_u32_e32 v4, vcc_lo, s3, v10, vcc_lo
	v_lshlrev_b64 v[13:14], 3, v[5:6]
	v_add_co_ci_u32_e64 v2, null, s3, 0, s4
	v_add_co_u32 v5, vcc_lo, s2, v11
	v_ashrrev_i32_e32 v8, 31, v7
	s_lshl_b64 s[6:7], s[6:7], 3
	v_add_co_ci_u32_e32 v6, vcc_lo, s3, v12, vcc_lo
	v_ashrrev_i32_e32 v16, 31, v15
	v_add_nc_u32_e32 v19, s5, v15
	v_add_co_u32 v9, vcc_lo, v1, s6
	v_add_co_ci_u32_e32 v10, vcc_lo, s7, v2, vcc_lo
	v_lshlrev_b64 v[17:18], 3, v[7:8]
	v_add_co_u32 v7, vcc_lo, s2, v13
	v_add_co_ci_u32_e32 v8, vcc_lo, s3, v14, vcc_lo
	v_lshlrev_b64 v[13:14], 3, v[15:16]
	v_add_nc_u32_e32 v15, s5, v19
	v_ashrrev_i32_e32 v20, 31, v19
	v_add_co_u32 v11, vcc_lo, s2, v17
	v_add_co_ci_u32_e32 v12, vcc_lo, s3, v18, vcc_lo
	s_delay_alu instid0(VALU_DEP_4) | instskip(NEXT) | instid1(VALU_DEP_4)
	v_ashrrev_i32_e32 v16, 31, v15
	v_lshlrev_b64 v[17:18], 3, v[19:20]
	v_add_nc_u32_e32 v21, s5, v15
	v_add_co_u32 v13, vcc_lo, s2, v13
	s_delay_alu instid0(VALU_DEP_4)
	v_lshlrev_b64 v[19:20], 3, v[15:16]
	v_add_co_ci_u32_e32 v14, vcc_lo, s3, v14, vcc_lo
	v_add_co_u32 v15, vcc_lo, s2, v17
	v_ashrrev_i32_e32 v22, 31, v21
	v_add_nc_u32_e32 v23, s5, v21
	v_add_co_ci_u32_e32 v16, vcc_lo, s3, v18, vcc_lo
	v_add_co_u32 v17, vcc_lo, s2, v19
	v_add_co_ci_u32_e32 v18, vcc_lo, s3, v20, vcc_lo
	v_lshlrev_b64 v[19:20], 3, v[21:22]
	v_add_nc_u32_e32 v21, s5, v23
	v_ashrrev_i32_e32 v24, 31, v23
	s_clause 0x8
	global_load_b64 v[46:47], v45, s[2:3]
	global_load_b64 v[48:49], v[9:10], off
	global_load_b64 v[50:51], v[3:4], off
	global_load_b64 v[52:53], v[5:6], off
	global_load_b64 v[54:55], v[7:8], off
	global_load_b64 v[56:57], v[11:12], off
	global_load_b64 v[58:59], v[13:14], off
	global_load_b64 v[60:61], v[15:16], off
	global_load_b64 v[62:63], v[17:18], off
	v_add_nc_u32_e32 v25, s5, v21
	v_ashrrev_i32_e32 v22, 31, v21
	v_lshlrev_b64 v[23:24], 3, v[23:24]
	v_add_co_u32 v19, vcc_lo, s2, v19
	s_delay_alu instid0(VALU_DEP_4) | instskip(NEXT) | instid1(VALU_DEP_4)
	v_ashrrev_i32_e32 v26, 31, v25
	v_lshlrev_b64 v[27:28], 3, v[21:22]
	v_add_nc_u32_e32 v31, s5, v25
	v_add_co_ci_u32_e32 v20, vcc_lo, s3, v20, vcc_lo
	v_add_co_u32 v21, vcc_lo, s2, v23
	v_lshlrev_b64 v[29:30], 3, v[25:26]
	v_add_co_ci_u32_e32 v22, vcc_lo, s3, v24, vcc_lo
	v_add_co_u32 v23, vcc_lo, s2, v27
	v_ashrrev_i32_e32 v32, 31, v31
	v_add_nc_u32_e32 v27, s5, v31
	v_add_co_ci_u32_e32 v24, vcc_lo, s3, v28, vcc_lo
	v_add_co_u32 v25, vcc_lo, s2, v29
	v_add_co_ci_u32_e32 v26, vcc_lo, s3, v30, vcc_lo
	v_lshlrev_b64 v[29:30], 3, v[31:32]
	v_add_nc_u32_e32 v31, s5, v27
	v_ashrrev_i32_e32 v28, 31, v27
	s_clause 0x3
	global_load_b64 v[64:65], v[19:20], off
	global_load_b64 v[66:67], v[21:22], off
	;; [unrolled: 1-line block ×4, first 2 shown]
	s_cmpk_lg_i32 s1, 0x84
	v_ashrrev_i32_e32 v32, 31, v31
	v_lshlrev_b64 v[33:34], 3, v[27:28]
	v_add_nc_u32_e32 v37, s5, v31
	v_add_co_u32 v27, vcc_lo, s2, v29
	s_delay_alu instid0(VALU_DEP_4)
	v_lshlrev_b64 v[35:36], 3, v[31:32]
	v_add_co_ci_u32_e32 v28, vcc_lo, s3, v30, vcc_lo
	v_add_co_u32 v29, vcc_lo, s2, v33
	v_ashrrev_i32_e32 v38, 31, v37
	v_add_nc_u32_e32 v33, s5, v37
	v_add_co_ci_u32_e32 v30, vcc_lo, s3, v34, vcc_lo
	v_add_co_u32 v31, vcc_lo, s2, v35
	v_add_co_ci_u32_e32 v32, vcc_lo, s3, v36, vcc_lo
	v_lshlrev_b64 v[35:36], 3, v[37:38]
	v_add_nc_u32_e32 v37, s5, v33
	v_ashrrev_i32_e32 v34, 31, v33
	s_clause 0x2
	global_load_b64 v[72:73], v[27:28], off
	global_load_b64 v[74:75], v[29:30], off
	;; [unrolled: 1-line block ×3, first 2 shown]
	v_add_nc_u32_e32 v41, s5, v37
	v_lshlrev_b64 v[39:40], 3, v[33:34]
	v_ashrrev_i32_e32 v38, 31, v37
	v_add_co_u32 v33, vcc_lo, s2, v35
	s_delay_alu instid0(VALU_DEP_4)
	v_add_nc_u32_e32 v43, s5, v41
	v_ashrrev_i32_e32 v42, 31, v41
	v_add_co_ci_u32_e32 v34, vcc_lo, s3, v36, vcc_lo
	v_lshlrev_b64 v[37:38], 3, v[37:38]
	v_add_co_u32 v35, vcc_lo, s2, v39
	v_ashrrev_i32_e32 v44, 31, v43
	v_add_co_ci_u32_e32 v36, vcc_lo, s3, v40, vcc_lo
	v_lshlrev_b64 v[39:40], 3, v[41:42]
	v_add_co_u32 v37, vcc_lo, s2, v37
	s_delay_alu instid0(VALU_DEP_4) | instskip(SKIP_1) | instid1(VALU_DEP_4)
	v_lshlrev_b64 v[41:42], 3, v[43:44]
	v_add_co_ci_u32_e32 v38, vcc_lo, s3, v38, vcc_lo
	v_add_co_u32 v39, vcc_lo, s2, v39
	v_add_co_ci_u32_e32 v40, vcc_lo, s3, v40, vcc_lo
	s_delay_alu instid0(VALU_DEP_4)
	v_add_co_u32 v41, vcc_lo, s2, v41
	v_add_co_ci_u32_e32 v42, vcc_lo, s3, v42, vcc_lo
	s_clause 0x4
	global_load_b64 v[78:79], v[33:34], off
	global_load_b64 v[80:81], v[35:36], off
	;; [unrolled: 1-line block ×5, first 2 shown]
	v_mov_b32_e32 v43, 0
	v_mov_b32_e32 v44, 0xbff00000
	s_cselect_b32 s2, -1, 0
	s_cmpk_eq_i32 s1, 0x84
	s_waitcnt vmcnt(19)
	scratch_store_b128 off, v[46:49], off
	s_waitcnt vmcnt(17)
	scratch_store_b128 off, v[50:53], off offset:16
	s_waitcnt vmcnt(15)
	scratch_store_b128 off, v[54:57], off offset:32
	;; [unrolled: 2-line block ×9, first 2 shown]
	s_waitcnt vmcnt(0)
	scratch_store_b64 off, v[86:87], off offset:160
	s_cbranch_scc1 .LBB84_3
; %bb.2:
	scratch_load_b64 v[43:44], v45, off
	s_waitcnt vmcnt(0)
	v_div_scale_f64 v[46:47], null, v[43:44], v[43:44], 1.0
	v_div_scale_f64 v[52:53], vcc_lo, 1.0, v[43:44], 1.0
	s_delay_alu instid0(VALU_DEP_2) | instskip(SKIP_2) | instid1(VALU_DEP_1)
	v_rcp_f64_e32 v[48:49], v[46:47]
	s_waitcnt_depctr 0xfff
	v_fma_f64 v[50:51], -v[46:47], v[48:49], 1.0
	v_fma_f64 v[48:49], v[48:49], v[50:51], v[48:49]
	s_delay_alu instid0(VALU_DEP_1) | instskip(NEXT) | instid1(VALU_DEP_1)
	v_fma_f64 v[50:51], -v[46:47], v[48:49], 1.0
	v_fma_f64 v[48:49], v[48:49], v[50:51], v[48:49]
	s_delay_alu instid0(VALU_DEP_1) | instskip(NEXT) | instid1(VALU_DEP_1)
	v_mul_f64 v[50:51], v[52:53], v[48:49]
	v_fma_f64 v[46:47], -v[46:47], v[50:51], v[52:53]
	s_delay_alu instid0(VALU_DEP_1) | instskip(NEXT) | instid1(VALU_DEP_1)
	v_div_fmas_f64 v[46:47], v[46:47], v[48:49], v[50:51]
	v_div_fixup_f64 v[43:44], v[46:47], v[43:44], 1.0
	scratch_store_b64 v45, v[43:44], off
	v_xor_b32_e32 v44, 0x80000000, v44
.LBB84_3:
	v_add_nc_u32_e32 v46, 0xb0, v45
	v_add_nc_u32_e32 v47, 0, v45
	s_cmpk_eq_i32 s0, 0x79
	s_mov_b32 s0, -1
	ds_store_b64 v45, v[43:44]
	s_cbranch_scc1 .LBB84_199
; %bb.4:
	scratch_load_b64 v[43:44], off, off offset:152
	v_cmp_eq_u32_e64 s1, 20, v0
	s_movk_i32 s0, 0x50
	s_movk_i32 s3, 0x60
	;; [unrolled: 1-line block ×5, first 2 shown]
	s_waitcnt vmcnt(0)
	ds_store_b64 v46, v[43:44]
	s_waitcnt lgkmcnt(0)
	s_waitcnt_vscnt null, 0x0
	s_barrier
	buffer_gl0_inv
	s_and_saveexec_b32 s7, s1
	s_cbranch_execz .LBB84_10
; %bb.5:
	s_and_b32 vcc_lo, exec_lo, s2
	s_cbranch_vccz .LBB84_7
; %bb.6:
	scratch_load_b64 v[43:44], v47, off
	ds_load_b64 v[48:49], v46
	s_waitcnt vmcnt(0) lgkmcnt(0)
	v_mul_f64 v[43:44], v[43:44], v[48:49]
	s_cbranch_execz .LBB84_8
	s_branch .LBB84_9
.LBB84_7:
                                        ; implicit-def: $vgpr43_vgpr44
.LBB84_8:
	ds_load_b64 v[43:44], v46
.LBB84_9:
	v_mov_b32_e32 v48, 0
	ds_load_b64 v[48:49], v48 offset:152
	s_waitcnt lgkmcnt(0)
	v_mul_f64 v[43:44], v[43:44], v[48:49]
	scratch_store_b64 off, v[43:44], off offset:152
.LBB84_10:
	s_or_b32 exec_lo, exec_lo, s7
	scratch_load_b64 v[43:44], off, off offset:144
	v_add_nc_u32_e64 v48, 0, 16
	v_add_nc_u32_e64 v49, 0, 32
	;; [unrolled: 1-line block ×9, first 2 shown]
	v_cmp_lt_u32_e64 s0, 18, v0
	s_waitcnt vmcnt(0)
	ds_store_b64 v46, v[43:44]
	s_waitcnt lgkmcnt(0)
	s_waitcnt_vscnt null, 0x0
	s_barrier
	buffer_gl0_inv
	s_and_saveexec_b32 s3, s0
	s_cbranch_execz .LBB84_18
; %bb.11:
	s_and_not1_b32 vcc_lo, exec_lo, s2
	s_cbranch_vccnz .LBB84_13
; %bb.12:
	scratch_load_b64 v[43:44], v47, off
	ds_load_b64 v[57:58], v46
	s_waitcnt vmcnt(0) lgkmcnt(0)
	v_mul_f64 v[43:44], v[43:44], v[57:58]
	s_cbranch_execz .LBB84_14
	s_branch .LBB84_15
.LBB84_13:
                                        ; implicit-def: $vgpr43_vgpr44
.LBB84_14:
	ds_load_b64 v[43:44], v46
.LBB84_15:
	s_and_saveexec_b32 s4, s1
	s_cbranch_execz .LBB84_17
; %bb.16:
	scratch_load_b64 v[57:58], off, off offset:152
	v_mov_b32_e32 v59, 0
	ds_load_b64 v[59:60], v59 offset:328
	s_waitcnt vmcnt(0) lgkmcnt(0)
	v_fma_f64 v[43:44], v[57:58], v[59:60], v[43:44]
.LBB84_17:
	s_or_b32 exec_lo, exec_lo, s4
	v_mov_b32_e32 v57, 0
	ds_load_b64 v[57:58], v57 offset:144
	s_waitcnt lgkmcnt(0)
	v_mul_f64 v[43:44], v[43:44], v[57:58]
	scratch_store_b64 off, v[43:44], off offset:144
.LBB84_18:
	s_or_b32 exec_lo, exec_lo, s3
	scratch_load_b64 v[43:44], off, off offset:136
	v_cmp_lt_u32_e64 s1, 17, v0
	s_waitcnt vmcnt(0)
	ds_store_b64 v46, v[43:44]
	s_waitcnt lgkmcnt(0)
	s_waitcnt_vscnt null, 0x0
	s_barrier
	buffer_gl0_inv
	s_and_saveexec_b32 s3, s1
	s_cbranch_execz .LBB84_28
; %bb.19:
	s_and_not1_b32 vcc_lo, exec_lo, s2
	s_cbranch_vccnz .LBB84_21
; %bb.20:
	scratch_load_b64 v[43:44], v47, off
	ds_load_b64 v[57:58], v46
	s_waitcnt vmcnt(0) lgkmcnt(0)
	v_mul_f64 v[43:44], v[43:44], v[57:58]
	s_cbranch_execz .LBB84_22
	s_branch .LBB84_23
.LBB84_21:
                                        ; implicit-def: $vgpr43_vgpr44
.LBB84_22:
	ds_load_b64 v[43:44], v46
.LBB84_23:
	s_and_saveexec_b32 s4, s0
	s_cbranch_execz .LBB84_27
; %bb.24:
	v_subrev_nc_u32_e32 v57, 18, v0
	s_movk_i32 s5, 0x140
	s_mov_b32 s0, 0
.LBB84_25:                              ; =>This Inner Loop Header: Depth=1
	scratch_load_b64 v[58:59], v56, off
	v_dual_mov_b32 v60, s5 :: v_dual_add_nc_u32 v57, -1, v57
	v_add_nc_u32_e32 v56, 8, v56
	s_add_i32 s5, s5, 8
	ds_load_b64 v[60:61], v60
	v_cmp_eq_u32_e32 vcc_lo, 0, v57
	s_or_b32 s0, vcc_lo, s0
	s_waitcnt vmcnt(0) lgkmcnt(0)
	v_fma_f64 v[43:44], v[58:59], v[60:61], v[43:44]
	s_and_not1_b32 exec_lo, exec_lo, s0
	s_cbranch_execnz .LBB84_25
; %bb.26:
	s_or_b32 exec_lo, exec_lo, s0
.LBB84_27:
	s_delay_alu instid0(SALU_CYCLE_1)
	s_or_b32 exec_lo, exec_lo, s4
	v_mov_b32_e32 v56, 0
	ds_load_b64 v[56:57], v56 offset:136
	s_waitcnt lgkmcnt(0)
	v_mul_f64 v[43:44], v[43:44], v[56:57]
	scratch_store_b64 off, v[43:44], off offset:136
.LBB84_28:
	s_or_b32 exec_lo, exec_lo, s3
	scratch_load_b64 v[43:44], off, off offset:128
	v_cmp_lt_u32_e64 s0, 16, v0
	s_waitcnt vmcnt(0)
	ds_store_b64 v46, v[43:44]
	s_waitcnt lgkmcnt(0)
	s_waitcnt_vscnt null, 0x0
	s_barrier
	buffer_gl0_inv
	s_and_saveexec_b32 s3, s0
	s_cbranch_execz .LBB84_38
; %bb.29:
	s_and_not1_b32 vcc_lo, exec_lo, s2
	s_cbranch_vccnz .LBB84_31
; %bb.30:
	scratch_load_b64 v[43:44], v47, off
	ds_load_b64 v[56:57], v46
	s_waitcnt vmcnt(0) lgkmcnt(0)
	v_mul_f64 v[43:44], v[43:44], v[56:57]
	s_cbranch_execz .LBB84_32
	s_branch .LBB84_33
.LBB84_31:
                                        ; implicit-def: $vgpr43_vgpr44
.LBB84_32:
	ds_load_b64 v[43:44], v46
.LBB84_33:
	s_and_saveexec_b32 s4, s1
	s_cbranch_execz .LBB84_37
; %bb.34:
	v_mov_b32_e32 v56, 0
	v_subrev_nc_u32_e32 v57, 17, v0
	s_movk_i32 s5, 0x138
	s_mov_b32 s1, 0
	s_delay_alu instid0(VALU_DEP_2)
	v_add_nc_u32_e32 v56, 0x88, v56
.LBB84_35:                              ; =>This Inner Loop Header: Depth=1
	scratch_load_b64 v[58:59], v56, off
	v_dual_mov_b32 v60, s5 :: v_dual_add_nc_u32 v57, -1, v57
	v_add_nc_u32_e32 v56, 8, v56
	s_add_i32 s5, s5, 8
	ds_load_b64 v[60:61], v60
	v_cmp_eq_u32_e32 vcc_lo, 0, v57
	s_or_b32 s1, vcc_lo, s1
	s_waitcnt vmcnt(0) lgkmcnt(0)
	v_fma_f64 v[43:44], v[58:59], v[60:61], v[43:44]
	s_and_not1_b32 exec_lo, exec_lo, s1
	s_cbranch_execnz .LBB84_35
; %bb.36:
	s_or_b32 exec_lo, exec_lo, s1
.LBB84_37:
	s_delay_alu instid0(SALU_CYCLE_1)
	s_or_b32 exec_lo, exec_lo, s4
	v_mov_b32_e32 v56, 0
	ds_load_b64 v[56:57], v56 offset:128
	s_waitcnt lgkmcnt(0)
	v_mul_f64 v[43:44], v[43:44], v[56:57]
	scratch_store_b64 off, v[43:44], off offset:128
.LBB84_38:
	s_or_b32 exec_lo, exec_lo, s3
	scratch_load_b64 v[43:44], off, off offset:120
	v_cmp_lt_u32_e64 s1, 15, v0
	s_waitcnt vmcnt(0)
	ds_store_b64 v46, v[43:44]
	s_waitcnt lgkmcnt(0)
	s_waitcnt_vscnt null, 0x0
	s_barrier
	buffer_gl0_inv
	s_and_saveexec_b32 s3, s1
	s_cbranch_execz .LBB84_48
; %bb.39:
	s_and_not1_b32 vcc_lo, exec_lo, s2
	s_cbranch_vccnz .LBB84_41
; %bb.40:
	scratch_load_b64 v[43:44], v47, off
	ds_load_b64 v[56:57], v46
	s_waitcnt vmcnt(0) lgkmcnt(0)
	v_mul_f64 v[43:44], v[43:44], v[56:57]
	s_cbranch_execz .LBB84_42
	s_branch .LBB84_43
.LBB84_41:
                                        ; implicit-def: $vgpr43_vgpr44
.LBB84_42:
	ds_load_b64 v[43:44], v46
.LBB84_43:
	s_and_saveexec_b32 s4, s0
	s_cbranch_execz .LBB84_47
; %bb.44:
	v_add_nc_u32_e32 v56, -16, v0
	s_movk_i32 s5, 0x130
	s_mov_b32 s0, 0
.LBB84_45:                              ; =>This Inner Loop Header: Depth=1
	scratch_load_b64 v[57:58], v55, off
	v_dual_mov_b32 v59, s5 :: v_dual_add_nc_u32 v56, -1, v56
	v_add_nc_u32_e32 v55, 8, v55
	s_add_i32 s5, s5, 8
	ds_load_b64 v[59:60], v59
	v_cmp_eq_u32_e32 vcc_lo, 0, v56
	s_or_b32 s0, vcc_lo, s0
	s_waitcnt vmcnt(0) lgkmcnt(0)
	v_fma_f64 v[43:44], v[57:58], v[59:60], v[43:44]
	s_and_not1_b32 exec_lo, exec_lo, s0
	s_cbranch_execnz .LBB84_45
; %bb.46:
	s_or_b32 exec_lo, exec_lo, s0
.LBB84_47:
	s_delay_alu instid0(SALU_CYCLE_1)
	s_or_b32 exec_lo, exec_lo, s4
	v_mov_b32_e32 v55, 0
	ds_load_b64 v[55:56], v55 offset:120
	s_waitcnt lgkmcnt(0)
	v_mul_f64 v[43:44], v[43:44], v[55:56]
	scratch_store_b64 off, v[43:44], off offset:120
.LBB84_48:
	s_or_b32 exec_lo, exec_lo, s3
	scratch_load_b64 v[43:44], off, off offset:112
	v_cmp_lt_u32_e64 s0, 14, v0
	s_waitcnt vmcnt(0)
	ds_store_b64 v46, v[43:44]
	s_waitcnt lgkmcnt(0)
	s_waitcnt_vscnt null, 0x0
	s_barrier
	buffer_gl0_inv
	s_and_saveexec_b32 s3, s0
	s_cbranch_execz .LBB84_58
; %bb.49:
	s_and_not1_b32 vcc_lo, exec_lo, s2
	s_cbranch_vccnz .LBB84_51
; %bb.50:
	scratch_load_b64 v[43:44], v47, off
	ds_load_b64 v[55:56], v46
	s_waitcnt vmcnt(0) lgkmcnt(0)
	v_mul_f64 v[43:44], v[43:44], v[55:56]
	s_cbranch_execz .LBB84_52
	s_branch .LBB84_53
.LBB84_51:
                                        ; implicit-def: $vgpr43_vgpr44
.LBB84_52:
	ds_load_b64 v[43:44], v46
.LBB84_53:
	s_and_saveexec_b32 s4, s1
	s_cbranch_execz .LBB84_57
; %bb.54:
	v_dual_mov_b32 v55, 0 :: v_dual_add_nc_u32 v56, -15, v0
	s_movk_i32 s5, 0x128
	s_mov_b32 s1, 0
	s_delay_alu instid0(VALU_DEP_1)
	v_add_nc_u32_e32 v55, 0x78, v55
.LBB84_55:                              ; =>This Inner Loop Header: Depth=1
	scratch_load_b64 v[57:58], v55, off
	v_dual_mov_b32 v59, s5 :: v_dual_add_nc_u32 v56, -1, v56
	v_add_nc_u32_e32 v55, 8, v55
	s_add_i32 s5, s5, 8
	ds_load_b64 v[59:60], v59
	v_cmp_eq_u32_e32 vcc_lo, 0, v56
	s_or_b32 s1, vcc_lo, s1
	s_waitcnt vmcnt(0) lgkmcnt(0)
	v_fma_f64 v[43:44], v[57:58], v[59:60], v[43:44]
	s_and_not1_b32 exec_lo, exec_lo, s1
	s_cbranch_execnz .LBB84_55
; %bb.56:
	s_or_b32 exec_lo, exec_lo, s1
.LBB84_57:
	s_delay_alu instid0(SALU_CYCLE_1)
	s_or_b32 exec_lo, exec_lo, s4
	v_mov_b32_e32 v55, 0
	ds_load_b64 v[55:56], v55 offset:112
	s_waitcnt lgkmcnt(0)
	v_mul_f64 v[43:44], v[43:44], v[55:56]
	scratch_store_b64 off, v[43:44], off offset:112
.LBB84_58:
	s_or_b32 exec_lo, exec_lo, s3
	scratch_load_b64 v[43:44], off, off offset:104
	v_cmp_lt_u32_e64 s1, 13, v0
	s_waitcnt vmcnt(0)
	ds_store_b64 v46, v[43:44]
	s_waitcnt lgkmcnt(0)
	s_waitcnt_vscnt null, 0x0
	s_barrier
	buffer_gl0_inv
	s_and_saveexec_b32 s3, s1
	s_cbranch_execz .LBB84_68
; %bb.59:
	s_and_not1_b32 vcc_lo, exec_lo, s2
	s_cbranch_vccnz .LBB84_61
; %bb.60:
	scratch_load_b64 v[43:44], v47, off
	ds_load_b64 v[55:56], v46
	s_waitcnt vmcnt(0) lgkmcnt(0)
	v_mul_f64 v[43:44], v[43:44], v[55:56]
	s_cbranch_execz .LBB84_62
	s_branch .LBB84_63
.LBB84_61:
                                        ; implicit-def: $vgpr43_vgpr44
.LBB84_62:
	ds_load_b64 v[43:44], v46
.LBB84_63:
	s_and_saveexec_b32 s4, s0
	s_cbranch_execz .LBB84_67
; %bb.64:
	v_add_nc_u32_e32 v55, -14, v0
	s_movk_i32 s5, 0x120
	s_mov_b32 s0, 0
.LBB84_65:                              ; =>This Inner Loop Header: Depth=1
	scratch_load_b64 v[56:57], v54, off
	v_dual_mov_b32 v58, s5 :: v_dual_add_nc_u32 v55, -1, v55
	v_add_nc_u32_e32 v54, 8, v54
	s_add_i32 s5, s5, 8
	ds_load_b64 v[58:59], v58
	v_cmp_eq_u32_e32 vcc_lo, 0, v55
	s_or_b32 s0, vcc_lo, s0
	s_waitcnt vmcnt(0) lgkmcnt(0)
	v_fma_f64 v[43:44], v[56:57], v[58:59], v[43:44]
	s_and_not1_b32 exec_lo, exec_lo, s0
	s_cbranch_execnz .LBB84_65
; %bb.66:
	s_or_b32 exec_lo, exec_lo, s0
.LBB84_67:
	s_delay_alu instid0(SALU_CYCLE_1)
	s_or_b32 exec_lo, exec_lo, s4
	v_mov_b32_e32 v54, 0
	ds_load_b64 v[54:55], v54 offset:104
	s_waitcnt lgkmcnt(0)
	v_mul_f64 v[43:44], v[43:44], v[54:55]
	scratch_store_b64 off, v[43:44], off offset:104
.LBB84_68:
	s_or_b32 exec_lo, exec_lo, s3
	scratch_load_b64 v[43:44], off, off offset:96
	v_cmp_lt_u32_e64 s0, 12, v0
	s_waitcnt vmcnt(0)
	ds_store_b64 v46, v[43:44]
	s_waitcnt lgkmcnt(0)
	s_waitcnt_vscnt null, 0x0
	s_barrier
	buffer_gl0_inv
	s_and_saveexec_b32 s3, s0
	s_cbranch_execz .LBB84_78
; %bb.69:
	s_and_not1_b32 vcc_lo, exec_lo, s2
	s_cbranch_vccnz .LBB84_71
; %bb.70:
	scratch_load_b64 v[43:44], v47, off
	ds_load_b64 v[54:55], v46
	s_waitcnt vmcnt(0) lgkmcnt(0)
	v_mul_f64 v[43:44], v[43:44], v[54:55]
	s_cbranch_execz .LBB84_72
	s_branch .LBB84_73
.LBB84_71:
                                        ; implicit-def: $vgpr43_vgpr44
.LBB84_72:
	ds_load_b64 v[43:44], v46
.LBB84_73:
	s_and_saveexec_b32 s4, s1
	s_cbranch_execz .LBB84_77
; %bb.74:
	v_dual_mov_b32 v54, 0 :: v_dual_add_nc_u32 v55, -13, v0
	s_movk_i32 s5, 0x118
	s_mov_b32 s1, 0
	s_delay_alu instid0(VALU_DEP_1)
	v_add_nc_u32_e32 v54, 0x68, v54
.LBB84_75:                              ; =>This Inner Loop Header: Depth=1
	scratch_load_b64 v[56:57], v54, off
	v_dual_mov_b32 v58, s5 :: v_dual_add_nc_u32 v55, -1, v55
	v_add_nc_u32_e32 v54, 8, v54
	s_add_i32 s5, s5, 8
	ds_load_b64 v[58:59], v58
	v_cmp_eq_u32_e32 vcc_lo, 0, v55
	s_or_b32 s1, vcc_lo, s1
	s_waitcnt vmcnt(0) lgkmcnt(0)
	v_fma_f64 v[43:44], v[56:57], v[58:59], v[43:44]
	s_and_not1_b32 exec_lo, exec_lo, s1
	s_cbranch_execnz .LBB84_75
; %bb.76:
	s_or_b32 exec_lo, exec_lo, s1
.LBB84_77:
	s_delay_alu instid0(SALU_CYCLE_1)
	s_or_b32 exec_lo, exec_lo, s4
	v_mov_b32_e32 v54, 0
	ds_load_b64 v[54:55], v54 offset:96
	s_waitcnt lgkmcnt(0)
	v_mul_f64 v[43:44], v[43:44], v[54:55]
	scratch_store_b64 off, v[43:44], off offset:96
.LBB84_78:
	s_or_b32 exec_lo, exec_lo, s3
	scratch_load_b64 v[43:44], off, off offset:88
	v_cmp_lt_u32_e64 s1, 11, v0
	s_waitcnt vmcnt(0)
	ds_store_b64 v46, v[43:44]
	s_waitcnt lgkmcnt(0)
	s_waitcnt_vscnt null, 0x0
	s_barrier
	buffer_gl0_inv
	s_and_saveexec_b32 s3, s1
	s_cbranch_execz .LBB84_88
; %bb.79:
	s_and_not1_b32 vcc_lo, exec_lo, s2
	s_cbranch_vccnz .LBB84_81
; %bb.80:
	scratch_load_b64 v[43:44], v47, off
	ds_load_b64 v[54:55], v46
	s_waitcnt vmcnt(0) lgkmcnt(0)
	v_mul_f64 v[43:44], v[43:44], v[54:55]
	s_cbranch_execz .LBB84_82
	s_branch .LBB84_83
.LBB84_81:
                                        ; implicit-def: $vgpr43_vgpr44
.LBB84_82:
	ds_load_b64 v[43:44], v46
.LBB84_83:
	s_and_saveexec_b32 s4, s0
	s_cbranch_execz .LBB84_87
; %bb.84:
	v_add_nc_u32_e32 v54, -12, v0
	s_movk_i32 s5, 0x110
	s_mov_b32 s0, 0
.LBB84_85:                              ; =>This Inner Loop Header: Depth=1
	scratch_load_b64 v[55:56], v53, off
	v_dual_mov_b32 v57, s5 :: v_dual_add_nc_u32 v54, -1, v54
	v_add_nc_u32_e32 v53, 8, v53
	s_add_i32 s5, s5, 8
	ds_load_b64 v[57:58], v57
	v_cmp_eq_u32_e32 vcc_lo, 0, v54
	s_or_b32 s0, vcc_lo, s0
	s_waitcnt vmcnt(0) lgkmcnt(0)
	v_fma_f64 v[43:44], v[55:56], v[57:58], v[43:44]
	s_and_not1_b32 exec_lo, exec_lo, s0
	s_cbranch_execnz .LBB84_85
; %bb.86:
	s_or_b32 exec_lo, exec_lo, s0
.LBB84_87:
	s_delay_alu instid0(SALU_CYCLE_1)
	s_or_b32 exec_lo, exec_lo, s4
	v_mov_b32_e32 v53, 0
	ds_load_b64 v[53:54], v53 offset:88
	s_waitcnt lgkmcnt(0)
	v_mul_f64 v[43:44], v[43:44], v[53:54]
	scratch_store_b64 off, v[43:44], off offset:88
.LBB84_88:
	s_or_b32 exec_lo, exec_lo, s3
	scratch_load_b64 v[43:44], off, off offset:80
	v_cmp_lt_u32_e64 s0, 10, v0
	s_waitcnt vmcnt(0)
	ds_store_b64 v46, v[43:44]
	s_waitcnt lgkmcnt(0)
	s_waitcnt_vscnt null, 0x0
	s_barrier
	buffer_gl0_inv
	s_and_saveexec_b32 s3, s0
	s_cbranch_execz .LBB84_98
; %bb.89:
	s_and_not1_b32 vcc_lo, exec_lo, s2
	s_cbranch_vccnz .LBB84_91
; %bb.90:
	scratch_load_b64 v[43:44], v47, off
	ds_load_b64 v[53:54], v46
	s_waitcnt vmcnt(0) lgkmcnt(0)
	v_mul_f64 v[43:44], v[43:44], v[53:54]
	s_cbranch_execz .LBB84_92
	s_branch .LBB84_93
.LBB84_91:
                                        ; implicit-def: $vgpr43_vgpr44
.LBB84_92:
	ds_load_b64 v[43:44], v46
.LBB84_93:
	s_and_saveexec_b32 s4, s1
	s_cbranch_execz .LBB84_97
; %bb.94:
	v_dual_mov_b32 v53, 0 :: v_dual_add_nc_u32 v54, -11, v0
	s_movk_i32 s5, 0x108
	s_mov_b32 s1, 0
	s_delay_alu instid0(VALU_DEP_1)
	v_add_nc_u32_e32 v53, 0x58, v53
.LBB84_95:                              ; =>This Inner Loop Header: Depth=1
	scratch_load_b64 v[55:56], v53, off
	v_dual_mov_b32 v57, s5 :: v_dual_add_nc_u32 v54, -1, v54
	v_add_nc_u32_e32 v53, 8, v53
	s_add_i32 s5, s5, 8
	ds_load_b64 v[57:58], v57
	v_cmp_eq_u32_e32 vcc_lo, 0, v54
	s_or_b32 s1, vcc_lo, s1
	s_waitcnt vmcnt(0) lgkmcnt(0)
	v_fma_f64 v[43:44], v[55:56], v[57:58], v[43:44]
	s_and_not1_b32 exec_lo, exec_lo, s1
	s_cbranch_execnz .LBB84_95
; %bb.96:
	s_or_b32 exec_lo, exec_lo, s1
.LBB84_97:
	s_delay_alu instid0(SALU_CYCLE_1)
	s_or_b32 exec_lo, exec_lo, s4
	v_mov_b32_e32 v53, 0
	ds_load_b64 v[53:54], v53 offset:80
	s_waitcnt lgkmcnt(0)
	v_mul_f64 v[43:44], v[43:44], v[53:54]
	scratch_store_b64 off, v[43:44], off offset:80
.LBB84_98:
	s_or_b32 exec_lo, exec_lo, s3
	scratch_load_b64 v[43:44], off, off offset:72
	v_cmp_lt_u32_e64 s1, 9, v0
	s_waitcnt vmcnt(0)
	ds_store_b64 v46, v[43:44]
	s_waitcnt lgkmcnt(0)
	s_waitcnt_vscnt null, 0x0
	s_barrier
	buffer_gl0_inv
	s_and_saveexec_b32 s3, s1
	s_cbranch_execz .LBB84_108
; %bb.99:
	s_and_not1_b32 vcc_lo, exec_lo, s2
	s_cbranch_vccnz .LBB84_101
; %bb.100:
	scratch_load_b64 v[43:44], v47, off
	ds_load_b64 v[53:54], v46
	s_waitcnt vmcnt(0) lgkmcnt(0)
	v_mul_f64 v[43:44], v[43:44], v[53:54]
	s_cbranch_execz .LBB84_102
	s_branch .LBB84_103
.LBB84_101:
                                        ; implicit-def: $vgpr43_vgpr44
.LBB84_102:
	ds_load_b64 v[43:44], v46
.LBB84_103:
	s_and_saveexec_b32 s4, s0
	s_cbranch_execz .LBB84_107
; %bb.104:
	v_add_nc_u32_e32 v53, -10, v0
	s_movk_i32 s5, 0x100
	s_mov_b32 s0, 0
.LBB84_105:                             ; =>This Inner Loop Header: Depth=1
	scratch_load_b64 v[54:55], v52, off
	v_dual_mov_b32 v56, s5 :: v_dual_add_nc_u32 v53, -1, v53
	v_add_nc_u32_e32 v52, 8, v52
	s_add_i32 s5, s5, 8
	ds_load_b64 v[56:57], v56
	v_cmp_eq_u32_e32 vcc_lo, 0, v53
	s_or_b32 s0, vcc_lo, s0
	s_waitcnt vmcnt(0) lgkmcnt(0)
	v_fma_f64 v[43:44], v[54:55], v[56:57], v[43:44]
	s_and_not1_b32 exec_lo, exec_lo, s0
	s_cbranch_execnz .LBB84_105
; %bb.106:
	s_or_b32 exec_lo, exec_lo, s0
.LBB84_107:
	s_delay_alu instid0(SALU_CYCLE_1)
	s_or_b32 exec_lo, exec_lo, s4
	v_mov_b32_e32 v52, 0
	ds_load_b64 v[52:53], v52 offset:72
	s_waitcnt lgkmcnt(0)
	v_mul_f64 v[43:44], v[43:44], v[52:53]
	scratch_store_b64 off, v[43:44], off offset:72
.LBB84_108:
	s_or_b32 exec_lo, exec_lo, s3
	scratch_load_b64 v[43:44], off, off offset:64
	v_cmp_lt_u32_e64 s0, 8, v0
	s_waitcnt vmcnt(0)
	ds_store_b64 v46, v[43:44]
	s_waitcnt lgkmcnt(0)
	s_waitcnt_vscnt null, 0x0
	s_barrier
	buffer_gl0_inv
	s_and_saveexec_b32 s3, s0
	s_cbranch_execz .LBB84_118
; %bb.109:
	s_and_not1_b32 vcc_lo, exec_lo, s2
	s_cbranch_vccnz .LBB84_111
; %bb.110:
	scratch_load_b64 v[43:44], v47, off
	ds_load_b64 v[52:53], v46
	s_waitcnt vmcnt(0) lgkmcnt(0)
	v_mul_f64 v[43:44], v[43:44], v[52:53]
	s_cbranch_execz .LBB84_112
	s_branch .LBB84_113
.LBB84_111:
                                        ; implicit-def: $vgpr43_vgpr44
.LBB84_112:
	ds_load_b64 v[43:44], v46
.LBB84_113:
	s_and_saveexec_b32 s4, s1
	s_cbranch_execz .LBB84_117
; %bb.114:
	v_dual_mov_b32 v52, 0 :: v_dual_add_nc_u32 v53, -9, v0
	s_movk_i32 s5, 0xf8
	s_mov_b32 s1, 0
	s_delay_alu instid0(VALU_DEP_1)
	v_add_nc_u32_e32 v52, 0x48, v52
.LBB84_115:                             ; =>This Inner Loop Header: Depth=1
	scratch_load_b64 v[54:55], v52, off
	v_dual_mov_b32 v56, s5 :: v_dual_add_nc_u32 v53, -1, v53
	v_add_nc_u32_e32 v52, 8, v52
	s_add_i32 s5, s5, 8
	ds_load_b64 v[56:57], v56
	v_cmp_eq_u32_e32 vcc_lo, 0, v53
	s_or_b32 s1, vcc_lo, s1
	s_waitcnt vmcnt(0) lgkmcnt(0)
	v_fma_f64 v[43:44], v[54:55], v[56:57], v[43:44]
	s_and_not1_b32 exec_lo, exec_lo, s1
	s_cbranch_execnz .LBB84_115
; %bb.116:
	s_or_b32 exec_lo, exec_lo, s1
.LBB84_117:
	s_delay_alu instid0(SALU_CYCLE_1)
	s_or_b32 exec_lo, exec_lo, s4
	v_mov_b32_e32 v52, 0
	ds_load_b64 v[52:53], v52 offset:64
	s_waitcnt lgkmcnt(0)
	v_mul_f64 v[43:44], v[43:44], v[52:53]
	scratch_store_b64 off, v[43:44], off offset:64
.LBB84_118:
	s_or_b32 exec_lo, exec_lo, s3
	scratch_load_b64 v[43:44], off, off offset:56
	v_cmp_lt_u32_e64 s1, 7, v0
	s_waitcnt vmcnt(0)
	ds_store_b64 v46, v[43:44]
	s_waitcnt lgkmcnt(0)
	s_waitcnt_vscnt null, 0x0
	s_barrier
	buffer_gl0_inv
	s_and_saveexec_b32 s3, s1
	s_cbranch_execz .LBB84_128
; %bb.119:
	s_and_not1_b32 vcc_lo, exec_lo, s2
	s_cbranch_vccnz .LBB84_121
; %bb.120:
	scratch_load_b64 v[43:44], v47, off
	ds_load_b64 v[52:53], v46
	s_waitcnt vmcnt(0) lgkmcnt(0)
	v_mul_f64 v[43:44], v[43:44], v[52:53]
	s_cbranch_execz .LBB84_122
	s_branch .LBB84_123
.LBB84_121:
                                        ; implicit-def: $vgpr43_vgpr44
.LBB84_122:
	ds_load_b64 v[43:44], v46
.LBB84_123:
	s_and_saveexec_b32 s4, s0
	s_cbranch_execz .LBB84_127
; %bb.124:
	v_add_nc_u32_e32 v52, -8, v0
	s_movk_i32 s5, 0xf0
	s_mov_b32 s0, 0
.LBB84_125:                             ; =>This Inner Loop Header: Depth=1
	scratch_load_b64 v[53:54], v51, off
	v_dual_mov_b32 v55, s5 :: v_dual_add_nc_u32 v52, -1, v52
	v_add_nc_u32_e32 v51, 8, v51
	s_add_i32 s5, s5, 8
	ds_load_b64 v[55:56], v55
	v_cmp_eq_u32_e32 vcc_lo, 0, v52
	s_or_b32 s0, vcc_lo, s0
	s_waitcnt vmcnt(0) lgkmcnt(0)
	v_fma_f64 v[43:44], v[53:54], v[55:56], v[43:44]
	s_and_not1_b32 exec_lo, exec_lo, s0
	s_cbranch_execnz .LBB84_125
; %bb.126:
	s_or_b32 exec_lo, exec_lo, s0
.LBB84_127:
	s_delay_alu instid0(SALU_CYCLE_1)
	s_or_b32 exec_lo, exec_lo, s4
	v_mov_b32_e32 v51, 0
	ds_load_b64 v[51:52], v51 offset:56
	s_waitcnt lgkmcnt(0)
	v_mul_f64 v[43:44], v[43:44], v[51:52]
	scratch_store_b64 off, v[43:44], off offset:56
.LBB84_128:
	s_or_b32 exec_lo, exec_lo, s3
	scratch_load_b64 v[43:44], off, off offset:48
	v_cmp_lt_u32_e64 s0, 6, v0
	s_waitcnt vmcnt(0)
	ds_store_b64 v46, v[43:44]
	s_waitcnt lgkmcnt(0)
	s_waitcnt_vscnt null, 0x0
	s_barrier
	buffer_gl0_inv
	s_and_saveexec_b32 s3, s0
	s_cbranch_execz .LBB84_138
; %bb.129:
	s_and_not1_b32 vcc_lo, exec_lo, s2
	s_cbranch_vccnz .LBB84_131
; %bb.130:
	scratch_load_b64 v[43:44], v47, off
	ds_load_b64 v[51:52], v46
	s_waitcnt vmcnt(0) lgkmcnt(0)
	v_mul_f64 v[43:44], v[43:44], v[51:52]
	s_cbranch_execz .LBB84_132
	s_branch .LBB84_133
.LBB84_131:
                                        ; implicit-def: $vgpr43_vgpr44
.LBB84_132:
	ds_load_b64 v[43:44], v46
.LBB84_133:
	s_and_saveexec_b32 s4, s1
	s_cbranch_execz .LBB84_137
; %bb.134:
	v_add_nc_u32_e64 v51, 0, 56
	v_add_nc_u32_e32 v52, -7, v0
	s_movk_i32 s5, 0xe8
	s_mov_b32 s1, 0
.LBB84_135:                             ; =>This Inner Loop Header: Depth=1
	scratch_load_b64 v[53:54], v51, off
	v_dual_mov_b32 v55, s5 :: v_dual_add_nc_u32 v52, -1, v52
	v_add_nc_u32_e32 v51, 8, v51
	s_add_i32 s5, s5, 8
	ds_load_b64 v[55:56], v55
	v_cmp_eq_u32_e32 vcc_lo, 0, v52
	s_or_b32 s1, vcc_lo, s1
	s_waitcnt vmcnt(0) lgkmcnt(0)
	v_fma_f64 v[43:44], v[53:54], v[55:56], v[43:44]
	s_and_not1_b32 exec_lo, exec_lo, s1
	s_cbranch_execnz .LBB84_135
; %bb.136:
	s_or_b32 exec_lo, exec_lo, s1
.LBB84_137:
	s_delay_alu instid0(SALU_CYCLE_1)
	s_or_b32 exec_lo, exec_lo, s4
	v_mov_b32_e32 v51, 0
	ds_load_b64 v[51:52], v51 offset:48
	s_waitcnt lgkmcnt(0)
	v_mul_f64 v[43:44], v[43:44], v[51:52]
	scratch_store_b64 off, v[43:44], off offset:48
.LBB84_138:
	s_or_b32 exec_lo, exec_lo, s3
	scratch_load_b64 v[43:44], off, off offset:40
	v_cmp_lt_u32_e64 s1, 5, v0
	s_waitcnt vmcnt(0)
	ds_store_b64 v46, v[43:44]
	s_waitcnt lgkmcnt(0)
	s_waitcnt_vscnt null, 0x0
	s_barrier
	buffer_gl0_inv
	s_and_saveexec_b32 s3, s1
	s_cbranch_execz .LBB84_148
; %bb.139:
	s_and_not1_b32 vcc_lo, exec_lo, s2
	s_cbranch_vccnz .LBB84_141
; %bb.140:
	scratch_load_b64 v[43:44], v47, off
	ds_load_b64 v[51:52], v46
	s_waitcnt vmcnt(0) lgkmcnt(0)
	v_mul_f64 v[43:44], v[43:44], v[51:52]
	s_cbranch_execz .LBB84_142
	s_branch .LBB84_143
.LBB84_141:
                                        ; implicit-def: $vgpr43_vgpr44
.LBB84_142:
	ds_load_b64 v[43:44], v46
.LBB84_143:
	s_and_saveexec_b32 s4, s0
	s_cbranch_execz .LBB84_147
; %bb.144:
	v_add_nc_u32_e32 v51, -6, v0
	s_movk_i32 s5, 0xe0
	s_mov_b32 s0, 0
.LBB84_145:                             ; =>This Inner Loop Header: Depth=1
	scratch_load_b64 v[52:53], v50, off
	v_dual_mov_b32 v54, s5 :: v_dual_add_nc_u32 v51, -1, v51
	v_add_nc_u32_e32 v50, 8, v50
	s_add_i32 s5, s5, 8
	ds_load_b64 v[54:55], v54
	v_cmp_eq_u32_e32 vcc_lo, 0, v51
	s_or_b32 s0, vcc_lo, s0
	s_waitcnt vmcnt(0) lgkmcnt(0)
	v_fma_f64 v[43:44], v[52:53], v[54:55], v[43:44]
	s_and_not1_b32 exec_lo, exec_lo, s0
	s_cbranch_execnz .LBB84_145
; %bb.146:
	s_or_b32 exec_lo, exec_lo, s0
.LBB84_147:
	s_delay_alu instid0(SALU_CYCLE_1)
	s_or_b32 exec_lo, exec_lo, s4
	v_mov_b32_e32 v50, 0
	ds_load_b64 v[50:51], v50 offset:40
	s_waitcnt lgkmcnt(0)
	v_mul_f64 v[43:44], v[43:44], v[50:51]
	scratch_store_b64 off, v[43:44], off offset:40
.LBB84_148:
	s_or_b32 exec_lo, exec_lo, s3
	scratch_load_b64 v[43:44], off, off offset:32
	v_cmp_lt_u32_e64 s0, 4, v0
	s_waitcnt vmcnt(0)
	ds_store_b64 v46, v[43:44]
	s_waitcnt lgkmcnt(0)
	s_waitcnt_vscnt null, 0x0
	s_barrier
	buffer_gl0_inv
	s_and_saveexec_b32 s3, s0
	s_cbranch_execz .LBB84_158
; %bb.149:
	s_and_not1_b32 vcc_lo, exec_lo, s2
	s_cbranch_vccnz .LBB84_151
; %bb.150:
	scratch_load_b64 v[43:44], v47, off
	ds_load_b64 v[50:51], v46
	s_waitcnt vmcnt(0) lgkmcnt(0)
	v_mul_f64 v[43:44], v[43:44], v[50:51]
	s_cbranch_execz .LBB84_152
	s_branch .LBB84_153
.LBB84_151:
                                        ; implicit-def: $vgpr43_vgpr44
.LBB84_152:
	ds_load_b64 v[43:44], v46
.LBB84_153:
	s_and_saveexec_b32 s4, s1
	s_cbranch_execz .LBB84_157
; %bb.154:
	v_add_nc_u32_e64 v50, 0, 40
	v_add_nc_u32_e32 v51, -5, v0
	s_movk_i32 s5, 0xd8
	s_mov_b32 s1, 0
.LBB84_155:                             ; =>This Inner Loop Header: Depth=1
	scratch_load_b64 v[52:53], v50, off
	v_dual_mov_b32 v54, s5 :: v_dual_add_nc_u32 v51, -1, v51
	v_add_nc_u32_e32 v50, 8, v50
	s_add_i32 s5, s5, 8
	ds_load_b64 v[54:55], v54
	v_cmp_eq_u32_e32 vcc_lo, 0, v51
	s_or_b32 s1, vcc_lo, s1
	s_waitcnt vmcnt(0) lgkmcnt(0)
	v_fma_f64 v[43:44], v[52:53], v[54:55], v[43:44]
	s_and_not1_b32 exec_lo, exec_lo, s1
	s_cbranch_execnz .LBB84_155
; %bb.156:
	s_or_b32 exec_lo, exec_lo, s1
.LBB84_157:
	s_delay_alu instid0(SALU_CYCLE_1)
	s_or_b32 exec_lo, exec_lo, s4
	v_mov_b32_e32 v50, 0
	ds_load_b64 v[50:51], v50 offset:32
	s_waitcnt lgkmcnt(0)
	v_mul_f64 v[43:44], v[43:44], v[50:51]
	scratch_store_b64 off, v[43:44], off offset:32
.LBB84_158:
	s_or_b32 exec_lo, exec_lo, s3
	scratch_load_b64 v[43:44], off, off offset:24
	v_cmp_lt_u32_e64 s1, 3, v0
	s_waitcnt vmcnt(0)
	ds_store_b64 v46, v[43:44]
	s_waitcnt lgkmcnt(0)
	s_waitcnt_vscnt null, 0x0
	s_barrier
	buffer_gl0_inv
	s_and_saveexec_b32 s3, s1
	s_cbranch_execz .LBB84_168
; %bb.159:
	s_and_not1_b32 vcc_lo, exec_lo, s2
	s_cbranch_vccnz .LBB84_161
; %bb.160:
	scratch_load_b64 v[43:44], v47, off
	ds_load_b64 v[50:51], v46
	s_waitcnt vmcnt(0) lgkmcnt(0)
	v_mul_f64 v[43:44], v[43:44], v[50:51]
	s_cbranch_execz .LBB84_162
	s_branch .LBB84_163
.LBB84_161:
                                        ; implicit-def: $vgpr43_vgpr44
.LBB84_162:
	ds_load_b64 v[43:44], v46
.LBB84_163:
	s_and_saveexec_b32 s4, s0
	s_cbranch_execz .LBB84_167
; %bb.164:
	v_add_nc_u32_e32 v50, -4, v0
	s_movk_i32 s5, 0xd0
	s_mov_b32 s0, 0
.LBB84_165:                             ; =>This Inner Loop Header: Depth=1
	scratch_load_b64 v[51:52], v49, off
	v_dual_mov_b32 v53, s5 :: v_dual_add_nc_u32 v50, -1, v50
	v_add_nc_u32_e32 v49, 8, v49
	s_add_i32 s5, s5, 8
	ds_load_b64 v[53:54], v53
	v_cmp_eq_u32_e32 vcc_lo, 0, v50
	s_or_b32 s0, vcc_lo, s0
	s_waitcnt vmcnt(0) lgkmcnt(0)
	v_fma_f64 v[43:44], v[51:52], v[53:54], v[43:44]
	s_and_not1_b32 exec_lo, exec_lo, s0
	s_cbranch_execnz .LBB84_165
; %bb.166:
	s_or_b32 exec_lo, exec_lo, s0
.LBB84_167:
	s_delay_alu instid0(SALU_CYCLE_1)
	s_or_b32 exec_lo, exec_lo, s4
	v_mov_b32_e32 v49, 0
	ds_load_b64 v[49:50], v49 offset:24
	s_waitcnt lgkmcnt(0)
	v_mul_f64 v[43:44], v[43:44], v[49:50]
	scratch_store_b64 off, v[43:44], off offset:24
.LBB84_168:
	s_or_b32 exec_lo, exec_lo, s3
	scratch_load_b64 v[43:44], off, off offset:16
	v_cmp_lt_u32_e64 s0, 2, v0
	s_waitcnt vmcnt(0)
	ds_store_b64 v46, v[43:44]
	s_waitcnt lgkmcnt(0)
	s_waitcnt_vscnt null, 0x0
	s_barrier
	buffer_gl0_inv
	s_and_saveexec_b32 s3, s0
	s_cbranch_execz .LBB84_178
; %bb.169:
	s_and_not1_b32 vcc_lo, exec_lo, s2
	s_cbranch_vccnz .LBB84_171
; %bb.170:
	scratch_load_b64 v[43:44], v47, off
	ds_load_b64 v[49:50], v46
	s_waitcnt vmcnt(0) lgkmcnt(0)
	v_mul_f64 v[43:44], v[43:44], v[49:50]
	s_cbranch_execz .LBB84_172
	s_branch .LBB84_173
.LBB84_171:
                                        ; implicit-def: $vgpr43_vgpr44
.LBB84_172:
	ds_load_b64 v[43:44], v46
.LBB84_173:
	s_and_saveexec_b32 s4, s1
	s_cbranch_execz .LBB84_177
; %bb.174:
	v_add_nc_u32_e64 v49, 0, 24
	v_add_nc_u32_e32 v50, -3, v0
	s_movk_i32 s5, 0xc8
	s_mov_b32 s1, 0
.LBB84_175:                             ; =>This Inner Loop Header: Depth=1
	scratch_load_b64 v[51:52], v49, off
	v_dual_mov_b32 v53, s5 :: v_dual_add_nc_u32 v50, -1, v50
	v_add_nc_u32_e32 v49, 8, v49
	s_add_i32 s5, s5, 8
	ds_load_b64 v[53:54], v53
	v_cmp_eq_u32_e32 vcc_lo, 0, v50
	s_or_b32 s1, vcc_lo, s1
	s_waitcnt vmcnt(0) lgkmcnt(0)
	v_fma_f64 v[43:44], v[51:52], v[53:54], v[43:44]
	s_and_not1_b32 exec_lo, exec_lo, s1
	s_cbranch_execnz .LBB84_175
; %bb.176:
	s_or_b32 exec_lo, exec_lo, s1
.LBB84_177:
	s_delay_alu instid0(SALU_CYCLE_1)
	s_or_b32 exec_lo, exec_lo, s4
	v_mov_b32_e32 v49, 0
	ds_load_b64 v[49:50], v49 offset:16
	s_waitcnt lgkmcnt(0)
	v_mul_f64 v[43:44], v[43:44], v[49:50]
	scratch_store_b64 off, v[43:44], off offset:16
.LBB84_178:
	s_or_b32 exec_lo, exec_lo, s3
	scratch_load_b64 v[43:44], off, off offset:8
	v_cmp_lt_u32_e64 s1, 1, v0
	s_waitcnt vmcnt(0)
	ds_store_b64 v46, v[43:44]
	s_waitcnt lgkmcnt(0)
	s_waitcnt_vscnt null, 0x0
	s_barrier
	buffer_gl0_inv
	s_and_saveexec_b32 s3, s1
	s_cbranch_execz .LBB84_188
; %bb.179:
	s_and_not1_b32 vcc_lo, exec_lo, s2
	s_cbranch_vccnz .LBB84_181
; %bb.180:
	scratch_load_b64 v[43:44], v47, off
	ds_load_b64 v[49:50], v46
	s_waitcnt vmcnt(0) lgkmcnt(0)
	v_mul_f64 v[43:44], v[43:44], v[49:50]
	s_cbranch_execz .LBB84_182
	s_branch .LBB84_183
.LBB84_181:
                                        ; implicit-def: $vgpr43_vgpr44
.LBB84_182:
	ds_load_b64 v[43:44], v46
.LBB84_183:
	s_and_saveexec_b32 s4, s0
	s_cbranch_execz .LBB84_187
; %bb.184:
	v_add_nc_u32_e32 v49, -2, v0
	s_movk_i32 s5, 0xc0
	s_mov_b32 s0, 0
.LBB84_185:                             ; =>This Inner Loop Header: Depth=1
	scratch_load_b64 v[50:51], v48, off
	v_dual_mov_b32 v52, s5 :: v_dual_add_nc_u32 v49, -1, v49
	v_add_nc_u32_e32 v48, 8, v48
	s_add_i32 s5, s5, 8
	ds_load_b64 v[52:53], v52
	v_cmp_eq_u32_e32 vcc_lo, 0, v49
	s_or_b32 s0, vcc_lo, s0
	s_waitcnt vmcnt(0) lgkmcnt(0)
	v_fma_f64 v[43:44], v[50:51], v[52:53], v[43:44]
	s_and_not1_b32 exec_lo, exec_lo, s0
	s_cbranch_execnz .LBB84_185
; %bb.186:
	s_or_b32 exec_lo, exec_lo, s0
.LBB84_187:
	s_delay_alu instid0(SALU_CYCLE_1)
	s_or_b32 exec_lo, exec_lo, s4
	v_mov_b32_e32 v48, 0
	ds_load_b64 v[48:49], v48 offset:8
	s_waitcnt lgkmcnt(0)
	v_mul_f64 v[43:44], v[43:44], v[48:49]
	scratch_store_b64 off, v[43:44], off offset:8
.LBB84_188:
	s_or_b32 exec_lo, exec_lo, s3
	scratch_load_b64 v[43:44], off, off
	s_mov_b32 s0, 0
	s_mov_b32 s3, exec_lo
	s_waitcnt vmcnt(0)
	ds_store_b64 v46, v[43:44]
	s_waitcnt lgkmcnt(0)
	s_waitcnt_vscnt null, 0x0
	s_barrier
	buffer_gl0_inv
	v_cmpx_ne_u32_e32 0, v0
	s_cbranch_execz .LBB84_198
; %bb.189:
	s_and_not1_b32 vcc_lo, exec_lo, s2
	s_cbranch_vccnz .LBB84_191
; %bb.190:
	scratch_load_b64 v[43:44], v47, off
	ds_load_b64 v[48:49], v46
	s_waitcnt vmcnt(0) lgkmcnt(0)
	v_mul_f64 v[43:44], v[43:44], v[48:49]
	s_cbranch_execz .LBB84_192
	s_branch .LBB84_193
.LBB84_191:
                                        ; implicit-def: $vgpr43_vgpr44
.LBB84_192:
	ds_load_b64 v[43:44], v46
.LBB84_193:
	s_and_saveexec_b32 s4, s1
	s_cbranch_execz .LBB84_197
; %bb.194:
	v_or_b32_e64 v48, 0, 8
	v_add_nc_u32_e32 v49, -1, v0
	s_movk_i32 s5, 0xb8
	s_mov_b32 s1, 0
.LBB84_195:                             ; =>This Inner Loop Header: Depth=1
	scratch_load_b64 v[50:51], v48, off
	v_dual_mov_b32 v52, s5 :: v_dual_add_nc_u32 v49, -1, v49
	v_add_nc_u32_e32 v48, 8, v48
	s_add_i32 s5, s5, 8
	ds_load_b64 v[52:53], v52
	v_cmp_eq_u32_e32 vcc_lo, 0, v49
	s_or_b32 s1, vcc_lo, s1
	s_waitcnt vmcnt(0) lgkmcnt(0)
	v_fma_f64 v[43:44], v[50:51], v[52:53], v[43:44]
	s_and_not1_b32 exec_lo, exec_lo, s1
	s_cbranch_execnz .LBB84_195
; %bb.196:
	s_or_b32 exec_lo, exec_lo, s1
.LBB84_197:
	s_delay_alu instid0(SALU_CYCLE_1)
	s_or_b32 exec_lo, exec_lo, s4
	v_mov_b32_e32 v48, 0
	ds_load_b64 v[48:49], v48
	s_waitcnt lgkmcnt(0)
	v_mul_f64 v[43:44], v[43:44], v[48:49]
	scratch_store_b64 off, v[43:44], off
.LBB84_198:
	s_or_b32 exec_lo, exec_lo, s3
.LBB84_199:
	s_delay_alu instid0(SALU_CYCLE_1)
	s_and_b32 vcc_lo, exec_lo, s0
	s_cbranch_vccz .LBB84_395
; %bb.200:
	scratch_load_b64 v[43:44], off, off offset:8
	v_cmp_eq_u32_e64 s0, 0, v0
	s_waitcnt vmcnt(0)
	ds_store_b64 v46, v[43:44]
	s_waitcnt lgkmcnt(0)
	s_waitcnt_vscnt null, 0x0
	s_barrier
	buffer_gl0_inv
	s_and_saveexec_b32 s1, s0
	s_cbranch_execz .LBB84_206
; %bb.201:
	s_and_b32 vcc_lo, exec_lo, s2
	s_cbranch_vccz .LBB84_203
; %bb.202:
	scratch_load_b64 v[43:44], v47, off
	ds_load_b64 v[48:49], v46
	s_waitcnt vmcnt(0) lgkmcnt(0)
	v_mul_f64 v[43:44], v[43:44], v[48:49]
	s_cbranch_execz .LBB84_204
	s_branch .LBB84_205
.LBB84_203:
                                        ; implicit-def: $vgpr43_vgpr44
.LBB84_204:
	ds_load_b64 v[43:44], v46
.LBB84_205:
	v_mov_b32_e32 v48, 0
	ds_load_b64 v[48:49], v48 offset:8
	s_waitcnt lgkmcnt(0)
	v_mul_f64 v[43:44], v[43:44], v[48:49]
	scratch_store_b64 off, v[43:44], off offset:8
.LBB84_206:
	s_or_b32 exec_lo, exec_lo, s1
	scratch_load_b64 v[43:44], off, off offset:16
	v_cndmask_b32_e64 v48, 0, 1, s2
	s_mov_b32 s1, exec_lo
	s_waitcnt vmcnt(0)
	ds_store_b64 v46, v[43:44]
	s_waitcnt lgkmcnt(0)
	s_waitcnt_vscnt null, 0x0
	s_barrier
	buffer_gl0_inv
	v_cmpx_gt_u32_e32 2, v0
	s_cbranch_execz .LBB84_214
; %bb.207:
	s_and_not1_b32 vcc_lo, exec_lo, s2
	s_cbranch_vccnz .LBB84_209
; %bb.208:
	scratch_load_b64 v[43:44], v47, off
	ds_load_b64 v[49:50], v46
	s_waitcnt vmcnt(0) lgkmcnt(0)
	v_mul_f64 v[43:44], v[43:44], v[49:50]
	s_cbranch_execz .LBB84_210
	s_branch .LBB84_211
.LBB84_209:
                                        ; implicit-def: $vgpr43_vgpr44
.LBB84_210:
	ds_load_b64 v[43:44], v46
.LBB84_211:
	s_and_saveexec_b32 s2, s0
	s_cbranch_execz .LBB84_213
; %bb.212:
	scratch_load_b64 v[49:50], v47, off offset:8
	ds_load_b64 v[51:52], v46 offset:8
	s_waitcnt vmcnt(0) lgkmcnt(0)
	v_fma_f64 v[43:44], v[49:50], v[51:52], v[43:44]
.LBB84_213:
	s_or_b32 exec_lo, exec_lo, s2
	v_mov_b32_e32 v49, 0
	ds_load_b64 v[49:50], v49 offset:16
	s_waitcnt lgkmcnt(0)
	v_mul_f64 v[43:44], v[43:44], v[49:50]
	scratch_store_b64 off, v[43:44], off offset:16
.LBB84_214:
	s_or_b32 exec_lo, exec_lo, s1
	scratch_load_b64 v[43:44], off, off offset:24
	s_mov_b32 s1, exec_lo
	s_waitcnt vmcnt(0)
	ds_store_b64 v46, v[43:44]
	s_waitcnt lgkmcnt(0)
	s_waitcnt_vscnt null, 0x0
	s_barrier
	buffer_gl0_inv
	v_cmpx_gt_u32_e32 3, v0
	s_cbranch_execz .LBB84_224
; %bb.215:
	v_cmp_ne_u32_e32 vcc_lo, 1, v48
	s_cbranch_vccnz .LBB84_217
; %bb.216:
	scratch_load_b64 v[43:44], v47, off
	ds_load_b64 v[49:50], v46
	s_waitcnt vmcnt(0) lgkmcnt(0)
	v_mul_f64 v[43:44], v[43:44], v[49:50]
	s_cbranch_execz .LBB84_218
	s_branch .LBB84_219
.LBB84_217:
                                        ; implicit-def: $vgpr43_vgpr44
.LBB84_218:
	ds_load_b64 v[43:44], v46
.LBB84_219:
	s_mov_b32 s2, exec_lo
	v_cmpx_ne_u32_e32 2, v0
	s_cbranch_execz .LBB84_223
; %bb.220:
	scratch_load_b64 v[49:50], v47, off offset:8
	ds_load_b64 v[51:52], v46 offset:8
	s_waitcnt vmcnt(0) lgkmcnt(0)
	v_fma_f64 v[43:44], v[49:50], v[51:52], v[43:44]
	s_and_saveexec_b32 s3, s0
	s_cbranch_execz .LBB84_222
; %bb.221:
	scratch_load_b64 v[49:50], off, off offset:16
	v_mov_b32_e32 v51, 0
	ds_load_b64 v[51:52], v51 offset:192
	s_waitcnt vmcnt(0) lgkmcnt(0)
	v_fma_f64 v[43:44], v[49:50], v[51:52], v[43:44]
.LBB84_222:
	s_or_b32 exec_lo, exec_lo, s3
.LBB84_223:
	s_delay_alu instid0(SALU_CYCLE_1)
	s_or_b32 exec_lo, exec_lo, s2
	v_mov_b32_e32 v49, 0
	ds_load_b64 v[49:50], v49 offset:24
	s_waitcnt lgkmcnt(0)
	v_mul_f64 v[43:44], v[43:44], v[49:50]
	scratch_store_b64 off, v[43:44], off offset:24
.LBB84_224:
	s_or_b32 exec_lo, exec_lo, s1
	scratch_load_b64 v[43:44], off, off offset:32
	s_mov_b32 s0, exec_lo
	s_waitcnt vmcnt(0)
	ds_store_b64 v46, v[43:44]
	s_waitcnt lgkmcnt(0)
	s_waitcnt_vscnt null, 0x0
	s_barrier
	buffer_gl0_inv
	v_cmpx_gt_u32_e32 4, v0
	s_cbranch_execz .LBB84_234
; %bb.225:
	v_cmp_ne_u32_e32 vcc_lo, 1, v48
	s_cbranch_vccnz .LBB84_227
; %bb.226:
	scratch_load_b64 v[43:44], v47, off
	ds_load_b64 v[49:50], v46
	s_waitcnt vmcnt(0) lgkmcnt(0)
	v_mul_f64 v[43:44], v[43:44], v[49:50]
	s_cbranch_execz .LBB84_228
	s_branch .LBB84_229
.LBB84_227:
                                        ; implicit-def: $vgpr43_vgpr44
.LBB84_228:
	ds_load_b64 v[43:44], v46
.LBB84_229:
	s_mov_b32 s1, exec_lo
	v_cmpx_ne_u32_e32 3, v0
	s_cbranch_execz .LBB84_233
; %bb.230:
	v_add_nc_u32_e32 v49, 0xb8, v45
	v_add3_u32 v50, 0, v45, 8
	v_mov_b32_e32 v51, v0
	s_mov_b32 s2, 0
.LBB84_231:                             ; =>This Inner Loop Header: Depth=1
	scratch_load_b64 v[52:53], v50, off
	ds_load_b64 v[54:55], v49
	v_add_nc_u32_e32 v51, 1, v51
	v_add_nc_u32_e32 v49, 8, v49
	v_add_nc_u32_e32 v50, 8, v50
	s_delay_alu instid0(VALU_DEP_3)
	v_cmp_lt_u32_e32 vcc_lo, 2, v51
	s_or_b32 s2, vcc_lo, s2
	s_waitcnt vmcnt(0) lgkmcnt(0)
	v_fma_f64 v[43:44], v[52:53], v[54:55], v[43:44]
	s_and_not1_b32 exec_lo, exec_lo, s2
	s_cbranch_execnz .LBB84_231
; %bb.232:
	s_or_b32 exec_lo, exec_lo, s2
.LBB84_233:
	s_delay_alu instid0(SALU_CYCLE_1)
	s_or_b32 exec_lo, exec_lo, s1
	v_mov_b32_e32 v49, 0
	ds_load_b64 v[49:50], v49 offset:32
	s_waitcnt lgkmcnt(0)
	v_mul_f64 v[43:44], v[43:44], v[49:50]
	scratch_store_b64 off, v[43:44], off offset:32
.LBB84_234:
	s_or_b32 exec_lo, exec_lo, s0
	scratch_load_b64 v[43:44], off, off offset:40
	s_mov_b32 s0, exec_lo
	s_waitcnt vmcnt(0)
	ds_store_b64 v46, v[43:44]
	s_waitcnt lgkmcnt(0)
	s_waitcnt_vscnt null, 0x0
	s_barrier
	buffer_gl0_inv
	v_cmpx_gt_u32_e32 5, v0
	s_cbranch_execz .LBB84_244
; %bb.235:
	v_cmp_ne_u32_e32 vcc_lo, 1, v48
	s_cbranch_vccnz .LBB84_237
; %bb.236:
	scratch_load_b64 v[43:44], v47, off
	ds_load_b64 v[49:50], v46
	s_waitcnt vmcnt(0) lgkmcnt(0)
	v_mul_f64 v[43:44], v[43:44], v[49:50]
	s_cbranch_execz .LBB84_238
	s_branch .LBB84_239
.LBB84_237:
                                        ; implicit-def: $vgpr43_vgpr44
.LBB84_238:
	ds_load_b64 v[43:44], v46
.LBB84_239:
	s_mov_b32 s1, exec_lo
	v_cmpx_ne_u32_e32 4, v0
	s_cbranch_execz .LBB84_243
; %bb.240:
	v_add_nc_u32_e32 v49, 0xb8, v45
	v_add3_u32 v50, 0, v45, 8
	v_mov_b32_e32 v51, v0
	s_mov_b32 s2, 0
.LBB84_241:                             ; =>This Inner Loop Header: Depth=1
	scratch_load_b64 v[52:53], v50, off
	ds_load_b64 v[54:55], v49
	v_add_nc_u32_e32 v51, 1, v51
	v_add_nc_u32_e32 v49, 8, v49
	v_add_nc_u32_e32 v50, 8, v50
	s_delay_alu instid0(VALU_DEP_3)
	v_cmp_lt_u32_e32 vcc_lo, 3, v51
	s_or_b32 s2, vcc_lo, s2
	s_waitcnt vmcnt(0) lgkmcnt(0)
	v_fma_f64 v[43:44], v[52:53], v[54:55], v[43:44]
	s_and_not1_b32 exec_lo, exec_lo, s2
	s_cbranch_execnz .LBB84_241
; %bb.242:
	s_or_b32 exec_lo, exec_lo, s2
.LBB84_243:
	s_delay_alu instid0(SALU_CYCLE_1)
	s_or_b32 exec_lo, exec_lo, s1
	v_mov_b32_e32 v49, 0
	ds_load_b64 v[49:50], v49 offset:40
	s_waitcnt lgkmcnt(0)
	v_mul_f64 v[43:44], v[43:44], v[49:50]
	scratch_store_b64 off, v[43:44], off offset:40
.LBB84_244:
	;; [unrolled: 58-line block ×15, first 2 shown]
	s_or_b32 exec_lo, exec_lo, s0
	scratch_load_b64 v[43:44], off, off offset:152
	v_cmp_gt_u32_e64 s0, 19, v0
	s_waitcnt vmcnt(0)
	ds_store_b64 v46, v[43:44]
	s_waitcnt lgkmcnt(0)
	s_waitcnt_vscnt null, 0x0
	s_barrier
	buffer_gl0_inv
	s_and_saveexec_b32 s1, s0
	s_cbranch_execz .LBB84_384
; %bb.375:
	v_cmp_ne_u32_e32 vcc_lo, 1, v48
	s_cbranch_vccnz .LBB84_377
; %bb.376:
	scratch_load_b64 v[43:44], v47, off
	ds_load_b64 v[49:50], v46
	s_waitcnt vmcnt(0) lgkmcnt(0)
	v_mul_f64 v[43:44], v[43:44], v[49:50]
	s_cbranch_execz .LBB84_378
	s_branch .LBB84_379
.LBB84_377:
                                        ; implicit-def: $vgpr43_vgpr44
.LBB84_378:
	ds_load_b64 v[43:44], v46
.LBB84_379:
	s_mov_b32 s2, exec_lo
	v_cmpx_ne_u32_e32 18, v0
	s_cbranch_execz .LBB84_383
; %bb.380:
	v_add_nc_u32_e32 v49, 0xb8, v45
	v_add3_u32 v50, 0, v45, 8
	v_mov_b32_e32 v51, v0
	s_mov_b32 s3, 0
.LBB84_381:                             ; =>This Inner Loop Header: Depth=1
	scratch_load_b64 v[52:53], v50, off
	ds_load_b64 v[54:55], v49
	v_add_nc_u32_e32 v51, 1, v51
	v_add_nc_u32_e32 v49, 8, v49
	;; [unrolled: 1-line block ×3, first 2 shown]
	s_delay_alu instid0(VALU_DEP_3)
	v_cmp_lt_u32_e32 vcc_lo, 17, v51
	s_or_b32 s3, vcc_lo, s3
	s_waitcnt vmcnt(0) lgkmcnt(0)
	v_fma_f64 v[43:44], v[52:53], v[54:55], v[43:44]
	s_and_not1_b32 exec_lo, exec_lo, s3
	s_cbranch_execnz .LBB84_381
; %bb.382:
	s_or_b32 exec_lo, exec_lo, s3
.LBB84_383:
	s_delay_alu instid0(SALU_CYCLE_1)
	s_or_b32 exec_lo, exec_lo, s2
	v_mov_b32_e32 v49, 0
	ds_load_b64 v[49:50], v49 offset:152
	s_waitcnt lgkmcnt(0)
	v_mul_f64 v[43:44], v[43:44], v[49:50]
	scratch_store_b64 off, v[43:44], off offset:152
.LBB84_384:
	s_or_b32 exec_lo, exec_lo, s1
	scratch_load_b64 v[43:44], off, off offset:160
	s_mov_b32 s1, exec_lo
	s_waitcnt vmcnt(0)
	ds_store_b64 v46, v[43:44]
	s_waitcnt lgkmcnt(0)
	s_waitcnt_vscnt null, 0x0
	s_barrier
	buffer_gl0_inv
	v_cmpx_ne_u32_e32 20, v0
	s_cbranch_execz .LBB84_394
; %bb.385:
	v_cmp_ne_u32_e32 vcc_lo, 1, v48
	s_cbranch_vccnz .LBB84_387
; %bb.386:
	scratch_load_b64 v[43:44], v47, off
	ds_load_b64 v[47:48], v46
	s_waitcnt vmcnt(0) lgkmcnt(0)
	v_mul_f64 v[43:44], v[43:44], v[47:48]
	s_cbranch_execz .LBB84_388
	s_branch .LBB84_389
.LBB84_387:
                                        ; implicit-def: $vgpr43_vgpr44
.LBB84_388:
	ds_load_b64 v[43:44], v46
.LBB84_389:
	s_and_saveexec_b32 s2, s0
	s_cbranch_execz .LBB84_393
; %bb.390:
	v_add_nc_u32_e32 v46, 0xb8, v45
	v_add3_u32 v45, 0, v45, 8
	s_mov_b32 s0, 0
.LBB84_391:                             ; =>This Inner Loop Header: Depth=1
	scratch_load_b64 v[47:48], v45, off
	ds_load_b64 v[49:50], v46
	v_add_nc_u32_e32 v0, 1, v0
	v_add_nc_u32_e32 v46, 8, v46
	v_add_nc_u32_e32 v45, 8, v45
	s_delay_alu instid0(VALU_DEP_3)
	v_cmp_lt_u32_e32 vcc_lo, 18, v0
	s_or_b32 s0, vcc_lo, s0
	s_waitcnt vmcnt(0) lgkmcnt(0)
	v_fma_f64 v[43:44], v[47:48], v[49:50], v[43:44]
	s_and_not1_b32 exec_lo, exec_lo, s0
	s_cbranch_execnz .LBB84_391
; %bb.392:
	s_or_b32 exec_lo, exec_lo, s0
.LBB84_393:
	s_delay_alu instid0(SALU_CYCLE_1)
	s_or_b32 exec_lo, exec_lo, s2
	v_mov_b32_e32 v0, 0
	ds_load_b64 v[45:46], v0 offset:160
	s_waitcnt lgkmcnt(0)
	v_mul_f64 v[43:44], v[43:44], v[45:46]
	scratch_store_b64 off, v[43:44], off offset:160
.LBB84_394:
	s_or_b32 exec_lo, exec_lo, s1
.LBB84_395:
	s_clause 0xa
	scratch_load_b128 v[43:46], off, off
	scratch_load_b128 v[47:50], off, off offset:16
	scratch_load_b128 v[51:54], off, off offset:32
	;; [unrolled: 1-line block ×9, first 2 shown]
	scratch_load_b64 v[83:84], off, off offset:160
	s_waitcnt vmcnt(10)
	s_clause 0x1
	global_store_b64 v[1:2], v[43:44], off
	global_store_b64 v[9:10], v[45:46], off
	s_waitcnt vmcnt(9)
	s_clause 0x1
	global_store_b64 v[3:4], v[47:48], off
	global_store_b64 v[5:6], v[49:50], off
	;; [unrolled: 4-line block ×10, first 2 shown]
	s_waitcnt vmcnt(0)
	global_store_b64 v[41:42], v[83:84], off
.LBB84_396:
	s_endpgm
	.section	.rodata,"a",@progbits
	.p2align	6, 0x0
	.amdhsa_kernel _ZN9rocsolver6v33100L18trti2_kernel_smallILi21EdPKPdEEv13rocblas_fill_17rocblas_diagonal_T1_iil
		.amdhsa_group_segment_fixed_size 344
		.amdhsa_private_segment_fixed_size 176
		.amdhsa_kernarg_size 32
		.amdhsa_user_sgpr_count 15
		.amdhsa_user_sgpr_dispatch_ptr 0
		.amdhsa_user_sgpr_queue_ptr 0
		.amdhsa_user_sgpr_kernarg_segment_ptr 1
		.amdhsa_user_sgpr_dispatch_id 0
		.amdhsa_user_sgpr_private_segment_size 0
		.amdhsa_wavefront_size32 1
		.amdhsa_uses_dynamic_stack 0
		.amdhsa_enable_private_segment 1
		.amdhsa_system_sgpr_workgroup_id_x 1
		.amdhsa_system_sgpr_workgroup_id_y 0
		.amdhsa_system_sgpr_workgroup_id_z 0
		.amdhsa_system_sgpr_workgroup_info 0
		.amdhsa_system_vgpr_workitem_id 0
		.amdhsa_next_free_vgpr 88
		.amdhsa_next_free_sgpr 16
		.amdhsa_reserve_vcc 1
		.amdhsa_float_round_mode_32 0
		.amdhsa_float_round_mode_16_64 0
		.amdhsa_float_denorm_mode_32 3
		.amdhsa_float_denorm_mode_16_64 3
		.amdhsa_dx10_clamp 1
		.amdhsa_ieee_mode 1
		.amdhsa_fp16_overflow 0
		.amdhsa_workgroup_processor_mode 1
		.amdhsa_memory_ordered 1
		.amdhsa_forward_progress 0
		.amdhsa_shared_vgpr_count 0
		.amdhsa_exception_fp_ieee_invalid_op 0
		.amdhsa_exception_fp_denorm_src 0
		.amdhsa_exception_fp_ieee_div_zero 0
		.amdhsa_exception_fp_ieee_overflow 0
		.amdhsa_exception_fp_ieee_underflow 0
		.amdhsa_exception_fp_ieee_inexact 0
		.amdhsa_exception_int_div_zero 0
	.end_amdhsa_kernel
	.section	.text._ZN9rocsolver6v33100L18trti2_kernel_smallILi21EdPKPdEEv13rocblas_fill_17rocblas_diagonal_T1_iil,"axG",@progbits,_ZN9rocsolver6v33100L18trti2_kernel_smallILi21EdPKPdEEv13rocblas_fill_17rocblas_diagonal_T1_iil,comdat
.Lfunc_end84:
	.size	_ZN9rocsolver6v33100L18trti2_kernel_smallILi21EdPKPdEEv13rocblas_fill_17rocblas_diagonal_T1_iil, .Lfunc_end84-_ZN9rocsolver6v33100L18trti2_kernel_smallILi21EdPKPdEEv13rocblas_fill_17rocblas_diagonal_T1_iil
                                        ; -- End function
	.section	.AMDGPU.csdata,"",@progbits
; Kernel info:
; codeLenInByte = 11136
; NumSgprs: 18
; NumVgprs: 88
; ScratchSize: 176
; MemoryBound: 0
; FloatMode: 240
; IeeeMode: 1
; LDSByteSize: 344 bytes/workgroup (compile time only)
; SGPRBlocks: 2
; VGPRBlocks: 10
; NumSGPRsForWavesPerEU: 18
; NumVGPRsForWavesPerEU: 88
; Occupancy: 16
; WaveLimiterHint : 1
; COMPUTE_PGM_RSRC2:SCRATCH_EN: 1
; COMPUTE_PGM_RSRC2:USER_SGPR: 15
; COMPUTE_PGM_RSRC2:TRAP_HANDLER: 0
; COMPUTE_PGM_RSRC2:TGID_X_EN: 1
; COMPUTE_PGM_RSRC2:TGID_Y_EN: 0
; COMPUTE_PGM_RSRC2:TGID_Z_EN: 0
; COMPUTE_PGM_RSRC2:TIDIG_COMP_CNT: 0
	.section	.text._ZN9rocsolver6v33100L18trti2_kernel_smallILi22EdPKPdEEv13rocblas_fill_17rocblas_diagonal_T1_iil,"axG",@progbits,_ZN9rocsolver6v33100L18trti2_kernel_smallILi22EdPKPdEEv13rocblas_fill_17rocblas_diagonal_T1_iil,comdat
	.globl	_ZN9rocsolver6v33100L18trti2_kernel_smallILi22EdPKPdEEv13rocblas_fill_17rocblas_diagonal_T1_iil ; -- Begin function _ZN9rocsolver6v33100L18trti2_kernel_smallILi22EdPKPdEEv13rocblas_fill_17rocblas_diagonal_T1_iil
	.p2align	8
	.type	_ZN9rocsolver6v33100L18trti2_kernel_smallILi22EdPKPdEEv13rocblas_fill_17rocblas_diagonal_T1_iil,@function
_ZN9rocsolver6v33100L18trti2_kernel_smallILi22EdPKPdEEv13rocblas_fill_17rocblas_diagonal_T1_iil: ; @_ZN9rocsolver6v33100L18trti2_kernel_smallILi22EdPKPdEEv13rocblas_fill_17rocblas_diagonal_T1_iil
; %bb.0:
	s_mov_b32 s2, exec_lo
	v_cmpx_gt_u32_e32 22, v0
	s_cbranch_execz .LBB85_416
; %bb.1:
	s_clause 0x1
	s_load_b64 s[4:5], s[0:1], 0x10
	s_load_b128 s[0:3], s[0:1], 0x0
	s_mov_b32 s6, s15
	s_ashr_i32 s7, s15, 31
	v_lshlrev_b32_e32 v47, 3, v0
	s_lshl_b64 s[6:7], s[6:7], 3
	s_waitcnt lgkmcnt(0)
	s_ashr_i32 s9, s4, 31
	s_add_u32 s2, s2, s6
	s_addc_u32 s3, s3, s7
	v_add3_u32 v1, s5, s5, v0
	s_load_b64 s[2:3], s[2:3], 0x0
	s_mov_b32 s8, s4
	s_mov_b32 s6, s5
	s_lshl_b64 s[8:9], s[8:9], 3
	v_add_nc_u32_e32 v3, s5, v1
	v_ashrrev_i32_e32 v2, 31, v1
	s_delay_alu instid0(VALU_DEP_2) | instskip(SKIP_1) | instid1(VALU_DEP_3)
	v_add_nc_u32_e32 v5, s5, v3
	v_ashrrev_i32_e32 v4, 31, v3
	v_lshlrev_b64 v[9:10], 3, v[1:2]
	s_delay_alu instid0(VALU_DEP_3) | instskip(NEXT) | instid1(VALU_DEP_3)
	v_add_nc_u32_e32 v7, s5, v5
	v_lshlrev_b64 v[11:12], 3, v[3:4]
	v_ashrrev_i32_e32 v6, 31, v5
	s_delay_alu instid0(VALU_DEP_3)
	v_add_nc_u32_e32 v15, s5, v7
	s_waitcnt lgkmcnt(0)
	s_add_u32 s2, s2, s8
	s_addc_u32 s3, s3, s9
	v_add_co_u32 v3, vcc_lo, s2, v9
	v_add_co_u32 v1, s4, s2, v47
	s_ashr_i32 s7, s5, 31
	v_add_co_ci_u32_e32 v4, vcc_lo, s3, v10, vcc_lo
	v_lshlrev_b64 v[13:14], 3, v[5:6]
	v_add_co_ci_u32_e64 v2, null, s3, 0, s4
	v_add_co_u32 v5, vcc_lo, s2, v11
	v_ashrrev_i32_e32 v8, 31, v7
	s_lshl_b64 s[6:7], s[6:7], 3
	v_add_co_ci_u32_e32 v6, vcc_lo, s3, v12, vcc_lo
	v_ashrrev_i32_e32 v16, 31, v15
	v_add_nc_u32_e32 v19, s5, v15
	v_add_co_u32 v9, vcc_lo, v1, s6
	v_add_co_ci_u32_e32 v10, vcc_lo, s7, v2, vcc_lo
	v_lshlrev_b64 v[17:18], 3, v[7:8]
	v_add_co_u32 v7, vcc_lo, s2, v13
	v_add_co_ci_u32_e32 v8, vcc_lo, s3, v14, vcc_lo
	v_lshlrev_b64 v[13:14], 3, v[15:16]
	v_add_nc_u32_e32 v15, s5, v19
	v_ashrrev_i32_e32 v20, 31, v19
	v_add_co_u32 v11, vcc_lo, s2, v17
	v_add_co_ci_u32_e32 v12, vcc_lo, s3, v18, vcc_lo
	s_delay_alu instid0(VALU_DEP_4) | instskip(NEXT) | instid1(VALU_DEP_4)
	v_ashrrev_i32_e32 v16, 31, v15
	v_lshlrev_b64 v[17:18], 3, v[19:20]
	v_add_nc_u32_e32 v21, s5, v15
	v_add_co_u32 v13, vcc_lo, s2, v13
	s_delay_alu instid0(VALU_DEP_4)
	v_lshlrev_b64 v[19:20], 3, v[15:16]
	v_add_co_ci_u32_e32 v14, vcc_lo, s3, v14, vcc_lo
	v_add_co_u32 v15, vcc_lo, s2, v17
	v_ashrrev_i32_e32 v22, 31, v21
	v_add_nc_u32_e32 v23, s5, v21
	v_add_co_ci_u32_e32 v16, vcc_lo, s3, v18, vcc_lo
	v_add_co_u32 v17, vcc_lo, s2, v19
	v_add_co_ci_u32_e32 v18, vcc_lo, s3, v20, vcc_lo
	v_lshlrev_b64 v[19:20], 3, v[21:22]
	v_add_nc_u32_e32 v21, s5, v23
	v_ashrrev_i32_e32 v24, 31, v23
	s_clause 0x8
	global_load_b64 v[48:49], v47, s[2:3]
	global_load_b64 v[50:51], v[9:10], off
	global_load_b64 v[52:53], v[3:4], off
	global_load_b64 v[54:55], v[5:6], off
	global_load_b64 v[56:57], v[7:8], off
	global_load_b64 v[58:59], v[11:12], off
	global_load_b64 v[60:61], v[13:14], off
	global_load_b64 v[62:63], v[15:16], off
	global_load_b64 v[64:65], v[17:18], off
	v_add_nc_u32_e32 v25, s5, v21
	v_ashrrev_i32_e32 v22, 31, v21
	v_lshlrev_b64 v[23:24], 3, v[23:24]
	v_add_co_u32 v19, vcc_lo, s2, v19
	s_delay_alu instid0(VALU_DEP_4) | instskip(NEXT) | instid1(VALU_DEP_4)
	v_ashrrev_i32_e32 v26, 31, v25
	v_lshlrev_b64 v[27:28], 3, v[21:22]
	v_add_nc_u32_e32 v31, s5, v25
	v_add_co_ci_u32_e32 v20, vcc_lo, s3, v20, vcc_lo
	v_add_co_u32 v21, vcc_lo, s2, v23
	v_lshlrev_b64 v[29:30], 3, v[25:26]
	v_add_co_ci_u32_e32 v22, vcc_lo, s3, v24, vcc_lo
	v_add_co_u32 v23, vcc_lo, s2, v27
	v_ashrrev_i32_e32 v32, 31, v31
	v_add_nc_u32_e32 v27, s5, v31
	v_add_co_ci_u32_e32 v24, vcc_lo, s3, v28, vcc_lo
	v_add_co_u32 v25, vcc_lo, s2, v29
	v_add_co_ci_u32_e32 v26, vcc_lo, s3, v30, vcc_lo
	v_lshlrev_b64 v[29:30], 3, v[31:32]
	v_add_nc_u32_e32 v31, s5, v27
	v_ashrrev_i32_e32 v28, 31, v27
	s_clause 0x3
	global_load_b64 v[66:67], v[19:20], off
	global_load_b64 v[68:69], v[21:22], off
	;; [unrolled: 1-line block ×4, first 2 shown]
	s_cmpk_lg_i32 s1, 0x84
	v_add_nc_u32_e32 v35, s5, v31
	v_lshlrev_b64 v[33:34], 3, v[27:28]
	v_add_co_u32 v27, vcc_lo, s2, v29
	v_add_co_ci_u32_e32 v28, vcc_lo, s3, v30, vcc_lo
	s_delay_alu instid0(VALU_DEP_4) | instskip(NEXT) | instid1(VALU_DEP_4)
	v_ashrrev_i32_e32 v36, 31, v35
	v_add_co_u32 v29, vcc_lo, s2, v33
	v_add_co_ci_u32_e32 v30, vcc_lo, s3, v34, vcc_lo
	s_delay_alu instid0(VALU_DEP_3) | instskip(SKIP_2) | instid1(VALU_DEP_2)
	v_lshlrev_b64 v[33:34], 3, v[35:36]
	v_add_nc_u32_e32 v35, s5, v35
	v_ashrrev_i32_e32 v32, 31, v31
	v_add_nc_u32_e32 v37, s5, v35
	s_delay_alu instid0(VALU_DEP_2) | instskip(SKIP_1) | instid1(VALU_DEP_3)
	v_lshlrev_b64 v[31:32], 3, v[31:32]
	v_ashrrev_i32_e32 v36, 31, v35
	v_add_nc_u32_e32 v39, s5, v37
	v_ashrrev_i32_e32 v38, 31, v37
	s_delay_alu instid0(VALU_DEP_4) | instskip(NEXT) | instid1(VALU_DEP_4)
	v_add_co_u32 v31, vcc_lo, s2, v31
	v_lshlrev_b64 v[35:36], 3, v[35:36]
	s_delay_alu instid0(VALU_DEP_4)
	v_add_nc_u32_e32 v41, s5, v39
	v_add_co_ci_u32_e32 v32, vcc_lo, s3, v32, vcc_lo
	v_add_co_u32 v33, vcc_lo, s2, v33
	v_lshlrev_b64 v[37:38], 3, v[37:38]
	v_ashrrev_i32_e32 v40, 31, v39
	v_add_nc_u32_e32 v45, s5, v41
	v_add_co_ci_u32_e32 v34, vcc_lo, s3, v34, vcc_lo
	v_add_co_u32 v35, vcc_lo, s2, v35
	v_ashrrev_i32_e32 v42, 31, v41
	v_add_co_ci_u32_e32 v36, vcc_lo, s3, v36, vcc_lo
	v_lshlrev_b64 v[43:44], 3, v[39:40]
	v_add_co_u32 v39, vcc_lo, s2, v37
	v_ashrrev_i32_e32 v46, 31, v45
	v_add_co_ci_u32_e32 v40, vcc_lo, s3, v38, vcc_lo
	v_lshlrev_b64 v[37:38], 3, v[41:42]
	v_add_co_u32 v43, vcc_lo, s2, v43
	s_delay_alu instid0(VALU_DEP_4) | instskip(SKIP_1) | instid1(VALU_DEP_4)
	v_lshlrev_b64 v[41:42], 3, v[45:46]
	v_add_co_ci_u32_e32 v44, vcc_lo, s3, v44, vcc_lo
	v_add_co_u32 v37, vcc_lo, s2, v37
	v_add_co_ci_u32_e32 v38, vcc_lo, s3, v38, vcc_lo
	s_delay_alu instid0(VALU_DEP_4)
	v_add_co_u32 v41, vcc_lo, s2, v41
	v_add_co_ci_u32_e32 v42, vcc_lo, s3, v42, vcc_lo
	s_clause 0x8
	global_load_b64 v[74:75], v[27:28], off
	global_load_b64 v[76:77], v[29:30], off
	;; [unrolled: 1-line block ×9, first 2 shown]
	v_mov_b32_e32 v45, 0
	v_mov_b32_e32 v46, 0xbff00000
	s_cselect_b32 s2, -1, 0
	s_cmpk_eq_i32 s1, 0x84
	s_waitcnt vmcnt(20)
	scratch_store_b128 off, v[48:51], off
	s_waitcnt vmcnt(18)
	scratch_store_b128 off, v[52:55], off offset:16
	s_waitcnt vmcnt(16)
	scratch_store_b128 off, v[56:59], off offset:32
	;; [unrolled: 2-line block ×10, first 2 shown]
	s_cbranch_scc1 .LBB85_3
; %bb.2:
	scratch_load_b64 v[45:46], v47, off
	s_waitcnt vmcnt(0)
	v_div_scale_f64 v[48:49], null, v[45:46], v[45:46], 1.0
	v_div_scale_f64 v[54:55], vcc_lo, 1.0, v[45:46], 1.0
	s_delay_alu instid0(VALU_DEP_2) | instskip(SKIP_2) | instid1(VALU_DEP_1)
	v_rcp_f64_e32 v[50:51], v[48:49]
	s_waitcnt_depctr 0xfff
	v_fma_f64 v[52:53], -v[48:49], v[50:51], 1.0
	v_fma_f64 v[50:51], v[50:51], v[52:53], v[50:51]
	s_delay_alu instid0(VALU_DEP_1) | instskip(NEXT) | instid1(VALU_DEP_1)
	v_fma_f64 v[52:53], -v[48:49], v[50:51], 1.0
	v_fma_f64 v[50:51], v[50:51], v[52:53], v[50:51]
	s_delay_alu instid0(VALU_DEP_1) | instskip(NEXT) | instid1(VALU_DEP_1)
	v_mul_f64 v[52:53], v[54:55], v[50:51]
	v_fma_f64 v[48:49], -v[48:49], v[52:53], v[54:55]
	s_delay_alu instid0(VALU_DEP_1) | instskip(NEXT) | instid1(VALU_DEP_1)
	v_div_fmas_f64 v[48:49], v[48:49], v[50:51], v[52:53]
	v_div_fixup_f64 v[45:46], v[48:49], v[45:46], 1.0
	scratch_store_b64 v47, v[45:46], off
	v_xor_b32_e32 v46, 0x80000000, v46
.LBB85_3:
	v_add_nc_u32_e32 v48, 0xb0, v47
	v_add_nc_u32_e32 v49, 0, v47
	s_cmpk_eq_i32 s0, 0x79
	s_mov_b32 s0, -1
	ds_store_b64 v47, v[45:46]
	s_cbranch_scc1 .LBB85_209
; %bb.4:
	scratch_load_b64 v[45:46], off, off offset:160
	v_cmp_eq_u32_e64 s0, 21, v0
	s_movk_i32 s1, 0x50
	s_movk_i32 s3, 0x60
	;; [unrolled: 1-line block ×5, first 2 shown]
	s_waitcnt vmcnt(0)
	ds_store_b64 v48, v[45:46]
	s_waitcnt lgkmcnt(0)
	s_waitcnt_vscnt null, 0x0
	s_barrier
	buffer_gl0_inv
	s_and_saveexec_b32 s7, s0
	s_cbranch_execz .LBB85_10
; %bb.5:
	s_and_b32 vcc_lo, exec_lo, s2
	s_cbranch_vccz .LBB85_7
; %bb.6:
	scratch_load_b64 v[45:46], v49, off
	ds_load_b64 v[50:51], v48
	s_waitcnt vmcnt(0) lgkmcnt(0)
	v_mul_f64 v[45:46], v[45:46], v[50:51]
	s_cbranch_execz .LBB85_8
	s_branch .LBB85_9
.LBB85_7:
                                        ; implicit-def: $vgpr45_vgpr46
.LBB85_8:
	ds_load_b64 v[45:46], v48
.LBB85_9:
	v_mov_b32_e32 v50, 0
	ds_load_b64 v[50:51], v50 offset:160
	s_waitcnt lgkmcnt(0)
	v_mul_f64 v[45:46], v[45:46], v[50:51]
	scratch_store_b64 off, v[45:46], off offset:160
.LBB85_10:
	s_or_b32 exec_lo, exec_lo, s7
	scratch_load_b64 v[45:46], off, off offset:152
	v_add_nc_u32_e64 v50, 0, 16
	v_add_nc_u32_e64 v51, 0, 32
	;; [unrolled: 1-line block ×9, first 2 shown]
	v_cmp_lt_u32_e64 s1, 19, v0
	s_waitcnt vmcnt(0)
	ds_store_b64 v48, v[45:46]
	s_waitcnt lgkmcnt(0)
	s_waitcnt_vscnt null, 0x0
	s_barrier
	buffer_gl0_inv
	s_and_saveexec_b32 s3, s1
	s_cbranch_execz .LBB85_18
; %bb.11:
	s_and_not1_b32 vcc_lo, exec_lo, s2
	s_cbranch_vccnz .LBB85_13
; %bb.12:
	scratch_load_b64 v[45:46], v49, off
	ds_load_b64 v[59:60], v48
	s_waitcnt vmcnt(0) lgkmcnt(0)
	v_mul_f64 v[45:46], v[45:46], v[59:60]
	s_cbranch_execz .LBB85_14
	s_branch .LBB85_15
.LBB85_13:
                                        ; implicit-def: $vgpr45_vgpr46
.LBB85_14:
	ds_load_b64 v[45:46], v48
.LBB85_15:
	s_and_saveexec_b32 s4, s0
	s_cbranch_execz .LBB85_17
; %bb.16:
	scratch_load_b64 v[59:60], off, off offset:160
	v_mov_b32_e32 v61, 0
	ds_load_b64 v[61:62], v61 offset:336
	s_waitcnt vmcnt(0) lgkmcnt(0)
	v_fma_f64 v[45:46], v[59:60], v[61:62], v[45:46]
.LBB85_17:
	s_or_b32 exec_lo, exec_lo, s4
	v_mov_b32_e32 v59, 0
	ds_load_b64 v[59:60], v59 offset:152
	s_waitcnt lgkmcnt(0)
	v_mul_f64 v[45:46], v[45:46], v[59:60]
	scratch_store_b64 off, v[45:46], off offset:152
.LBB85_18:
	s_or_b32 exec_lo, exec_lo, s3
	scratch_load_b64 v[45:46], off, off offset:144
	v_cmp_lt_u32_e64 s0, 18, v0
	s_waitcnt vmcnt(0)
	ds_store_b64 v48, v[45:46]
	s_waitcnt lgkmcnt(0)
	s_waitcnt_vscnt null, 0x0
	s_barrier
	buffer_gl0_inv
	s_and_saveexec_b32 s3, s0
	s_cbranch_execz .LBB85_28
; %bb.19:
	s_and_not1_b32 vcc_lo, exec_lo, s2
	s_cbranch_vccnz .LBB85_21
; %bb.20:
	scratch_load_b64 v[45:46], v49, off
	ds_load_b64 v[59:60], v48
	s_waitcnt vmcnt(0) lgkmcnt(0)
	v_mul_f64 v[45:46], v[45:46], v[59:60]
	s_cbranch_execz .LBB85_22
	s_branch .LBB85_23
.LBB85_21:
                                        ; implicit-def: $vgpr45_vgpr46
.LBB85_22:
	ds_load_b64 v[45:46], v48
.LBB85_23:
	s_and_saveexec_b32 s4, s1
	s_cbranch_execz .LBB85_27
; %bb.24:
	v_mov_b32_e32 v59, 0
	v_subrev_nc_u32_e32 v60, 19, v0
	s_movk_i32 s5, 0x148
	s_mov_b32 s1, 0
	s_delay_alu instid0(VALU_DEP_2)
	v_add_nc_u32_e32 v59, 0x98, v59
.LBB85_25:                              ; =>This Inner Loop Header: Depth=1
	scratch_load_b64 v[61:62], v59, off
	v_dual_mov_b32 v63, s5 :: v_dual_add_nc_u32 v60, -1, v60
	v_add_nc_u32_e32 v59, 8, v59
	s_add_i32 s5, s5, 8
	ds_load_b64 v[63:64], v63
	v_cmp_eq_u32_e32 vcc_lo, 0, v60
	s_or_b32 s1, vcc_lo, s1
	s_waitcnt vmcnt(0) lgkmcnt(0)
	v_fma_f64 v[45:46], v[61:62], v[63:64], v[45:46]
	s_and_not1_b32 exec_lo, exec_lo, s1
	s_cbranch_execnz .LBB85_25
; %bb.26:
	s_or_b32 exec_lo, exec_lo, s1
.LBB85_27:
	s_delay_alu instid0(SALU_CYCLE_1)
	s_or_b32 exec_lo, exec_lo, s4
	v_mov_b32_e32 v59, 0
	ds_load_b64 v[59:60], v59 offset:144
	s_waitcnt lgkmcnt(0)
	v_mul_f64 v[45:46], v[45:46], v[59:60]
	scratch_store_b64 off, v[45:46], off offset:144
.LBB85_28:
	s_or_b32 exec_lo, exec_lo, s3
	scratch_load_b64 v[45:46], off, off offset:136
	v_cmp_lt_u32_e64 s1, 17, v0
	s_waitcnt vmcnt(0)
	ds_store_b64 v48, v[45:46]
	s_waitcnt lgkmcnt(0)
	s_waitcnt_vscnt null, 0x0
	s_barrier
	buffer_gl0_inv
	s_and_saveexec_b32 s3, s1
	s_cbranch_execz .LBB85_38
; %bb.29:
	s_and_not1_b32 vcc_lo, exec_lo, s2
	s_cbranch_vccnz .LBB85_31
; %bb.30:
	scratch_load_b64 v[45:46], v49, off
	ds_load_b64 v[59:60], v48
	s_waitcnt vmcnt(0) lgkmcnt(0)
	v_mul_f64 v[45:46], v[45:46], v[59:60]
	s_cbranch_execz .LBB85_32
	s_branch .LBB85_33
.LBB85_31:
                                        ; implicit-def: $vgpr45_vgpr46
.LBB85_32:
	ds_load_b64 v[45:46], v48
.LBB85_33:
	s_and_saveexec_b32 s4, s0
	s_cbranch_execz .LBB85_37
; %bb.34:
	v_subrev_nc_u32_e32 v59, 18, v0
	s_movk_i32 s5, 0x140
	s_mov_b32 s0, 0
.LBB85_35:                              ; =>This Inner Loop Header: Depth=1
	scratch_load_b64 v[60:61], v58, off
	v_dual_mov_b32 v62, s5 :: v_dual_add_nc_u32 v59, -1, v59
	v_add_nc_u32_e32 v58, 8, v58
	s_add_i32 s5, s5, 8
	ds_load_b64 v[62:63], v62
	v_cmp_eq_u32_e32 vcc_lo, 0, v59
	s_or_b32 s0, vcc_lo, s0
	s_waitcnt vmcnt(0) lgkmcnt(0)
	v_fma_f64 v[45:46], v[60:61], v[62:63], v[45:46]
	s_and_not1_b32 exec_lo, exec_lo, s0
	s_cbranch_execnz .LBB85_35
; %bb.36:
	s_or_b32 exec_lo, exec_lo, s0
.LBB85_37:
	s_delay_alu instid0(SALU_CYCLE_1)
	s_or_b32 exec_lo, exec_lo, s4
	v_mov_b32_e32 v58, 0
	ds_load_b64 v[58:59], v58 offset:136
	s_waitcnt lgkmcnt(0)
	v_mul_f64 v[45:46], v[45:46], v[58:59]
	scratch_store_b64 off, v[45:46], off offset:136
.LBB85_38:
	s_or_b32 exec_lo, exec_lo, s3
	scratch_load_b64 v[45:46], off, off offset:128
	v_cmp_lt_u32_e64 s0, 16, v0
	s_waitcnt vmcnt(0)
	ds_store_b64 v48, v[45:46]
	s_waitcnt lgkmcnt(0)
	s_waitcnt_vscnt null, 0x0
	s_barrier
	buffer_gl0_inv
	s_and_saveexec_b32 s3, s0
	s_cbranch_execz .LBB85_48
; %bb.39:
	s_and_not1_b32 vcc_lo, exec_lo, s2
	s_cbranch_vccnz .LBB85_41
; %bb.40:
	scratch_load_b64 v[45:46], v49, off
	ds_load_b64 v[58:59], v48
	s_waitcnt vmcnt(0) lgkmcnt(0)
	v_mul_f64 v[45:46], v[45:46], v[58:59]
	s_cbranch_execz .LBB85_42
	s_branch .LBB85_43
.LBB85_41:
                                        ; implicit-def: $vgpr45_vgpr46
.LBB85_42:
	ds_load_b64 v[45:46], v48
.LBB85_43:
	s_and_saveexec_b32 s4, s1
	s_cbranch_execz .LBB85_47
; %bb.44:
	v_mov_b32_e32 v58, 0
	v_subrev_nc_u32_e32 v59, 17, v0
	s_movk_i32 s5, 0x138
	s_mov_b32 s1, 0
	s_delay_alu instid0(VALU_DEP_2)
	v_add_nc_u32_e32 v58, 0x88, v58
.LBB85_45:                              ; =>This Inner Loop Header: Depth=1
	scratch_load_b64 v[60:61], v58, off
	v_dual_mov_b32 v62, s5 :: v_dual_add_nc_u32 v59, -1, v59
	v_add_nc_u32_e32 v58, 8, v58
	s_add_i32 s5, s5, 8
	ds_load_b64 v[62:63], v62
	v_cmp_eq_u32_e32 vcc_lo, 0, v59
	s_or_b32 s1, vcc_lo, s1
	s_waitcnt vmcnt(0) lgkmcnt(0)
	v_fma_f64 v[45:46], v[60:61], v[62:63], v[45:46]
	s_and_not1_b32 exec_lo, exec_lo, s1
	s_cbranch_execnz .LBB85_45
; %bb.46:
	s_or_b32 exec_lo, exec_lo, s1
.LBB85_47:
	s_delay_alu instid0(SALU_CYCLE_1)
	s_or_b32 exec_lo, exec_lo, s4
	v_mov_b32_e32 v58, 0
	ds_load_b64 v[58:59], v58 offset:128
	s_waitcnt lgkmcnt(0)
	v_mul_f64 v[45:46], v[45:46], v[58:59]
	scratch_store_b64 off, v[45:46], off offset:128
.LBB85_48:
	s_or_b32 exec_lo, exec_lo, s3
	scratch_load_b64 v[45:46], off, off offset:120
	v_cmp_lt_u32_e64 s1, 15, v0
	s_waitcnt vmcnt(0)
	ds_store_b64 v48, v[45:46]
	s_waitcnt lgkmcnt(0)
	s_waitcnt_vscnt null, 0x0
	s_barrier
	buffer_gl0_inv
	s_and_saveexec_b32 s3, s1
	s_cbranch_execz .LBB85_58
; %bb.49:
	s_and_not1_b32 vcc_lo, exec_lo, s2
	s_cbranch_vccnz .LBB85_51
; %bb.50:
	scratch_load_b64 v[45:46], v49, off
	ds_load_b64 v[58:59], v48
	s_waitcnt vmcnt(0) lgkmcnt(0)
	v_mul_f64 v[45:46], v[45:46], v[58:59]
	s_cbranch_execz .LBB85_52
	s_branch .LBB85_53
.LBB85_51:
                                        ; implicit-def: $vgpr45_vgpr46
.LBB85_52:
	ds_load_b64 v[45:46], v48
.LBB85_53:
	s_and_saveexec_b32 s4, s0
	s_cbranch_execz .LBB85_57
; %bb.54:
	v_add_nc_u32_e32 v58, -16, v0
	s_movk_i32 s5, 0x130
	s_mov_b32 s0, 0
.LBB85_55:                              ; =>This Inner Loop Header: Depth=1
	scratch_load_b64 v[59:60], v57, off
	v_dual_mov_b32 v61, s5 :: v_dual_add_nc_u32 v58, -1, v58
	v_add_nc_u32_e32 v57, 8, v57
	s_add_i32 s5, s5, 8
	ds_load_b64 v[61:62], v61
	v_cmp_eq_u32_e32 vcc_lo, 0, v58
	s_or_b32 s0, vcc_lo, s0
	s_waitcnt vmcnt(0) lgkmcnt(0)
	v_fma_f64 v[45:46], v[59:60], v[61:62], v[45:46]
	s_and_not1_b32 exec_lo, exec_lo, s0
	s_cbranch_execnz .LBB85_55
; %bb.56:
	s_or_b32 exec_lo, exec_lo, s0
.LBB85_57:
	s_delay_alu instid0(SALU_CYCLE_1)
	s_or_b32 exec_lo, exec_lo, s4
	v_mov_b32_e32 v57, 0
	ds_load_b64 v[57:58], v57 offset:120
	s_waitcnt lgkmcnt(0)
	v_mul_f64 v[45:46], v[45:46], v[57:58]
	scratch_store_b64 off, v[45:46], off offset:120
.LBB85_58:
	s_or_b32 exec_lo, exec_lo, s3
	scratch_load_b64 v[45:46], off, off offset:112
	v_cmp_lt_u32_e64 s0, 14, v0
	s_waitcnt vmcnt(0)
	ds_store_b64 v48, v[45:46]
	s_waitcnt lgkmcnt(0)
	s_waitcnt_vscnt null, 0x0
	s_barrier
	buffer_gl0_inv
	s_and_saveexec_b32 s3, s0
	s_cbranch_execz .LBB85_68
; %bb.59:
	s_and_not1_b32 vcc_lo, exec_lo, s2
	s_cbranch_vccnz .LBB85_61
; %bb.60:
	scratch_load_b64 v[45:46], v49, off
	ds_load_b64 v[57:58], v48
	s_waitcnt vmcnt(0) lgkmcnt(0)
	v_mul_f64 v[45:46], v[45:46], v[57:58]
	s_cbranch_execz .LBB85_62
	s_branch .LBB85_63
.LBB85_61:
                                        ; implicit-def: $vgpr45_vgpr46
.LBB85_62:
	ds_load_b64 v[45:46], v48
.LBB85_63:
	s_and_saveexec_b32 s4, s1
	s_cbranch_execz .LBB85_67
; %bb.64:
	v_dual_mov_b32 v57, 0 :: v_dual_add_nc_u32 v58, -15, v0
	s_movk_i32 s5, 0x128
	s_mov_b32 s1, 0
	s_delay_alu instid0(VALU_DEP_1)
	v_add_nc_u32_e32 v57, 0x78, v57
.LBB85_65:                              ; =>This Inner Loop Header: Depth=1
	scratch_load_b64 v[59:60], v57, off
	v_dual_mov_b32 v61, s5 :: v_dual_add_nc_u32 v58, -1, v58
	v_add_nc_u32_e32 v57, 8, v57
	s_add_i32 s5, s5, 8
	ds_load_b64 v[61:62], v61
	v_cmp_eq_u32_e32 vcc_lo, 0, v58
	s_or_b32 s1, vcc_lo, s1
	s_waitcnt vmcnt(0) lgkmcnt(0)
	v_fma_f64 v[45:46], v[59:60], v[61:62], v[45:46]
	s_and_not1_b32 exec_lo, exec_lo, s1
	s_cbranch_execnz .LBB85_65
; %bb.66:
	s_or_b32 exec_lo, exec_lo, s1
.LBB85_67:
	s_delay_alu instid0(SALU_CYCLE_1)
	s_or_b32 exec_lo, exec_lo, s4
	v_mov_b32_e32 v57, 0
	ds_load_b64 v[57:58], v57 offset:112
	s_waitcnt lgkmcnt(0)
	v_mul_f64 v[45:46], v[45:46], v[57:58]
	scratch_store_b64 off, v[45:46], off offset:112
.LBB85_68:
	s_or_b32 exec_lo, exec_lo, s3
	scratch_load_b64 v[45:46], off, off offset:104
	v_cmp_lt_u32_e64 s1, 13, v0
	s_waitcnt vmcnt(0)
	ds_store_b64 v48, v[45:46]
	s_waitcnt lgkmcnt(0)
	s_waitcnt_vscnt null, 0x0
	s_barrier
	buffer_gl0_inv
	s_and_saveexec_b32 s3, s1
	s_cbranch_execz .LBB85_78
; %bb.69:
	s_and_not1_b32 vcc_lo, exec_lo, s2
	s_cbranch_vccnz .LBB85_71
; %bb.70:
	scratch_load_b64 v[45:46], v49, off
	ds_load_b64 v[57:58], v48
	s_waitcnt vmcnt(0) lgkmcnt(0)
	v_mul_f64 v[45:46], v[45:46], v[57:58]
	s_cbranch_execz .LBB85_72
	s_branch .LBB85_73
.LBB85_71:
                                        ; implicit-def: $vgpr45_vgpr46
.LBB85_72:
	ds_load_b64 v[45:46], v48
.LBB85_73:
	s_and_saveexec_b32 s4, s0
	s_cbranch_execz .LBB85_77
; %bb.74:
	v_add_nc_u32_e32 v57, -14, v0
	s_movk_i32 s5, 0x120
	s_mov_b32 s0, 0
.LBB85_75:                              ; =>This Inner Loop Header: Depth=1
	scratch_load_b64 v[58:59], v56, off
	v_dual_mov_b32 v60, s5 :: v_dual_add_nc_u32 v57, -1, v57
	v_add_nc_u32_e32 v56, 8, v56
	s_add_i32 s5, s5, 8
	ds_load_b64 v[60:61], v60
	v_cmp_eq_u32_e32 vcc_lo, 0, v57
	s_or_b32 s0, vcc_lo, s0
	s_waitcnt vmcnt(0) lgkmcnt(0)
	v_fma_f64 v[45:46], v[58:59], v[60:61], v[45:46]
	s_and_not1_b32 exec_lo, exec_lo, s0
	s_cbranch_execnz .LBB85_75
; %bb.76:
	s_or_b32 exec_lo, exec_lo, s0
.LBB85_77:
	s_delay_alu instid0(SALU_CYCLE_1)
	s_or_b32 exec_lo, exec_lo, s4
	v_mov_b32_e32 v56, 0
	ds_load_b64 v[56:57], v56 offset:104
	s_waitcnt lgkmcnt(0)
	v_mul_f64 v[45:46], v[45:46], v[56:57]
	scratch_store_b64 off, v[45:46], off offset:104
.LBB85_78:
	s_or_b32 exec_lo, exec_lo, s3
	scratch_load_b64 v[45:46], off, off offset:96
	v_cmp_lt_u32_e64 s0, 12, v0
	s_waitcnt vmcnt(0)
	ds_store_b64 v48, v[45:46]
	s_waitcnt lgkmcnt(0)
	s_waitcnt_vscnt null, 0x0
	s_barrier
	buffer_gl0_inv
	s_and_saveexec_b32 s3, s0
	s_cbranch_execz .LBB85_88
; %bb.79:
	s_and_not1_b32 vcc_lo, exec_lo, s2
	s_cbranch_vccnz .LBB85_81
; %bb.80:
	scratch_load_b64 v[45:46], v49, off
	ds_load_b64 v[56:57], v48
	s_waitcnt vmcnt(0) lgkmcnt(0)
	v_mul_f64 v[45:46], v[45:46], v[56:57]
	s_cbranch_execz .LBB85_82
	s_branch .LBB85_83
.LBB85_81:
                                        ; implicit-def: $vgpr45_vgpr46
.LBB85_82:
	ds_load_b64 v[45:46], v48
.LBB85_83:
	s_and_saveexec_b32 s4, s1
	s_cbranch_execz .LBB85_87
; %bb.84:
	v_dual_mov_b32 v56, 0 :: v_dual_add_nc_u32 v57, -13, v0
	s_movk_i32 s5, 0x118
	s_mov_b32 s1, 0
	s_delay_alu instid0(VALU_DEP_1)
	v_add_nc_u32_e32 v56, 0x68, v56
.LBB85_85:                              ; =>This Inner Loop Header: Depth=1
	scratch_load_b64 v[58:59], v56, off
	v_dual_mov_b32 v60, s5 :: v_dual_add_nc_u32 v57, -1, v57
	v_add_nc_u32_e32 v56, 8, v56
	s_add_i32 s5, s5, 8
	ds_load_b64 v[60:61], v60
	v_cmp_eq_u32_e32 vcc_lo, 0, v57
	s_or_b32 s1, vcc_lo, s1
	s_waitcnt vmcnt(0) lgkmcnt(0)
	v_fma_f64 v[45:46], v[58:59], v[60:61], v[45:46]
	s_and_not1_b32 exec_lo, exec_lo, s1
	s_cbranch_execnz .LBB85_85
; %bb.86:
	s_or_b32 exec_lo, exec_lo, s1
.LBB85_87:
	s_delay_alu instid0(SALU_CYCLE_1)
	s_or_b32 exec_lo, exec_lo, s4
	v_mov_b32_e32 v56, 0
	ds_load_b64 v[56:57], v56 offset:96
	s_waitcnt lgkmcnt(0)
	v_mul_f64 v[45:46], v[45:46], v[56:57]
	scratch_store_b64 off, v[45:46], off offset:96
.LBB85_88:
	s_or_b32 exec_lo, exec_lo, s3
	scratch_load_b64 v[45:46], off, off offset:88
	v_cmp_lt_u32_e64 s1, 11, v0
	s_waitcnt vmcnt(0)
	ds_store_b64 v48, v[45:46]
	s_waitcnt lgkmcnt(0)
	s_waitcnt_vscnt null, 0x0
	s_barrier
	buffer_gl0_inv
	s_and_saveexec_b32 s3, s1
	s_cbranch_execz .LBB85_98
; %bb.89:
	s_and_not1_b32 vcc_lo, exec_lo, s2
	s_cbranch_vccnz .LBB85_91
; %bb.90:
	scratch_load_b64 v[45:46], v49, off
	ds_load_b64 v[56:57], v48
	s_waitcnt vmcnt(0) lgkmcnt(0)
	v_mul_f64 v[45:46], v[45:46], v[56:57]
	s_cbranch_execz .LBB85_92
	s_branch .LBB85_93
.LBB85_91:
                                        ; implicit-def: $vgpr45_vgpr46
.LBB85_92:
	ds_load_b64 v[45:46], v48
.LBB85_93:
	s_and_saveexec_b32 s4, s0
	s_cbranch_execz .LBB85_97
; %bb.94:
	v_add_nc_u32_e32 v56, -12, v0
	s_movk_i32 s5, 0x110
	s_mov_b32 s0, 0
.LBB85_95:                              ; =>This Inner Loop Header: Depth=1
	scratch_load_b64 v[57:58], v55, off
	v_dual_mov_b32 v59, s5 :: v_dual_add_nc_u32 v56, -1, v56
	v_add_nc_u32_e32 v55, 8, v55
	s_add_i32 s5, s5, 8
	ds_load_b64 v[59:60], v59
	v_cmp_eq_u32_e32 vcc_lo, 0, v56
	s_or_b32 s0, vcc_lo, s0
	s_waitcnt vmcnt(0) lgkmcnt(0)
	v_fma_f64 v[45:46], v[57:58], v[59:60], v[45:46]
	s_and_not1_b32 exec_lo, exec_lo, s0
	s_cbranch_execnz .LBB85_95
; %bb.96:
	s_or_b32 exec_lo, exec_lo, s0
.LBB85_97:
	s_delay_alu instid0(SALU_CYCLE_1)
	s_or_b32 exec_lo, exec_lo, s4
	v_mov_b32_e32 v55, 0
	ds_load_b64 v[55:56], v55 offset:88
	s_waitcnt lgkmcnt(0)
	v_mul_f64 v[45:46], v[45:46], v[55:56]
	scratch_store_b64 off, v[45:46], off offset:88
.LBB85_98:
	s_or_b32 exec_lo, exec_lo, s3
	scratch_load_b64 v[45:46], off, off offset:80
	v_cmp_lt_u32_e64 s0, 10, v0
	s_waitcnt vmcnt(0)
	ds_store_b64 v48, v[45:46]
	s_waitcnt lgkmcnt(0)
	s_waitcnt_vscnt null, 0x0
	s_barrier
	buffer_gl0_inv
	s_and_saveexec_b32 s3, s0
	s_cbranch_execz .LBB85_108
; %bb.99:
	s_and_not1_b32 vcc_lo, exec_lo, s2
	s_cbranch_vccnz .LBB85_101
; %bb.100:
	scratch_load_b64 v[45:46], v49, off
	ds_load_b64 v[55:56], v48
	s_waitcnt vmcnt(0) lgkmcnt(0)
	v_mul_f64 v[45:46], v[45:46], v[55:56]
	s_cbranch_execz .LBB85_102
	s_branch .LBB85_103
.LBB85_101:
                                        ; implicit-def: $vgpr45_vgpr46
.LBB85_102:
	ds_load_b64 v[45:46], v48
.LBB85_103:
	s_and_saveexec_b32 s4, s1
	s_cbranch_execz .LBB85_107
; %bb.104:
	v_dual_mov_b32 v55, 0 :: v_dual_add_nc_u32 v56, -11, v0
	s_movk_i32 s5, 0x108
	s_mov_b32 s1, 0
	s_delay_alu instid0(VALU_DEP_1)
	v_add_nc_u32_e32 v55, 0x58, v55
.LBB85_105:                             ; =>This Inner Loop Header: Depth=1
	scratch_load_b64 v[57:58], v55, off
	v_dual_mov_b32 v59, s5 :: v_dual_add_nc_u32 v56, -1, v56
	v_add_nc_u32_e32 v55, 8, v55
	s_add_i32 s5, s5, 8
	ds_load_b64 v[59:60], v59
	v_cmp_eq_u32_e32 vcc_lo, 0, v56
	s_or_b32 s1, vcc_lo, s1
	s_waitcnt vmcnt(0) lgkmcnt(0)
	v_fma_f64 v[45:46], v[57:58], v[59:60], v[45:46]
	s_and_not1_b32 exec_lo, exec_lo, s1
	s_cbranch_execnz .LBB85_105
; %bb.106:
	s_or_b32 exec_lo, exec_lo, s1
.LBB85_107:
	s_delay_alu instid0(SALU_CYCLE_1)
	s_or_b32 exec_lo, exec_lo, s4
	v_mov_b32_e32 v55, 0
	ds_load_b64 v[55:56], v55 offset:80
	s_waitcnt lgkmcnt(0)
	v_mul_f64 v[45:46], v[45:46], v[55:56]
	scratch_store_b64 off, v[45:46], off offset:80
.LBB85_108:
	s_or_b32 exec_lo, exec_lo, s3
	scratch_load_b64 v[45:46], off, off offset:72
	v_cmp_lt_u32_e64 s1, 9, v0
	s_waitcnt vmcnt(0)
	ds_store_b64 v48, v[45:46]
	s_waitcnt lgkmcnt(0)
	s_waitcnt_vscnt null, 0x0
	s_barrier
	buffer_gl0_inv
	s_and_saveexec_b32 s3, s1
	s_cbranch_execz .LBB85_118
; %bb.109:
	s_and_not1_b32 vcc_lo, exec_lo, s2
	s_cbranch_vccnz .LBB85_111
; %bb.110:
	scratch_load_b64 v[45:46], v49, off
	ds_load_b64 v[55:56], v48
	s_waitcnt vmcnt(0) lgkmcnt(0)
	v_mul_f64 v[45:46], v[45:46], v[55:56]
	s_cbranch_execz .LBB85_112
	s_branch .LBB85_113
.LBB85_111:
                                        ; implicit-def: $vgpr45_vgpr46
.LBB85_112:
	ds_load_b64 v[45:46], v48
.LBB85_113:
	s_and_saveexec_b32 s4, s0
	s_cbranch_execz .LBB85_117
; %bb.114:
	v_add_nc_u32_e32 v55, -10, v0
	s_movk_i32 s5, 0x100
	s_mov_b32 s0, 0
.LBB85_115:                             ; =>This Inner Loop Header: Depth=1
	scratch_load_b64 v[56:57], v54, off
	v_dual_mov_b32 v58, s5 :: v_dual_add_nc_u32 v55, -1, v55
	v_add_nc_u32_e32 v54, 8, v54
	s_add_i32 s5, s5, 8
	ds_load_b64 v[58:59], v58
	v_cmp_eq_u32_e32 vcc_lo, 0, v55
	s_or_b32 s0, vcc_lo, s0
	s_waitcnt vmcnt(0) lgkmcnt(0)
	v_fma_f64 v[45:46], v[56:57], v[58:59], v[45:46]
	s_and_not1_b32 exec_lo, exec_lo, s0
	s_cbranch_execnz .LBB85_115
; %bb.116:
	s_or_b32 exec_lo, exec_lo, s0
.LBB85_117:
	s_delay_alu instid0(SALU_CYCLE_1)
	s_or_b32 exec_lo, exec_lo, s4
	v_mov_b32_e32 v54, 0
	ds_load_b64 v[54:55], v54 offset:72
	s_waitcnt lgkmcnt(0)
	v_mul_f64 v[45:46], v[45:46], v[54:55]
	scratch_store_b64 off, v[45:46], off offset:72
.LBB85_118:
	s_or_b32 exec_lo, exec_lo, s3
	scratch_load_b64 v[45:46], off, off offset:64
	v_cmp_lt_u32_e64 s0, 8, v0
	s_waitcnt vmcnt(0)
	ds_store_b64 v48, v[45:46]
	s_waitcnt lgkmcnt(0)
	s_waitcnt_vscnt null, 0x0
	s_barrier
	buffer_gl0_inv
	s_and_saveexec_b32 s3, s0
	s_cbranch_execz .LBB85_128
; %bb.119:
	s_and_not1_b32 vcc_lo, exec_lo, s2
	s_cbranch_vccnz .LBB85_121
; %bb.120:
	scratch_load_b64 v[45:46], v49, off
	ds_load_b64 v[54:55], v48
	s_waitcnt vmcnt(0) lgkmcnt(0)
	v_mul_f64 v[45:46], v[45:46], v[54:55]
	s_cbranch_execz .LBB85_122
	s_branch .LBB85_123
.LBB85_121:
                                        ; implicit-def: $vgpr45_vgpr46
.LBB85_122:
	ds_load_b64 v[45:46], v48
.LBB85_123:
	s_and_saveexec_b32 s4, s1
	s_cbranch_execz .LBB85_127
; %bb.124:
	v_dual_mov_b32 v54, 0 :: v_dual_add_nc_u32 v55, -9, v0
	s_movk_i32 s5, 0xf8
	s_mov_b32 s1, 0
	s_delay_alu instid0(VALU_DEP_1)
	v_add_nc_u32_e32 v54, 0x48, v54
.LBB85_125:                             ; =>This Inner Loop Header: Depth=1
	scratch_load_b64 v[56:57], v54, off
	v_dual_mov_b32 v58, s5 :: v_dual_add_nc_u32 v55, -1, v55
	v_add_nc_u32_e32 v54, 8, v54
	s_add_i32 s5, s5, 8
	ds_load_b64 v[58:59], v58
	v_cmp_eq_u32_e32 vcc_lo, 0, v55
	s_or_b32 s1, vcc_lo, s1
	s_waitcnt vmcnt(0) lgkmcnt(0)
	v_fma_f64 v[45:46], v[56:57], v[58:59], v[45:46]
	s_and_not1_b32 exec_lo, exec_lo, s1
	s_cbranch_execnz .LBB85_125
; %bb.126:
	s_or_b32 exec_lo, exec_lo, s1
.LBB85_127:
	s_delay_alu instid0(SALU_CYCLE_1)
	s_or_b32 exec_lo, exec_lo, s4
	v_mov_b32_e32 v54, 0
	ds_load_b64 v[54:55], v54 offset:64
	s_waitcnt lgkmcnt(0)
	v_mul_f64 v[45:46], v[45:46], v[54:55]
	scratch_store_b64 off, v[45:46], off offset:64
.LBB85_128:
	s_or_b32 exec_lo, exec_lo, s3
	scratch_load_b64 v[45:46], off, off offset:56
	v_cmp_lt_u32_e64 s1, 7, v0
	s_waitcnt vmcnt(0)
	ds_store_b64 v48, v[45:46]
	s_waitcnt lgkmcnt(0)
	s_waitcnt_vscnt null, 0x0
	s_barrier
	buffer_gl0_inv
	s_and_saveexec_b32 s3, s1
	s_cbranch_execz .LBB85_138
; %bb.129:
	s_and_not1_b32 vcc_lo, exec_lo, s2
	s_cbranch_vccnz .LBB85_131
; %bb.130:
	scratch_load_b64 v[45:46], v49, off
	ds_load_b64 v[54:55], v48
	s_waitcnt vmcnt(0) lgkmcnt(0)
	v_mul_f64 v[45:46], v[45:46], v[54:55]
	s_cbranch_execz .LBB85_132
	s_branch .LBB85_133
.LBB85_131:
                                        ; implicit-def: $vgpr45_vgpr46
.LBB85_132:
	ds_load_b64 v[45:46], v48
.LBB85_133:
	s_and_saveexec_b32 s4, s0
	s_cbranch_execz .LBB85_137
; %bb.134:
	v_add_nc_u32_e32 v54, -8, v0
	s_movk_i32 s5, 0xf0
	s_mov_b32 s0, 0
.LBB85_135:                             ; =>This Inner Loop Header: Depth=1
	scratch_load_b64 v[55:56], v53, off
	v_dual_mov_b32 v57, s5 :: v_dual_add_nc_u32 v54, -1, v54
	v_add_nc_u32_e32 v53, 8, v53
	s_add_i32 s5, s5, 8
	ds_load_b64 v[57:58], v57
	v_cmp_eq_u32_e32 vcc_lo, 0, v54
	s_or_b32 s0, vcc_lo, s0
	s_waitcnt vmcnt(0) lgkmcnt(0)
	v_fma_f64 v[45:46], v[55:56], v[57:58], v[45:46]
	s_and_not1_b32 exec_lo, exec_lo, s0
	s_cbranch_execnz .LBB85_135
; %bb.136:
	s_or_b32 exec_lo, exec_lo, s0
.LBB85_137:
	s_delay_alu instid0(SALU_CYCLE_1)
	s_or_b32 exec_lo, exec_lo, s4
	v_mov_b32_e32 v53, 0
	ds_load_b64 v[53:54], v53 offset:56
	s_waitcnt lgkmcnt(0)
	v_mul_f64 v[45:46], v[45:46], v[53:54]
	scratch_store_b64 off, v[45:46], off offset:56
.LBB85_138:
	s_or_b32 exec_lo, exec_lo, s3
	scratch_load_b64 v[45:46], off, off offset:48
	v_cmp_lt_u32_e64 s0, 6, v0
	s_waitcnt vmcnt(0)
	ds_store_b64 v48, v[45:46]
	s_waitcnt lgkmcnt(0)
	s_waitcnt_vscnt null, 0x0
	s_barrier
	buffer_gl0_inv
	s_and_saveexec_b32 s3, s0
	s_cbranch_execz .LBB85_148
; %bb.139:
	s_and_not1_b32 vcc_lo, exec_lo, s2
	s_cbranch_vccnz .LBB85_141
; %bb.140:
	scratch_load_b64 v[45:46], v49, off
	ds_load_b64 v[53:54], v48
	s_waitcnt vmcnt(0) lgkmcnt(0)
	v_mul_f64 v[45:46], v[45:46], v[53:54]
	s_cbranch_execz .LBB85_142
	s_branch .LBB85_143
.LBB85_141:
                                        ; implicit-def: $vgpr45_vgpr46
.LBB85_142:
	ds_load_b64 v[45:46], v48
.LBB85_143:
	s_and_saveexec_b32 s4, s1
	s_cbranch_execz .LBB85_147
; %bb.144:
	v_add_nc_u32_e64 v53, 0, 56
	v_add_nc_u32_e32 v54, -7, v0
	s_movk_i32 s5, 0xe8
	s_mov_b32 s1, 0
.LBB85_145:                             ; =>This Inner Loop Header: Depth=1
	scratch_load_b64 v[55:56], v53, off
	v_dual_mov_b32 v57, s5 :: v_dual_add_nc_u32 v54, -1, v54
	v_add_nc_u32_e32 v53, 8, v53
	s_add_i32 s5, s5, 8
	ds_load_b64 v[57:58], v57
	v_cmp_eq_u32_e32 vcc_lo, 0, v54
	s_or_b32 s1, vcc_lo, s1
	s_waitcnt vmcnt(0) lgkmcnt(0)
	v_fma_f64 v[45:46], v[55:56], v[57:58], v[45:46]
	s_and_not1_b32 exec_lo, exec_lo, s1
	s_cbranch_execnz .LBB85_145
; %bb.146:
	s_or_b32 exec_lo, exec_lo, s1
.LBB85_147:
	s_delay_alu instid0(SALU_CYCLE_1)
	s_or_b32 exec_lo, exec_lo, s4
	v_mov_b32_e32 v53, 0
	ds_load_b64 v[53:54], v53 offset:48
	s_waitcnt lgkmcnt(0)
	v_mul_f64 v[45:46], v[45:46], v[53:54]
	scratch_store_b64 off, v[45:46], off offset:48
.LBB85_148:
	s_or_b32 exec_lo, exec_lo, s3
	scratch_load_b64 v[45:46], off, off offset:40
	v_cmp_lt_u32_e64 s1, 5, v0
	s_waitcnt vmcnt(0)
	ds_store_b64 v48, v[45:46]
	s_waitcnt lgkmcnt(0)
	s_waitcnt_vscnt null, 0x0
	s_barrier
	buffer_gl0_inv
	s_and_saveexec_b32 s3, s1
	s_cbranch_execz .LBB85_158
; %bb.149:
	s_and_not1_b32 vcc_lo, exec_lo, s2
	s_cbranch_vccnz .LBB85_151
; %bb.150:
	scratch_load_b64 v[45:46], v49, off
	ds_load_b64 v[53:54], v48
	s_waitcnt vmcnt(0) lgkmcnt(0)
	v_mul_f64 v[45:46], v[45:46], v[53:54]
	s_cbranch_execz .LBB85_152
	s_branch .LBB85_153
.LBB85_151:
                                        ; implicit-def: $vgpr45_vgpr46
.LBB85_152:
	ds_load_b64 v[45:46], v48
.LBB85_153:
	s_and_saveexec_b32 s4, s0
	s_cbranch_execz .LBB85_157
; %bb.154:
	v_add_nc_u32_e32 v53, -6, v0
	s_movk_i32 s5, 0xe0
	s_mov_b32 s0, 0
.LBB85_155:                             ; =>This Inner Loop Header: Depth=1
	scratch_load_b64 v[54:55], v52, off
	v_dual_mov_b32 v56, s5 :: v_dual_add_nc_u32 v53, -1, v53
	v_add_nc_u32_e32 v52, 8, v52
	s_add_i32 s5, s5, 8
	ds_load_b64 v[56:57], v56
	v_cmp_eq_u32_e32 vcc_lo, 0, v53
	s_or_b32 s0, vcc_lo, s0
	s_waitcnt vmcnt(0) lgkmcnt(0)
	v_fma_f64 v[45:46], v[54:55], v[56:57], v[45:46]
	s_and_not1_b32 exec_lo, exec_lo, s0
	s_cbranch_execnz .LBB85_155
; %bb.156:
	s_or_b32 exec_lo, exec_lo, s0
.LBB85_157:
	s_delay_alu instid0(SALU_CYCLE_1)
	s_or_b32 exec_lo, exec_lo, s4
	v_mov_b32_e32 v52, 0
	ds_load_b64 v[52:53], v52 offset:40
	s_waitcnt lgkmcnt(0)
	v_mul_f64 v[45:46], v[45:46], v[52:53]
	scratch_store_b64 off, v[45:46], off offset:40
.LBB85_158:
	s_or_b32 exec_lo, exec_lo, s3
	scratch_load_b64 v[45:46], off, off offset:32
	v_cmp_lt_u32_e64 s0, 4, v0
	s_waitcnt vmcnt(0)
	ds_store_b64 v48, v[45:46]
	s_waitcnt lgkmcnt(0)
	s_waitcnt_vscnt null, 0x0
	s_barrier
	buffer_gl0_inv
	s_and_saveexec_b32 s3, s0
	s_cbranch_execz .LBB85_168
; %bb.159:
	s_and_not1_b32 vcc_lo, exec_lo, s2
	s_cbranch_vccnz .LBB85_161
; %bb.160:
	scratch_load_b64 v[45:46], v49, off
	ds_load_b64 v[52:53], v48
	s_waitcnt vmcnt(0) lgkmcnt(0)
	v_mul_f64 v[45:46], v[45:46], v[52:53]
	s_cbranch_execz .LBB85_162
	s_branch .LBB85_163
.LBB85_161:
                                        ; implicit-def: $vgpr45_vgpr46
.LBB85_162:
	ds_load_b64 v[45:46], v48
.LBB85_163:
	s_and_saveexec_b32 s4, s1
	s_cbranch_execz .LBB85_167
; %bb.164:
	v_add_nc_u32_e64 v52, 0, 40
	v_add_nc_u32_e32 v53, -5, v0
	s_movk_i32 s5, 0xd8
	s_mov_b32 s1, 0
.LBB85_165:                             ; =>This Inner Loop Header: Depth=1
	scratch_load_b64 v[54:55], v52, off
	v_dual_mov_b32 v56, s5 :: v_dual_add_nc_u32 v53, -1, v53
	v_add_nc_u32_e32 v52, 8, v52
	s_add_i32 s5, s5, 8
	ds_load_b64 v[56:57], v56
	v_cmp_eq_u32_e32 vcc_lo, 0, v53
	s_or_b32 s1, vcc_lo, s1
	s_waitcnt vmcnt(0) lgkmcnt(0)
	v_fma_f64 v[45:46], v[54:55], v[56:57], v[45:46]
	s_and_not1_b32 exec_lo, exec_lo, s1
	s_cbranch_execnz .LBB85_165
; %bb.166:
	s_or_b32 exec_lo, exec_lo, s1
.LBB85_167:
	s_delay_alu instid0(SALU_CYCLE_1)
	s_or_b32 exec_lo, exec_lo, s4
	v_mov_b32_e32 v52, 0
	ds_load_b64 v[52:53], v52 offset:32
	s_waitcnt lgkmcnt(0)
	v_mul_f64 v[45:46], v[45:46], v[52:53]
	scratch_store_b64 off, v[45:46], off offset:32
.LBB85_168:
	s_or_b32 exec_lo, exec_lo, s3
	scratch_load_b64 v[45:46], off, off offset:24
	v_cmp_lt_u32_e64 s1, 3, v0
	s_waitcnt vmcnt(0)
	ds_store_b64 v48, v[45:46]
	s_waitcnt lgkmcnt(0)
	s_waitcnt_vscnt null, 0x0
	s_barrier
	buffer_gl0_inv
	s_and_saveexec_b32 s3, s1
	s_cbranch_execz .LBB85_178
; %bb.169:
	s_and_not1_b32 vcc_lo, exec_lo, s2
	s_cbranch_vccnz .LBB85_171
; %bb.170:
	scratch_load_b64 v[45:46], v49, off
	ds_load_b64 v[52:53], v48
	s_waitcnt vmcnt(0) lgkmcnt(0)
	v_mul_f64 v[45:46], v[45:46], v[52:53]
	s_cbranch_execz .LBB85_172
	s_branch .LBB85_173
.LBB85_171:
                                        ; implicit-def: $vgpr45_vgpr46
.LBB85_172:
	ds_load_b64 v[45:46], v48
.LBB85_173:
	s_and_saveexec_b32 s4, s0
	s_cbranch_execz .LBB85_177
; %bb.174:
	v_add_nc_u32_e32 v52, -4, v0
	s_movk_i32 s5, 0xd0
	s_mov_b32 s0, 0
.LBB85_175:                             ; =>This Inner Loop Header: Depth=1
	scratch_load_b64 v[53:54], v51, off
	v_dual_mov_b32 v55, s5 :: v_dual_add_nc_u32 v52, -1, v52
	v_add_nc_u32_e32 v51, 8, v51
	s_add_i32 s5, s5, 8
	ds_load_b64 v[55:56], v55
	v_cmp_eq_u32_e32 vcc_lo, 0, v52
	s_or_b32 s0, vcc_lo, s0
	s_waitcnt vmcnt(0) lgkmcnt(0)
	v_fma_f64 v[45:46], v[53:54], v[55:56], v[45:46]
	s_and_not1_b32 exec_lo, exec_lo, s0
	s_cbranch_execnz .LBB85_175
; %bb.176:
	s_or_b32 exec_lo, exec_lo, s0
.LBB85_177:
	s_delay_alu instid0(SALU_CYCLE_1)
	s_or_b32 exec_lo, exec_lo, s4
	v_mov_b32_e32 v51, 0
	ds_load_b64 v[51:52], v51 offset:24
	s_waitcnt lgkmcnt(0)
	v_mul_f64 v[45:46], v[45:46], v[51:52]
	scratch_store_b64 off, v[45:46], off offset:24
.LBB85_178:
	s_or_b32 exec_lo, exec_lo, s3
	scratch_load_b64 v[45:46], off, off offset:16
	v_cmp_lt_u32_e64 s0, 2, v0
	s_waitcnt vmcnt(0)
	ds_store_b64 v48, v[45:46]
	s_waitcnt lgkmcnt(0)
	s_waitcnt_vscnt null, 0x0
	s_barrier
	buffer_gl0_inv
	s_and_saveexec_b32 s3, s0
	s_cbranch_execz .LBB85_188
; %bb.179:
	s_and_not1_b32 vcc_lo, exec_lo, s2
	s_cbranch_vccnz .LBB85_181
; %bb.180:
	scratch_load_b64 v[45:46], v49, off
	ds_load_b64 v[51:52], v48
	s_waitcnt vmcnt(0) lgkmcnt(0)
	v_mul_f64 v[45:46], v[45:46], v[51:52]
	s_cbranch_execz .LBB85_182
	s_branch .LBB85_183
.LBB85_181:
                                        ; implicit-def: $vgpr45_vgpr46
.LBB85_182:
	ds_load_b64 v[45:46], v48
.LBB85_183:
	s_and_saveexec_b32 s4, s1
	s_cbranch_execz .LBB85_187
; %bb.184:
	v_add_nc_u32_e64 v51, 0, 24
	v_add_nc_u32_e32 v52, -3, v0
	s_movk_i32 s5, 0xc8
	s_mov_b32 s1, 0
.LBB85_185:                             ; =>This Inner Loop Header: Depth=1
	scratch_load_b64 v[53:54], v51, off
	v_dual_mov_b32 v55, s5 :: v_dual_add_nc_u32 v52, -1, v52
	v_add_nc_u32_e32 v51, 8, v51
	s_add_i32 s5, s5, 8
	ds_load_b64 v[55:56], v55
	v_cmp_eq_u32_e32 vcc_lo, 0, v52
	s_or_b32 s1, vcc_lo, s1
	s_waitcnt vmcnt(0) lgkmcnt(0)
	v_fma_f64 v[45:46], v[53:54], v[55:56], v[45:46]
	s_and_not1_b32 exec_lo, exec_lo, s1
	s_cbranch_execnz .LBB85_185
; %bb.186:
	s_or_b32 exec_lo, exec_lo, s1
.LBB85_187:
	s_delay_alu instid0(SALU_CYCLE_1)
	s_or_b32 exec_lo, exec_lo, s4
	v_mov_b32_e32 v51, 0
	ds_load_b64 v[51:52], v51 offset:16
	s_waitcnt lgkmcnt(0)
	v_mul_f64 v[45:46], v[45:46], v[51:52]
	scratch_store_b64 off, v[45:46], off offset:16
.LBB85_188:
	s_or_b32 exec_lo, exec_lo, s3
	scratch_load_b64 v[45:46], off, off offset:8
	v_cmp_lt_u32_e64 s1, 1, v0
	s_waitcnt vmcnt(0)
	ds_store_b64 v48, v[45:46]
	s_waitcnt lgkmcnt(0)
	s_waitcnt_vscnt null, 0x0
	s_barrier
	buffer_gl0_inv
	s_and_saveexec_b32 s3, s1
	s_cbranch_execz .LBB85_198
; %bb.189:
	s_and_not1_b32 vcc_lo, exec_lo, s2
	s_cbranch_vccnz .LBB85_191
; %bb.190:
	scratch_load_b64 v[45:46], v49, off
	ds_load_b64 v[51:52], v48
	s_waitcnt vmcnt(0) lgkmcnt(0)
	v_mul_f64 v[45:46], v[45:46], v[51:52]
	s_cbranch_execz .LBB85_192
	s_branch .LBB85_193
.LBB85_191:
                                        ; implicit-def: $vgpr45_vgpr46
.LBB85_192:
	ds_load_b64 v[45:46], v48
.LBB85_193:
	s_and_saveexec_b32 s4, s0
	s_cbranch_execz .LBB85_197
; %bb.194:
	v_add_nc_u32_e32 v51, -2, v0
	s_movk_i32 s5, 0xc0
	s_mov_b32 s0, 0
.LBB85_195:                             ; =>This Inner Loop Header: Depth=1
	scratch_load_b64 v[52:53], v50, off
	v_dual_mov_b32 v54, s5 :: v_dual_add_nc_u32 v51, -1, v51
	v_add_nc_u32_e32 v50, 8, v50
	s_add_i32 s5, s5, 8
	ds_load_b64 v[54:55], v54
	v_cmp_eq_u32_e32 vcc_lo, 0, v51
	s_or_b32 s0, vcc_lo, s0
	s_waitcnt vmcnt(0) lgkmcnt(0)
	v_fma_f64 v[45:46], v[52:53], v[54:55], v[45:46]
	s_and_not1_b32 exec_lo, exec_lo, s0
	s_cbranch_execnz .LBB85_195
; %bb.196:
	s_or_b32 exec_lo, exec_lo, s0
.LBB85_197:
	s_delay_alu instid0(SALU_CYCLE_1)
	s_or_b32 exec_lo, exec_lo, s4
	v_mov_b32_e32 v50, 0
	ds_load_b64 v[50:51], v50 offset:8
	s_waitcnt lgkmcnt(0)
	v_mul_f64 v[45:46], v[45:46], v[50:51]
	scratch_store_b64 off, v[45:46], off offset:8
.LBB85_198:
	s_or_b32 exec_lo, exec_lo, s3
	scratch_load_b64 v[45:46], off, off
	s_mov_b32 s0, 0
	s_mov_b32 s3, exec_lo
	s_waitcnt vmcnt(0)
	ds_store_b64 v48, v[45:46]
	s_waitcnt lgkmcnt(0)
	s_waitcnt_vscnt null, 0x0
	s_barrier
	buffer_gl0_inv
	v_cmpx_ne_u32_e32 0, v0
	s_cbranch_execz .LBB85_208
; %bb.199:
	s_and_not1_b32 vcc_lo, exec_lo, s2
	s_cbranch_vccnz .LBB85_201
; %bb.200:
	scratch_load_b64 v[45:46], v49, off
	ds_load_b64 v[50:51], v48
	s_waitcnt vmcnt(0) lgkmcnt(0)
	v_mul_f64 v[45:46], v[45:46], v[50:51]
	s_cbranch_execz .LBB85_202
	s_branch .LBB85_203
.LBB85_201:
                                        ; implicit-def: $vgpr45_vgpr46
.LBB85_202:
	ds_load_b64 v[45:46], v48
.LBB85_203:
	s_and_saveexec_b32 s4, s1
	s_cbranch_execz .LBB85_207
; %bb.204:
	v_or_b32_e64 v50, 0, 8
	v_add_nc_u32_e32 v51, -1, v0
	s_movk_i32 s5, 0xb8
	s_mov_b32 s1, 0
.LBB85_205:                             ; =>This Inner Loop Header: Depth=1
	scratch_load_b64 v[52:53], v50, off
	v_dual_mov_b32 v54, s5 :: v_dual_add_nc_u32 v51, -1, v51
	v_add_nc_u32_e32 v50, 8, v50
	s_add_i32 s5, s5, 8
	ds_load_b64 v[54:55], v54
	v_cmp_eq_u32_e32 vcc_lo, 0, v51
	s_or_b32 s1, vcc_lo, s1
	s_waitcnt vmcnt(0) lgkmcnt(0)
	v_fma_f64 v[45:46], v[52:53], v[54:55], v[45:46]
	s_and_not1_b32 exec_lo, exec_lo, s1
	s_cbranch_execnz .LBB85_205
; %bb.206:
	s_or_b32 exec_lo, exec_lo, s1
.LBB85_207:
	s_delay_alu instid0(SALU_CYCLE_1)
	s_or_b32 exec_lo, exec_lo, s4
	v_mov_b32_e32 v50, 0
	ds_load_b64 v[50:51], v50
	s_waitcnt lgkmcnt(0)
	v_mul_f64 v[45:46], v[45:46], v[50:51]
	scratch_store_b64 off, v[45:46], off
.LBB85_208:
	s_or_b32 exec_lo, exec_lo, s3
.LBB85_209:
	s_delay_alu instid0(SALU_CYCLE_1)
	s_and_b32 vcc_lo, exec_lo, s0
	s_cbranch_vccz .LBB85_415
; %bb.210:
	scratch_load_b64 v[45:46], off, off offset:8
	v_cmp_eq_u32_e64 s0, 0, v0
	s_waitcnt vmcnt(0)
	ds_store_b64 v48, v[45:46]
	s_waitcnt lgkmcnt(0)
	s_waitcnt_vscnt null, 0x0
	s_barrier
	buffer_gl0_inv
	s_and_saveexec_b32 s1, s0
	s_cbranch_execz .LBB85_216
; %bb.211:
	s_and_b32 vcc_lo, exec_lo, s2
	s_cbranch_vccz .LBB85_213
; %bb.212:
	scratch_load_b64 v[45:46], v49, off
	ds_load_b64 v[50:51], v48
	s_waitcnt vmcnt(0) lgkmcnt(0)
	v_mul_f64 v[45:46], v[45:46], v[50:51]
	s_cbranch_execz .LBB85_214
	s_branch .LBB85_215
.LBB85_213:
                                        ; implicit-def: $vgpr45_vgpr46
.LBB85_214:
	ds_load_b64 v[45:46], v48
.LBB85_215:
	v_mov_b32_e32 v50, 0
	ds_load_b64 v[50:51], v50 offset:8
	s_waitcnt lgkmcnt(0)
	v_mul_f64 v[45:46], v[45:46], v[50:51]
	scratch_store_b64 off, v[45:46], off offset:8
.LBB85_216:
	s_or_b32 exec_lo, exec_lo, s1
	scratch_load_b64 v[45:46], off, off offset:16
	v_cndmask_b32_e64 v50, 0, 1, s2
	s_mov_b32 s1, exec_lo
	s_waitcnt vmcnt(0)
	ds_store_b64 v48, v[45:46]
	s_waitcnt lgkmcnt(0)
	s_waitcnt_vscnt null, 0x0
	s_barrier
	buffer_gl0_inv
	v_cmpx_gt_u32_e32 2, v0
	s_cbranch_execz .LBB85_224
; %bb.217:
	s_and_not1_b32 vcc_lo, exec_lo, s2
	s_cbranch_vccnz .LBB85_219
; %bb.218:
	scratch_load_b64 v[45:46], v49, off
	ds_load_b64 v[51:52], v48
	s_waitcnt vmcnt(0) lgkmcnt(0)
	v_mul_f64 v[45:46], v[45:46], v[51:52]
	s_cbranch_execz .LBB85_220
	s_branch .LBB85_221
.LBB85_219:
                                        ; implicit-def: $vgpr45_vgpr46
.LBB85_220:
	ds_load_b64 v[45:46], v48
.LBB85_221:
	s_and_saveexec_b32 s2, s0
	s_cbranch_execz .LBB85_223
; %bb.222:
	scratch_load_b64 v[51:52], v49, off offset:8
	ds_load_b64 v[53:54], v48 offset:8
	s_waitcnt vmcnt(0) lgkmcnt(0)
	v_fma_f64 v[45:46], v[51:52], v[53:54], v[45:46]
.LBB85_223:
	s_or_b32 exec_lo, exec_lo, s2
	v_mov_b32_e32 v51, 0
	ds_load_b64 v[51:52], v51 offset:16
	s_waitcnt lgkmcnt(0)
	v_mul_f64 v[45:46], v[45:46], v[51:52]
	scratch_store_b64 off, v[45:46], off offset:16
.LBB85_224:
	s_or_b32 exec_lo, exec_lo, s1
	scratch_load_b64 v[45:46], off, off offset:24
	s_mov_b32 s1, exec_lo
	s_waitcnt vmcnt(0)
	ds_store_b64 v48, v[45:46]
	s_waitcnt lgkmcnt(0)
	s_waitcnt_vscnt null, 0x0
	s_barrier
	buffer_gl0_inv
	v_cmpx_gt_u32_e32 3, v0
	s_cbranch_execz .LBB85_234
; %bb.225:
	v_cmp_ne_u32_e32 vcc_lo, 1, v50
	s_cbranch_vccnz .LBB85_227
; %bb.226:
	scratch_load_b64 v[45:46], v49, off
	ds_load_b64 v[51:52], v48
	s_waitcnt vmcnt(0) lgkmcnt(0)
	v_mul_f64 v[45:46], v[45:46], v[51:52]
	s_cbranch_execz .LBB85_228
	s_branch .LBB85_229
.LBB85_227:
                                        ; implicit-def: $vgpr45_vgpr46
.LBB85_228:
	ds_load_b64 v[45:46], v48
.LBB85_229:
	s_mov_b32 s2, exec_lo
	v_cmpx_ne_u32_e32 2, v0
	s_cbranch_execz .LBB85_233
; %bb.230:
	scratch_load_b64 v[51:52], v49, off offset:8
	ds_load_b64 v[53:54], v48 offset:8
	s_waitcnt vmcnt(0) lgkmcnt(0)
	v_fma_f64 v[45:46], v[51:52], v[53:54], v[45:46]
	s_and_saveexec_b32 s3, s0
	s_cbranch_execz .LBB85_232
; %bb.231:
	scratch_load_b64 v[51:52], off, off offset:16
	v_mov_b32_e32 v53, 0
	ds_load_b64 v[53:54], v53 offset:192
	s_waitcnt vmcnt(0) lgkmcnt(0)
	v_fma_f64 v[45:46], v[51:52], v[53:54], v[45:46]
.LBB85_232:
	s_or_b32 exec_lo, exec_lo, s3
.LBB85_233:
	s_delay_alu instid0(SALU_CYCLE_1)
	s_or_b32 exec_lo, exec_lo, s2
	v_mov_b32_e32 v51, 0
	ds_load_b64 v[51:52], v51 offset:24
	s_waitcnt lgkmcnt(0)
	v_mul_f64 v[45:46], v[45:46], v[51:52]
	scratch_store_b64 off, v[45:46], off offset:24
.LBB85_234:
	s_or_b32 exec_lo, exec_lo, s1
	scratch_load_b64 v[45:46], off, off offset:32
	s_mov_b32 s0, exec_lo
	s_waitcnt vmcnt(0)
	ds_store_b64 v48, v[45:46]
	s_waitcnt lgkmcnt(0)
	s_waitcnt_vscnt null, 0x0
	s_barrier
	buffer_gl0_inv
	v_cmpx_gt_u32_e32 4, v0
	s_cbranch_execz .LBB85_244
; %bb.235:
	v_cmp_ne_u32_e32 vcc_lo, 1, v50
	s_cbranch_vccnz .LBB85_237
; %bb.236:
	scratch_load_b64 v[45:46], v49, off
	ds_load_b64 v[51:52], v48
	s_waitcnt vmcnt(0) lgkmcnt(0)
	v_mul_f64 v[45:46], v[45:46], v[51:52]
	s_cbranch_execz .LBB85_238
	s_branch .LBB85_239
.LBB85_237:
                                        ; implicit-def: $vgpr45_vgpr46
.LBB85_238:
	ds_load_b64 v[45:46], v48
.LBB85_239:
	s_mov_b32 s1, exec_lo
	v_cmpx_ne_u32_e32 3, v0
	s_cbranch_execz .LBB85_243
; %bb.240:
	v_add_nc_u32_e32 v51, 0xb8, v47
	v_add3_u32 v52, 0, v47, 8
	v_mov_b32_e32 v53, v0
	s_mov_b32 s2, 0
.LBB85_241:                             ; =>This Inner Loop Header: Depth=1
	scratch_load_b64 v[54:55], v52, off
	ds_load_b64 v[56:57], v51
	v_add_nc_u32_e32 v53, 1, v53
	v_add_nc_u32_e32 v51, 8, v51
	v_add_nc_u32_e32 v52, 8, v52
	s_delay_alu instid0(VALU_DEP_3)
	v_cmp_lt_u32_e32 vcc_lo, 2, v53
	s_or_b32 s2, vcc_lo, s2
	s_waitcnt vmcnt(0) lgkmcnt(0)
	v_fma_f64 v[45:46], v[54:55], v[56:57], v[45:46]
	s_and_not1_b32 exec_lo, exec_lo, s2
	s_cbranch_execnz .LBB85_241
; %bb.242:
	s_or_b32 exec_lo, exec_lo, s2
.LBB85_243:
	s_delay_alu instid0(SALU_CYCLE_1)
	s_or_b32 exec_lo, exec_lo, s1
	v_mov_b32_e32 v51, 0
	ds_load_b64 v[51:52], v51 offset:32
	s_waitcnt lgkmcnt(0)
	v_mul_f64 v[45:46], v[45:46], v[51:52]
	scratch_store_b64 off, v[45:46], off offset:32
.LBB85_244:
	s_or_b32 exec_lo, exec_lo, s0
	scratch_load_b64 v[45:46], off, off offset:40
	s_mov_b32 s0, exec_lo
	s_waitcnt vmcnt(0)
	ds_store_b64 v48, v[45:46]
	s_waitcnt lgkmcnt(0)
	s_waitcnt_vscnt null, 0x0
	s_barrier
	buffer_gl0_inv
	v_cmpx_gt_u32_e32 5, v0
	s_cbranch_execz .LBB85_254
; %bb.245:
	v_cmp_ne_u32_e32 vcc_lo, 1, v50
	s_cbranch_vccnz .LBB85_247
; %bb.246:
	scratch_load_b64 v[45:46], v49, off
	ds_load_b64 v[51:52], v48
	s_waitcnt vmcnt(0) lgkmcnt(0)
	v_mul_f64 v[45:46], v[45:46], v[51:52]
	s_cbranch_execz .LBB85_248
	s_branch .LBB85_249
.LBB85_247:
                                        ; implicit-def: $vgpr45_vgpr46
.LBB85_248:
	ds_load_b64 v[45:46], v48
.LBB85_249:
	s_mov_b32 s1, exec_lo
	v_cmpx_ne_u32_e32 4, v0
	s_cbranch_execz .LBB85_253
; %bb.250:
	v_add_nc_u32_e32 v51, 0xb8, v47
	v_add3_u32 v52, 0, v47, 8
	v_mov_b32_e32 v53, v0
	s_mov_b32 s2, 0
.LBB85_251:                             ; =>This Inner Loop Header: Depth=1
	scratch_load_b64 v[54:55], v52, off
	ds_load_b64 v[56:57], v51
	v_add_nc_u32_e32 v53, 1, v53
	v_add_nc_u32_e32 v51, 8, v51
	v_add_nc_u32_e32 v52, 8, v52
	s_delay_alu instid0(VALU_DEP_3)
	v_cmp_lt_u32_e32 vcc_lo, 3, v53
	s_or_b32 s2, vcc_lo, s2
	s_waitcnt vmcnt(0) lgkmcnt(0)
	v_fma_f64 v[45:46], v[54:55], v[56:57], v[45:46]
	s_and_not1_b32 exec_lo, exec_lo, s2
	s_cbranch_execnz .LBB85_251
; %bb.252:
	s_or_b32 exec_lo, exec_lo, s2
.LBB85_253:
	s_delay_alu instid0(SALU_CYCLE_1)
	s_or_b32 exec_lo, exec_lo, s1
	v_mov_b32_e32 v51, 0
	ds_load_b64 v[51:52], v51 offset:40
	s_waitcnt lgkmcnt(0)
	v_mul_f64 v[45:46], v[45:46], v[51:52]
	scratch_store_b64 off, v[45:46], off offset:40
.LBB85_254:
	;; [unrolled: 58-line block ×16, first 2 shown]
	s_or_b32 exec_lo, exec_lo, s0
	scratch_load_b64 v[45:46], off, off offset:160
	v_cmp_gt_u32_e64 s0, 20, v0
	s_waitcnt vmcnt(0)
	ds_store_b64 v48, v[45:46]
	s_waitcnt lgkmcnt(0)
	s_waitcnt_vscnt null, 0x0
	s_barrier
	buffer_gl0_inv
	s_and_saveexec_b32 s1, s0
	s_cbranch_execz .LBB85_404
; %bb.395:
	v_cmp_ne_u32_e32 vcc_lo, 1, v50
	s_cbranch_vccnz .LBB85_397
; %bb.396:
	scratch_load_b64 v[45:46], v49, off
	ds_load_b64 v[51:52], v48
	s_waitcnt vmcnt(0) lgkmcnt(0)
	v_mul_f64 v[45:46], v[45:46], v[51:52]
	s_cbranch_execz .LBB85_398
	s_branch .LBB85_399
.LBB85_397:
                                        ; implicit-def: $vgpr45_vgpr46
.LBB85_398:
	ds_load_b64 v[45:46], v48
.LBB85_399:
	s_mov_b32 s2, exec_lo
	v_cmpx_ne_u32_e32 19, v0
	s_cbranch_execz .LBB85_403
; %bb.400:
	v_add_nc_u32_e32 v51, 0xb8, v47
	v_add3_u32 v52, 0, v47, 8
	v_mov_b32_e32 v53, v0
	s_mov_b32 s3, 0
.LBB85_401:                             ; =>This Inner Loop Header: Depth=1
	scratch_load_b64 v[54:55], v52, off
	ds_load_b64 v[56:57], v51
	v_add_nc_u32_e32 v53, 1, v53
	v_add_nc_u32_e32 v51, 8, v51
	;; [unrolled: 1-line block ×3, first 2 shown]
	s_delay_alu instid0(VALU_DEP_3)
	v_cmp_lt_u32_e32 vcc_lo, 18, v53
	s_or_b32 s3, vcc_lo, s3
	s_waitcnt vmcnt(0) lgkmcnt(0)
	v_fma_f64 v[45:46], v[54:55], v[56:57], v[45:46]
	s_and_not1_b32 exec_lo, exec_lo, s3
	s_cbranch_execnz .LBB85_401
; %bb.402:
	s_or_b32 exec_lo, exec_lo, s3
.LBB85_403:
	s_delay_alu instid0(SALU_CYCLE_1)
	s_or_b32 exec_lo, exec_lo, s2
	v_mov_b32_e32 v51, 0
	ds_load_b64 v[51:52], v51 offset:160
	s_waitcnt lgkmcnt(0)
	v_mul_f64 v[45:46], v[45:46], v[51:52]
	scratch_store_b64 off, v[45:46], off offset:160
.LBB85_404:
	s_or_b32 exec_lo, exec_lo, s1
	scratch_load_b64 v[45:46], off, off offset:168
	s_mov_b32 s1, exec_lo
	s_waitcnt vmcnt(0)
	ds_store_b64 v48, v[45:46]
	s_waitcnt lgkmcnt(0)
	s_waitcnt_vscnt null, 0x0
	s_barrier
	buffer_gl0_inv
	v_cmpx_ne_u32_e32 21, v0
	s_cbranch_execz .LBB85_414
; %bb.405:
	v_cmp_ne_u32_e32 vcc_lo, 1, v50
	s_cbranch_vccnz .LBB85_407
; %bb.406:
	scratch_load_b64 v[45:46], v49, off
	ds_load_b64 v[49:50], v48
	s_waitcnt vmcnt(0) lgkmcnt(0)
	v_mul_f64 v[45:46], v[45:46], v[49:50]
	s_cbranch_execz .LBB85_408
	s_branch .LBB85_409
.LBB85_407:
                                        ; implicit-def: $vgpr45_vgpr46
.LBB85_408:
	ds_load_b64 v[45:46], v48
.LBB85_409:
	s_and_saveexec_b32 s2, s0
	s_cbranch_execz .LBB85_413
; %bb.410:
	v_add_nc_u32_e32 v48, 0xb8, v47
	v_add3_u32 v47, 0, v47, 8
	s_mov_b32 s0, 0
.LBB85_411:                             ; =>This Inner Loop Header: Depth=1
	scratch_load_b64 v[49:50], v47, off
	ds_load_b64 v[51:52], v48
	v_add_nc_u32_e32 v0, 1, v0
	v_add_nc_u32_e32 v48, 8, v48
	;; [unrolled: 1-line block ×3, first 2 shown]
	s_delay_alu instid0(VALU_DEP_3)
	v_cmp_lt_u32_e32 vcc_lo, 19, v0
	s_or_b32 s0, vcc_lo, s0
	s_waitcnt vmcnt(0) lgkmcnt(0)
	v_fma_f64 v[45:46], v[49:50], v[51:52], v[45:46]
	s_and_not1_b32 exec_lo, exec_lo, s0
	s_cbranch_execnz .LBB85_411
; %bb.412:
	s_or_b32 exec_lo, exec_lo, s0
.LBB85_413:
	s_delay_alu instid0(SALU_CYCLE_1)
	s_or_b32 exec_lo, exec_lo, s2
	v_mov_b32_e32 v0, 0
	ds_load_b64 v[47:48], v0 offset:168
	s_waitcnt lgkmcnt(0)
	v_mul_f64 v[45:46], v[45:46], v[47:48]
	scratch_store_b64 off, v[45:46], off offset:168
.LBB85_414:
	s_or_b32 exec_lo, exec_lo, s1
.LBB85_415:
	s_clause 0xa
	scratch_load_b128 v[45:48], off, off
	scratch_load_b128 v[49:52], off, off offset:16
	scratch_load_b128 v[53:56], off, off offset:32
	;; [unrolled: 1-line block ×10, first 2 shown]
	s_waitcnt vmcnt(10)
	s_clause 0x1
	global_store_b64 v[1:2], v[45:46], off
	global_store_b64 v[9:10], v[47:48], off
	s_waitcnt vmcnt(9)
	s_clause 0x1
	global_store_b64 v[3:4], v[49:50], off
	global_store_b64 v[5:6], v[51:52], off
	;; [unrolled: 4-line block ×11, first 2 shown]
.LBB85_416:
	s_endpgm
	.section	.rodata,"a",@progbits
	.p2align	6, 0x0
	.amdhsa_kernel _ZN9rocsolver6v33100L18trti2_kernel_smallILi22EdPKPdEEv13rocblas_fill_17rocblas_diagonal_T1_iil
		.amdhsa_group_segment_fixed_size 352
		.amdhsa_private_segment_fixed_size 192
		.amdhsa_kernarg_size 32
		.amdhsa_user_sgpr_count 15
		.amdhsa_user_sgpr_dispatch_ptr 0
		.amdhsa_user_sgpr_queue_ptr 0
		.amdhsa_user_sgpr_kernarg_segment_ptr 1
		.amdhsa_user_sgpr_dispatch_id 0
		.amdhsa_user_sgpr_private_segment_size 0
		.amdhsa_wavefront_size32 1
		.amdhsa_uses_dynamic_stack 0
		.amdhsa_enable_private_segment 1
		.amdhsa_system_sgpr_workgroup_id_x 1
		.amdhsa_system_sgpr_workgroup_id_y 0
		.amdhsa_system_sgpr_workgroup_id_z 0
		.amdhsa_system_sgpr_workgroup_info 0
		.amdhsa_system_vgpr_workitem_id 0
		.amdhsa_next_free_vgpr 92
		.amdhsa_next_free_sgpr 16
		.amdhsa_reserve_vcc 1
		.amdhsa_float_round_mode_32 0
		.amdhsa_float_round_mode_16_64 0
		.amdhsa_float_denorm_mode_32 3
		.amdhsa_float_denorm_mode_16_64 3
		.amdhsa_dx10_clamp 1
		.amdhsa_ieee_mode 1
		.amdhsa_fp16_overflow 0
		.amdhsa_workgroup_processor_mode 1
		.amdhsa_memory_ordered 1
		.amdhsa_forward_progress 0
		.amdhsa_shared_vgpr_count 0
		.amdhsa_exception_fp_ieee_invalid_op 0
		.amdhsa_exception_fp_denorm_src 0
		.amdhsa_exception_fp_ieee_div_zero 0
		.amdhsa_exception_fp_ieee_overflow 0
		.amdhsa_exception_fp_ieee_underflow 0
		.amdhsa_exception_fp_ieee_inexact 0
		.amdhsa_exception_int_div_zero 0
	.end_amdhsa_kernel
	.section	.text._ZN9rocsolver6v33100L18trti2_kernel_smallILi22EdPKPdEEv13rocblas_fill_17rocblas_diagonal_T1_iil,"axG",@progbits,_ZN9rocsolver6v33100L18trti2_kernel_smallILi22EdPKPdEEv13rocblas_fill_17rocblas_diagonal_T1_iil,comdat
.Lfunc_end85:
	.size	_ZN9rocsolver6v33100L18trti2_kernel_smallILi22EdPKPdEEv13rocblas_fill_17rocblas_diagonal_T1_iil, .Lfunc_end85-_ZN9rocsolver6v33100L18trti2_kernel_smallILi22EdPKPdEEv13rocblas_fill_17rocblas_diagonal_T1_iil
                                        ; -- End function
	.section	.AMDGPU.csdata,"",@progbits
; Kernel info:
; codeLenInByte = 11692
; NumSgprs: 18
; NumVgprs: 92
; ScratchSize: 192
; MemoryBound: 0
; FloatMode: 240
; IeeeMode: 1
; LDSByteSize: 352 bytes/workgroup (compile time only)
; SGPRBlocks: 2
; VGPRBlocks: 11
; NumSGPRsForWavesPerEU: 18
; NumVGPRsForWavesPerEU: 92
; Occupancy: 16
; WaveLimiterHint : 1
; COMPUTE_PGM_RSRC2:SCRATCH_EN: 1
; COMPUTE_PGM_RSRC2:USER_SGPR: 15
; COMPUTE_PGM_RSRC2:TRAP_HANDLER: 0
; COMPUTE_PGM_RSRC2:TGID_X_EN: 1
; COMPUTE_PGM_RSRC2:TGID_Y_EN: 0
; COMPUTE_PGM_RSRC2:TGID_Z_EN: 0
; COMPUTE_PGM_RSRC2:TIDIG_COMP_CNT: 0
	.section	.text._ZN9rocsolver6v33100L18trti2_kernel_smallILi23EdPKPdEEv13rocblas_fill_17rocblas_diagonal_T1_iil,"axG",@progbits,_ZN9rocsolver6v33100L18trti2_kernel_smallILi23EdPKPdEEv13rocblas_fill_17rocblas_diagonal_T1_iil,comdat
	.globl	_ZN9rocsolver6v33100L18trti2_kernel_smallILi23EdPKPdEEv13rocblas_fill_17rocblas_diagonal_T1_iil ; -- Begin function _ZN9rocsolver6v33100L18trti2_kernel_smallILi23EdPKPdEEv13rocblas_fill_17rocblas_diagonal_T1_iil
	.p2align	8
	.type	_ZN9rocsolver6v33100L18trti2_kernel_smallILi23EdPKPdEEv13rocblas_fill_17rocblas_diagonal_T1_iil,@function
_ZN9rocsolver6v33100L18trti2_kernel_smallILi23EdPKPdEEv13rocblas_fill_17rocblas_diagonal_T1_iil: ; @_ZN9rocsolver6v33100L18trti2_kernel_smallILi23EdPKPdEEv13rocblas_fill_17rocblas_diagonal_T1_iil
; %bb.0:
	s_mov_b32 s2, exec_lo
	v_cmpx_gt_u32_e32 23, v0
	s_cbranch_execz .LBB86_436
; %bb.1:
	s_clause 0x1
	s_load_b64 s[4:5], s[0:1], 0x10
	s_load_b128 s[0:3], s[0:1], 0x0
	s_mov_b32 s6, s15
	s_ashr_i32 s7, s15, 31
	v_lshlrev_b32_e32 v49, 3, v0
	s_lshl_b64 s[6:7], s[6:7], 3
	s_waitcnt lgkmcnt(0)
	v_add3_u32 v5, s5, s5, v0
	s_ashr_i32 s9, s4, 31
	s_add_u32 s2, s2, s6
	s_addc_u32 s3, s3, s7
	s_mov_b32 s8, s4
	v_add_nc_u32_e32 v7, s5, v5
	s_load_b64 s[2:3], s[2:3], 0x0
	s_lshl_b64 s[6:7], s[8:9], 3
	v_ashrrev_i32_e32 v6, 31, v5
	s_mov_b32 s8, s5
	v_add_nc_u32_e32 v9, s5, v7
	v_ashrrev_i32_e32 v8, 31, v7
	s_delay_alu instid0(VALU_DEP_3) | instskip(NEXT) | instid1(VALU_DEP_3)
	v_lshlrev_b64 v[5:6], 3, v[5:6]
	v_add_nc_u32_e32 v11, s5, v9
	v_ashrrev_i32_e32 v10, 31, v9
	s_delay_alu instid0(VALU_DEP_4) | instskip(NEXT) | instid1(VALU_DEP_3)
	v_lshlrev_b64 v[7:8], 3, v[7:8]
	v_add_nc_u32_e32 v13, s5, v11
	v_ashrrev_i32_e32 v12, 31, v11
	s_delay_alu instid0(VALU_DEP_4) | instskip(NEXT) | instid1(VALU_DEP_3)
	v_lshlrev_b64 v[9:10], 3, v[9:10]
	v_add_nc_u32_e32 v15, s5, v13
	s_waitcnt lgkmcnt(0)
	s_add_u32 s2, s2, s6
	s_addc_u32 s3, s3, s7
	v_add_co_u32 v1, s4, s2, v49
	v_add_nc_u32_e32 v17, s5, v15
	s_ashr_i32 s9, s5, 31
	v_add_co_ci_u32_e64 v2, null, s3, 0, s4
	s_lshl_b64 s[6:7], s[8:9], 3
	s_delay_alu instid0(VALU_DEP_2) | instskip(SKIP_1) | instid1(VALU_DEP_3)
	v_add_nc_u32_e32 v19, s5, v17
	v_add_co_u32 v3, vcc_lo, v1, s6
	v_add_co_ci_u32_e32 v4, vcc_lo, s7, v2, vcc_lo
	s_delay_alu instid0(VALU_DEP_3) | instskip(SKIP_3) | instid1(VALU_DEP_4)
	v_add_nc_u32_e32 v21, s5, v19
	v_add_co_u32 v5, vcc_lo, s2, v5
	v_ashrrev_i32_e32 v14, 31, v13
	v_add_co_ci_u32_e32 v6, vcc_lo, s3, v6, vcc_lo
	v_add_nc_u32_e32 v23, s5, v21
	v_lshlrev_b64 v[11:12], 3, v[11:12]
	v_add_co_u32 v7, vcc_lo, s2, v7
	v_ashrrev_i32_e32 v16, 31, v15
	s_delay_alu instid0(VALU_DEP_4) | instskip(SKIP_2) | instid1(VALU_DEP_3)
	v_add_nc_u32_e32 v25, s5, v23
	v_add_co_ci_u32_e32 v8, vcc_lo, s3, v8, vcc_lo
	v_add_co_u32 v9, vcc_lo, s2, v9
	v_add_nc_u32_e32 v27, s5, v25
	v_lshlrev_b64 v[13:14], 3, v[13:14]
	v_ashrrev_i32_e32 v18, 31, v17
	v_add_co_ci_u32_e32 v10, vcc_lo, s3, v10, vcc_lo
	s_delay_alu instid0(VALU_DEP_4) | instskip(SKIP_3) | instid1(VALU_DEP_4)
	v_add_nc_u32_e32 v29, s5, v27
	v_add_co_u32 v11, vcc_lo, s2, v11
	v_lshlrev_b64 v[15:16], 3, v[15:16]
	v_ashrrev_i32_e32 v20, 31, v19
	v_add_nc_u32_e32 v31, s5, v29
	v_add_co_ci_u32_e32 v12, vcc_lo, s3, v12, vcc_lo
	v_add_co_u32 v13, vcc_lo, s2, v13
	s_delay_alu instid0(VALU_DEP_3)
	v_add_nc_u32_e32 v33, s5, v31
	v_lshlrev_b64 v[17:18], 3, v[17:18]
	v_ashrrev_i32_e32 v22, 31, v21
	v_add_co_ci_u32_e32 v14, vcc_lo, s3, v14, vcc_lo
	v_add_co_u32 v15, vcc_lo, s2, v15
	v_lshlrev_b64 v[19:20], 3, v[19:20]
	v_ashrrev_i32_e32 v24, 31, v23
	v_add_nc_u32_e32 v35, s5, v33
	v_add_co_ci_u32_e32 v16, vcc_lo, s3, v16, vcc_lo
	v_add_co_u32 v17, vcc_lo, s2, v17
	v_lshlrev_b64 v[21:22], 3, v[21:22]
	v_ashrrev_i32_e32 v26, 31, v25
	v_add_co_ci_u32_e32 v18, vcc_lo, s3, v18, vcc_lo
	v_add_co_u32 v19, vcc_lo, s2, v19
	v_lshlrev_b64 v[23:24], 3, v[23:24]
	v_add_nc_u32_e32 v37, s5, v35
	v_ashrrev_i32_e32 v28, 31, v27
	v_add_co_ci_u32_e32 v20, vcc_lo, s3, v20, vcc_lo
	v_add_co_u32 v21, vcc_lo, s2, v21
	v_lshlrev_b64 v[25:26], 3, v[25:26]
	v_ashrrev_i32_e32 v30, 31, v29
	v_add_co_ci_u32_e32 v22, vcc_lo, s3, v22, vcc_lo
	v_add_nc_u32_e32 v39, s5, v37
	v_add_co_u32 v23, vcc_lo, s2, v23
	v_lshlrev_b64 v[27:28], 3, v[27:28]
	v_ashrrev_i32_e32 v32, 31, v31
	v_add_co_ci_u32_e32 v24, vcc_lo, s3, v24, vcc_lo
	v_add_co_u32 v25, vcc_lo, s2, v25
	v_lshlrev_b64 v[29:30], 3, v[29:30]
	v_ashrrev_i32_e32 v34, 31, v33
	v_add_nc_u32_e32 v41, s5, v39
	v_add_co_ci_u32_e32 v26, vcc_lo, s3, v26, vcc_lo
	v_add_co_u32 v27, vcc_lo, s2, v27
	v_lshlrev_b64 v[31:32], 3, v[31:32]
	v_ashrrev_i32_e32 v36, 31, v35
	v_add_co_ci_u32_e32 v28, vcc_lo, s3, v28, vcc_lo
	v_add_co_u32 v29, vcc_lo, s2, v29
	v_lshlrev_b64 v[33:34], 3, v[33:34]
	v_add_nc_u32_e32 v43, s5, v41
	v_ashrrev_i32_e32 v38, 31, v37
	v_add_co_ci_u32_e32 v30, vcc_lo, s3, v30, vcc_lo
	v_add_co_u32 v31, vcc_lo, s2, v31
	v_lshlrev_b64 v[35:36], 3, v[35:36]
	v_ashrrev_i32_e32 v40, 31, v39
	v_add_co_ci_u32_e32 v32, vcc_lo, s3, v32, vcc_lo
	v_add_nc_u32_e32 v45, s5, v43
	v_add_co_u32 v33, vcc_lo, s2, v33
	v_lshlrev_b64 v[37:38], 3, v[37:38]
	v_ashrrev_i32_e32 v42, 31, v41
	v_add_co_ci_u32_e32 v34, vcc_lo, s3, v34, vcc_lo
	v_add_co_u32 v35, vcc_lo, s2, v35
	v_lshlrev_b64 v[39:40], 3, v[39:40]
	v_ashrrev_i32_e32 v44, 31, v43
	v_ashrrev_i32_e32 v46, 31, v45
	v_add_co_ci_u32_e32 v36, vcc_lo, s3, v36, vcc_lo
	v_add_co_u32 v37, vcc_lo, s2, v37
	v_lshlrev_b64 v[41:42], 3, v[41:42]
	v_add_co_ci_u32_e32 v38, vcc_lo, s3, v38, vcc_lo
	v_add_co_u32 v39, vcc_lo, s2, v39
	v_lshlrev_b64 v[47:48], 3, v[43:44]
	v_lshlrev_b64 v[43:44], 3, v[45:46]
	v_add_co_ci_u32_e32 v40, vcc_lo, s3, v40, vcc_lo
	v_add_co_u32 v41, vcc_lo, s2, v41
	v_add_co_ci_u32_e32 v42, vcc_lo, s3, v42, vcc_lo
	s_delay_alu instid0(VALU_DEP_4)
	v_add_co_u32 v43, vcc_lo, s2, v43
	v_add_co_ci_u32_e32 v44, vcc_lo, s3, v44, vcc_lo
	v_add_co_u32 v45, vcc_lo, s2, v47
	v_add_co_ci_u32_e32 v46, vcc_lo, s3, v48, vcc_lo
	v_mov_b32_e32 v47, 0
	v_mov_b32_e32 v48, 0xbff00000
	s_clause 0x14
	global_load_b64 v[50:51], v49, s[2:3]
	global_load_b64 v[52:53], v[3:4], off
	global_load_b64 v[54:55], v[5:6], off
	;; [unrolled: 1-line block ×20, first 2 shown]
	s_cmpk_lg_i32 s1, 0x84
	s_cselect_b32 s2, -1, 0
	s_cmpk_eq_i32 s1, 0x84
	s_waitcnt vmcnt(19)
	scratch_store_b128 off, v[50:53], off
	s_clause 0x1
	global_load_b64 v[52:53], v[45:46], off
	global_load_b64 v[50:51], v[41:42], off
	s_waitcnt vmcnt(19)
	scratch_store_b128 off, v[54:57], off offset:16
	s_waitcnt vmcnt(17)
	scratch_store_b128 off, v[58:61], off offset:32
	;; [unrolled: 2-line block ×9, first 2 shown]
	s_waitcnt vmcnt(0)
	s_clause 0x1
	scratch_store_b128 off, v[50:53], off offset:160
	scratch_store_b64 off, v[90:91], off offset:176
	s_cbranch_scc1 .LBB86_3
; %bb.2:
	scratch_load_b64 v[47:48], v49, off
	s_waitcnt vmcnt(0)
	v_div_scale_f64 v[50:51], null, v[47:48], v[47:48], 1.0
	v_div_scale_f64 v[56:57], vcc_lo, 1.0, v[47:48], 1.0
	s_delay_alu instid0(VALU_DEP_2) | instskip(SKIP_2) | instid1(VALU_DEP_1)
	v_rcp_f64_e32 v[52:53], v[50:51]
	s_waitcnt_depctr 0xfff
	v_fma_f64 v[54:55], -v[50:51], v[52:53], 1.0
	v_fma_f64 v[52:53], v[52:53], v[54:55], v[52:53]
	s_delay_alu instid0(VALU_DEP_1) | instskip(NEXT) | instid1(VALU_DEP_1)
	v_fma_f64 v[54:55], -v[50:51], v[52:53], 1.0
	v_fma_f64 v[52:53], v[52:53], v[54:55], v[52:53]
	s_delay_alu instid0(VALU_DEP_1) | instskip(NEXT) | instid1(VALU_DEP_1)
	v_mul_f64 v[54:55], v[56:57], v[52:53]
	v_fma_f64 v[50:51], -v[50:51], v[54:55], v[56:57]
	s_delay_alu instid0(VALU_DEP_1) | instskip(NEXT) | instid1(VALU_DEP_1)
	v_div_fmas_f64 v[50:51], v[50:51], v[52:53], v[54:55]
	v_div_fixup_f64 v[47:48], v[50:51], v[47:48], 1.0
	scratch_store_b64 v49, v[47:48], off
	v_xor_b32_e32 v48, 0x80000000, v48
.LBB86_3:
	v_add_nc_u32_e32 v50, 0xc0, v49
	v_add_nc_u32_e32 v51, 0, v49
	s_cmpk_eq_i32 s0, 0x79
	s_mov_b32 s0, -1
	ds_store_b64 v49, v[47:48]
	s_cbranch_scc1 .LBB86_219
; %bb.4:
	scratch_load_b64 v[47:48], off, off offset:168
	v_cmp_eq_u32_e64 s1, 22, v0
	s_movk_i32 s0, 0x50
	s_movk_i32 s3, 0x60
	;; [unrolled: 1-line block ×6, first 2 shown]
	s_waitcnt vmcnt(0)
	ds_store_b64 v50, v[47:48]
	s_waitcnt lgkmcnt(0)
	s_waitcnt_vscnt null, 0x0
	s_barrier
	buffer_gl0_inv
	s_and_saveexec_b32 s8, s1
	s_cbranch_execz .LBB86_10
; %bb.5:
	s_and_b32 vcc_lo, exec_lo, s2
	s_cbranch_vccz .LBB86_7
; %bb.6:
	scratch_load_b64 v[47:48], v51, off
	ds_load_b64 v[52:53], v50
	s_waitcnt vmcnt(0) lgkmcnt(0)
	v_mul_f64 v[47:48], v[47:48], v[52:53]
	s_cbranch_execz .LBB86_8
	s_branch .LBB86_9
.LBB86_7:
                                        ; implicit-def: $vgpr47_vgpr48
.LBB86_8:
	ds_load_b64 v[47:48], v50
.LBB86_9:
	v_mov_b32_e32 v52, 0
	ds_load_b64 v[52:53], v52 offset:168
	s_waitcnt lgkmcnt(0)
	v_mul_f64 v[47:48], v[47:48], v[52:53]
	scratch_store_b64 off, v[47:48], off offset:168
.LBB86_10:
	s_or_b32 exec_lo, exec_lo, s8
	scratch_load_b64 v[47:48], off, off offset:160
	v_add_nc_u32_e64 v52, 0, 16
	v_add_nc_u32_e64 v53, 0, 32
	;; [unrolled: 1-line block ×10, first 2 shown]
	v_cmp_lt_u32_e64 s0, 20, v0
	s_waitcnt vmcnt(0)
	ds_store_b64 v50, v[47:48]
	s_waitcnt lgkmcnt(0)
	s_waitcnt_vscnt null, 0x0
	s_barrier
	buffer_gl0_inv
	s_and_saveexec_b32 s3, s0
	s_cbranch_execz .LBB86_18
; %bb.11:
	s_and_not1_b32 vcc_lo, exec_lo, s2
	s_cbranch_vccnz .LBB86_13
; %bb.12:
	scratch_load_b64 v[47:48], v51, off
	ds_load_b64 v[62:63], v50
	s_waitcnt vmcnt(0) lgkmcnt(0)
	v_mul_f64 v[47:48], v[47:48], v[62:63]
	s_cbranch_execz .LBB86_14
	s_branch .LBB86_15
.LBB86_13:
                                        ; implicit-def: $vgpr47_vgpr48
.LBB86_14:
	ds_load_b64 v[47:48], v50
.LBB86_15:
	s_and_saveexec_b32 s4, s1
	s_cbranch_execz .LBB86_17
; %bb.16:
	scratch_load_b64 v[62:63], off, off offset:168
	v_mov_b32_e32 v64, 0
	ds_load_b64 v[64:65], v64 offset:360
	s_waitcnt vmcnt(0) lgkmcnt(0)
	v_fma_f64 v[47:48], v[62:63], v[64:65], v[47:48]
.LBB86_17:
	s_or_b32 exec_lo, exec_lo, s4
	v_mov_b32_e32 v62, 0
	ds_load_b64 v[62:63], v62 offset:160
	s_waitcnt lgkmcnt(0)
	v_mul_f64 v[47:48], v[47:48], v[62:63]
	scratch_store_b64 off, v[47:48], off offset:160
.LBB86_18:
	s_or_b32 exec_lo, exec_lo, s3
	scratch_load_b64 v[47:48], off, off offset:152
	v_cmp_lt_u32_e64 s1, 19, v0
	s_waitcnt vmcnt(0)
	ds_store_b64 v50, v[47:48]
	s_waitcnt lgkmcnt(0)
	s_waitcnt_vscnt null, 0x0
	s_barrier
	buffer_gl0_inv
	s_and_saveexec_b32 s3, s1
	s_cbranch_execz .LBB86_28
; %bb.19:
	s_and_not1_b32 vcc_lo, exec_lo, s2
	s_cbranch_vccnz .LBB86_21
; %bb.20:
	scratch_load_b64 v[47:48], v51, off
	ds_load_b64 v[62:63], v50
	s_waitcnt vmcnt(0) lgkmcnt(0)
	v_mul_f64 v[47:48], v[47:48], v[62:63]
	s_cbranch_execz .LBB86_22
	s_branch .LBB86_23
.LBB86_21:
                                        ; implicit-def: $vgpr47_vgpr48
.LBB86_22:
	ds_load_b64 v[47:48], v50
.LBB86_23:
	s_and_saveexec_b32 s4, s0
	s_cbranch_execz .LBB86_27
; %bb.24:
	v_subrev_nc_u32_e32 v62, 20, v0
	s_movk_i32 s5, 0x160
	s_mov_b32 s0, 0
.LBB86_25:                              ; =>This Inner Loop Header: Depth=1
	scratch_load_b64 v[63:64], v61, off
	v_dual_mov_b32 v65, s5 :: v_dual_add_nc_u32 v62, -1, v62
	v_add_nc_u32_e32 v61, 8, v61
	s_add_i32 s5, s5, 8
	ds_load_b64 v[65:66], v65
	v_cmp_eq_u32_e32 vcc_lo, 0, v62
	s_or_b32 s0, vcc_lo, s0
	s_waitcnt vmcnt(0) lgkmcnt(0)
	v_fma_f64 v[47:48], v[63:64], v[65:66], v[47:48]
	s_and_not1_b32 exec_lo, exec_lo, s0
	s_cbranch_execnz .LBB86_25
; %bb.26:
	s_or_b32 exec_lo, exec_lo, s0
.LBB86_27:
	s_delay_alu instid0(SALU_CYCLE_1)
	s_or_b32 exec_lo, exec_lo, s4
	v_mov_b32_e32 v61, 0
	ds_load_b64 v[61:62], v61 offset:152
	s_waitcnt lgkmcnt(0)
	v_mul_f64 v[47:48], v[47:48], v[61:62]
	scratch_store_b64 off, v[47:48], off offset:152
.LBB86_28:
	s_or_b32 exec_lo, exec_lo, s3
	scratch_load_b64 v[47:48], off, off offset:144
	v_cmp_lt_u32_e64 s0, 18, v0
	s_waitcnt vmcnt(0)
	ds_store_b64 v50, v[47:48]
	s_waitcnt lgkmcnt(0)
	s_waitcnt_vscnt null, 0x0
	s_barrier
	buffer_gl0_inv
	s_and_saveexec_b32 s3, s0
	s_cbranch_execz .LBB86_38
; %bb.29:
	s_and_not1_b32 vcc_lo, exec_lo, s2
	s_cbranch_vccnz .LBB86_31
; %bb.30:
	scratch_load_b64 v[47:48], v51, off
	ds_load_b64 v[61:62], v50
	s_waitcnt vmcnt(0) lgkmcnt(0)
	v_mul_f64 v[47:48], v[47:48], v[61:62]
	s_cbranch_execz .LBB86_32
	s_branch .LBB86_33
.LBB86_31:
                                        ; implicit-def: $vgpr47_vgpr48
.LBB86_32:
	ds_load_b64 v[47:48], v50
.LBB86_33:
	s_and_saveexec_b32 s4, s1
	s_cbranch_execz .LBB86_37
; %bb.34:
	v_mov_b32_e32 v61, 0
	v_subrev_nc_u32_e32 v62, 19, v0
	s_movk_i32 s5, 0x158
	s_mov_b32 s1, 0
	s_delay_alu instid0(VALU_DEP_2)
	v_add_nc_u32_e32 v61, 0x98, v61
.LBB86_35:                              ; =>This Inner Loop Header: Depth=1
	scratch_load_b64 v[63:64], v61, off
	v_dual_mov_b32 v65, s5 :: v_dual_add_nc_u32 v62, -1, v62
	v_add_nc_u32_e32 v61, 8, v61
	s_add_i32 s5, s5, 8
	ds_load_b64 v[65:66], v65
	v_cmp_eq_u32_e32 vcc_lo, 0, v62
	s_or_b32 s1, vcc_lo, s1
	s_waitcnt vmcnt(0) lgkmcnt(0)
	v_fma_f64 v[47:48], v[63:64], v[65:66], v[47:48]
	s_and_not1_b32 exec_lo, exec_lo, s1
	s_cbranch_execnz .LBB86_35
; %bb.36:
	s_or_b32 exec_lo, exec_lo, s1
.LBB86_37:
	s_delay_alu instid0(SALU_CYCLE_1)
	s_or_b32 exec_lo, exec_lo, s4
	v_mov_b32_e32 v61, 0
	ds_load_b64 v[61:62], v61 offset:144
	s_waitcnt lgkmcnt(0)
	v_mul_f64 v[47:48], v[47:48], v[61:62]
	scratch_store_b64 off, v[47:48], off offset:144
.LBB86_38:
	s_or_b32 exec_lo, exec_lo, s3
	scratch_load_b64 v[47:48], off, off offset:136
	v_cmp_lt_u32_e64 s1, 17, v0
	s_waitcnt vmcnt(0)
	ds_store_b64 v50, v[47:48]
	s_waitcnt lgkmcnt(0)
	s_waitcnt_vscnt null, 0x0
	s_barrier
	buffer_gl0_inv
	s_and_saveexec_b32 s3, s1
	s_cbranch_execz .LBB86_48
; %bb.39:
	s_and_not1_b32 vcc_lo, exec_lo, s2
	s_cbranch_vccnz .LBB86_41
; %bb.40:
	scratch_load_b64 v[47:48], v51, off
	ds_load_b64 v[61:62], v50
	s_waitcnt vmcnt(0) lgkmcnt(0)
	v_mul_f64 v[47:48], v[47:48], v[61:62]
	s_cbranch_execz .LBB86_42
	s_branch .LBB86_43
.LBB86_41:
                                        ; implicit-def: $vgpr47_vgpr48
.LBB86_42:
	ds_load_b64 v[47:48], v50
.LBB86_43:
	s_and_saveexec_b32 s4, s0
	s_cbranch_execz .LBB86_47
; %bb.44:
	v_subrev_nc_u32_e32 v61, 18, v0
	s_movk_i32 s5, 0x150
	s_mov_b32 s0, 0
.LBB86_45:                              ; =>This Inner Loop Header: Depth=1
	scratch_load_b64 v[62:63], v60, off
	v_dual_mov_b32 v64, s5 :: v_dual_add_nc_u32 v61, -1, v61
	v_add_nc_u32_e32 v60, 8, v60
	s_add_i32 s5, s5, 8
	ds_load_b64 v[64:65], v64
	v_cmp_eq_u32_e32 vcc_lo, 0, v61
	s_or_b32 s0, vcc_lo, s0
	s_waitcnt vmcnt(0) lgkmcnt(0)
	v_fma_f64 v[47:48], v[62:63], v[64:65], v[47:48]
	s_and_not1_b32 exec_lo, exec_lo, s0
	s_cbranch_execnz .LBB86_45
; %bb.46:
	s_or_b32 exec_lo, exec_lo, s0
.LBB86_47:
	s_delay_alu instid0(SALU_CYCLE_1)
	s_or_b32 exec_lo, exec_lo, s4
	v_mov_b32_e32 v60, 0
	ds_load_b64 v[60:61], v60 offset:136
	s_waitcnt lgkmcnt(0)
	v_mul_f64 v[47:48], v[47:48], v[60:61]
	scratch_store_b64 off, v[47:48], off offset:136
.LBB86_48:
	s_or_b32 exec_lo, exec_lo, s3
	scratch_load_b64 v[47:48], off, off offset:128
	v_cmp_lt_u32_e64 s0, 16, v0
	s_waitcnt vmcnt(0)
	ds_store_b64 v50, v[47:48]
	s_waitcnt lgkmcnt(0)
	s_waitcnt_vscnt null, 0x0
	s_barrier
	buffer_gl0_inv
	s_and_saveexec_b32 s3, s0
	s_cbranch_execz .LBB86_58
; %bb.49:
	s_and_not1_b32 vcc_lo, exec_lo, s2
	s_cbranch_vccnz .LBB86_51
; %bb.50:
	scratch_load_b64 v[47:48], v51, off
	ds_load_b64 v[60:61], v50
	s_waitcnt vmcnt(0) lgkmcnt(0)
	v_mul_f64 v[47:48], v[47:48], v[60:61]
	s_cbranch_execz .LBB86_52
	s_branch .LBB86_53
.LBB86_51:
                                        ; implicit-def: $vgpr47_vgpr48
.LBB86_52:
	ds_load_b64 v[47:48], v50
.LBB86_53:
	s_and_saveexec_b32 s4, s1
	s_cbranch_execz .LBB86_57
; %bb.54:
	v_mov_b32_e32 v60, 0
	v_subrev_nc_u32_e32 v61, 17, v0
	s_movk_i32 s5, 0x148
	s_mov_b32 s1, 0
	s_delay_alu instid0(VALU_DEP_2)
	v_add_nc_u32_e32 v60, 0x88, v60
.LBB86_55:                              ; =>This Inner Loop Header: Depth=1
	scratch_load_b64 v[62:63], v60, off
	v_dual_mov_b32 v64, s5 :: v_dual_add_nc_u32 v61, -1, v61
	v_add_nc_u32_e32 v60, 8, v60
	s_add_i32 s5, s5, 8
	ds_load_b64 v[64:65], v64
	v_cmp_eq_u32_e32 vcc_lo, 0, v61
	s_or_b32 s1, vcc_lo, s1
	s_waitcnt vmcnt(0) lgkmcnt(0)
	v_fma_f64 v[47:48], v[62:63], v[64:65], v[47:48]
	s_and_not1_b32 exec_lo, exec_lo, s1
	s_cbranch_execnz .LBB86_55
; %bb.56:
	s_or_b32 exec_lo, exec_lo, s1
.LBB86_57:
	s_delay_alu instid0(SALU_CYCLE_1)
	s_or_b32 exec_lo, exec_lo, s4
	v_mov_b32_e32 v60, 0
	ds_load_b64 v[60:61], v60 offset:128
	s_waitcnt lgkmcnt(0)
	v_mul_f64 v[47:48], v[47:48], v[60:61]
	scratch_store_b64 off, v[47:48], off offset:128
.LBB86_58:
	s_or_b32 exec_lo, exec_lo, s3
	scratch_load_b64 v[47:48], off, off offset:120
	v_cmp_lt_u32_e64 s1, 15, v0
	s_waitcnt vmcnt(0)
	ds_store_b64 v50, v[47:48]
	s_waitcnt lgkmcnt(0)
	s_waitcnt_vscnt null, 0x0
	s_barrier
	buffer_gl0_inv
	s_and_saveexec_b32 s3, s1
	s_cbranch_execz .LBB86_68
; %bb.59:
	s_and_not1_b32 vcc_lo, exec_lo, s2
	s_cbranch_vccnz .LBB86_61
; %bb.60:
	scratch_load_b64 v[47:48], v51, off
	ds_load_b64 v[60:61], v50
	s_waitcnt vmcnt(0) lgkmcnt(0)
	v_mul_f64 v[47:48], v[47:48], v[60:61]
	s_cbranch_execz .LBB86_62
	s_branch .LBB86_63
.LBB86_61:
                                        ; implicit-def: $vgpr47_vgpr48
.LBB86_62:
	ds_load_b64 v[47:48], v50
.LBB86_63:
	s_and_saveexec_b32 s4, s0
	s_cbranch_execz .LBB86_67
; %bb.64:
	v_add_nc_u32_e32 v60, -16, v0
	s_movk_i32 s5, 0x140
	s_mov_b32 s0, 0
.LBB86_65:                              ; =>This Inner Loop Header: Depth=1
	scratch_load_b64 v[61:62], v59, off
	v_dual_mov_b32 v63, s5 :: v_dual_add_nc_u32 v60, -1, v60
	v_add_nc_u32_e32 v59, 8, v59
	s_add_i32 s5, s5, 8
	ds_load_b64 v[63:64], v63
	v_cmp_eq_u32_e32 vcc_lo, 0, v60
	s_or_b32 s0, vcc_lo, s0
	s_waitcnt vmcnt(0) lgkmcnt(0)
	v_fma_f64 v[47:48], v[61:62], v[63:64], v[47:48]
	s_and_not1_b32 exec_lo, exec_lo, s0
	s_cbranch_execnz .LBB86_65
; %bb.66:
	s_or_b32 exec_lo, exec_lo, s0
.LBB86_67:
	s_delay_alu instid0(SALU_CYCLE_1)
	s_or_b32 exec_lo, exec_lo, s4
	v_mov_b32_e32 v59, 0
	ds_load_b64 v[59:60], v59 offset:120
	s_waitcnt lgkmcnt(0)
	v_mul_f64 v[47:48], v[47:48], v[59:60]
	scratch_store_b64 off, v[47:48], off offset:120
.LBB86_68:
	s_or_b32 exec_lo, exec_lo, s3
	scratch_load_b64 v[47:48], off, off offset:112
	v_cmp_lt_u32_e64 s0, 14, v0
	s_waitcnt vmcnt(0)
	ds_store_b64 v50, v[47:48]
	s_waitcnt lgkmcnt(0)
	s_waitcnt_vscnt null, 0x0
	s_barrier
	buffer_gl0_inv
	s_and_saveexec_b32 s3, s0
	s_cbranch_execz .LBB86_78
; %bb.69:
	s_and_not1_b32 vcc_lo, exec_lo, s2
	s_cbranch_vccnz .LBB86_71
; %bb.70:
	scratch_load_b64 v[47:48], v51, off
	ds_load_b64 v[59:60], v50
	s_waitcnt vmcnt(0) lgkmcnt(0)
	v_mul_f64 v[47:48], v[47:48], v[59:60]
	s_cbranch_execz .LBB86_72
	s_branch .LBB86_73
.LBB86_71:
                                        ; implicit-def: $vgpr47_vgpr48
.LBB86_72:
	ds_load_b64 v[47:48], v50
.LBB86_73:
	s_and_saveexec_b32 s4, s1
	s_cbranch_execz .LBB86_77
; %bb.74:
	v_dual_mov_b32 v59, 0 :: v_dual_add_nc_u32 v60, -15, v0
	s_movk_i32 s5, 0x138
	s_mov_b32 s1, 0
	s_delay_alu instid0(VALU_DEP_1)
	v_add_nc_u32_e32 v59, 0x78, v59
.LBB86_75:                              ; =>This Inner Loop Header: Depth=1
	scratch_load_b64 v[61:62], v59, off
	v_dual_mov_b32 v63, s5 :: v_dual_add_nc_u32 v60, -1, v60
	v_add_nc_u32_e32 v59, 8, v59
	s_add_i32 s5, s5, 8
	ds_load_b64 v[63:64], v63
	v_cmp_eq_u32_e32 vcc_lo, 0, v60
	s_or_b32 s1, vcc_lo, s1
	s_waitcnt vmcnt(0) lgkmcnt(0)
	v_fma_f64 v[47:48], v[61:62], v[63:64], v[47:48]
	s_and_not1_b32 exec_lo, exec_lo, s1
	s_cbranch_execnz .LBB86_75
; %bb.76:
	s_or_b32 exec_lo, exec_lo, s1
.LBB86_77:
	s_delay_alu instid0(SALU_CYCLE_1)
	s_or_b32 exec_lo, exec_lo, s4
	v_mov_b32_e32 v59, 0
	ds_load_b64 v[59:60], v59 offset:112
	s_waitcnt lgkmcnt(0)
	v_mul_f64 v[47:48], v[47:48], v[59:60]
	scratch_store_b64 off, v[47:48], off offset:112
.LBB86_78:
	s_or_b32 exec_lo, exec_lo, s3
	scratch_load_b64 v[47:48], off, off offset:104
	v_cmp_lt_u32_e64 s1, 13, v0
	s_waitcnt vmcnt(0)
	ds_store_b64 v50, v[47:48]
	s_waitcnt lgkmcnt(0)
	s_waitcnt_vscnt null, 0x0
	s_barrier
	buffer_gl0_inv
	s_and_saveexec_b32 s3, s1
	s_cbranch_execz .LBB86_88
; %bb.79:
	s_and_not1_b32 vcc_lo, exec_lo, s2
	s_cbranch_vccnz .LBB86_81
; %bb.80:
	scratch_load_b64 v[47:48], v51, off
	ds_load_b64 v[59:60], v50
	s_waitcnt vmcnt(0) lgkmcnt(0)
	v_mul_f64 v[47:48], v[47:48], v[59:60]
	s_cbranch_execz .LBB86_82
	s_branch .LBB86_83
.LBB86_81:
                                        ; implicit-def: $vgpr47_vgpr48
.LBB86_82:
	ds_load_b64 v[47:48], v50
.LBB86_83:
	s_and_saveexec_b32 s4, s0
	s_cbranch_execz .LBB86_87
; %bb.84:
	v_add_nc_u32_e32 v59, -14, v0
	s_movk_i32 s5, 0x130
	s_mov_b32 s0, 0
.LBB86_85:                              ; =>This Inner Loop Header: Depth=1
	scratch_load_b64 v[60:61], v58, off
	v_dual_mov_b32 v62, s5 :: v_dual_add_nc_u32 v59, -1, v59
	v_add_nc_u32_e32 v58, 8, v58
	s_add_i32 s5, s5, 8
	ds_load_b64 v[62:63], v62
	v_cmp_eq_u32_e32 vcc_lo, 0, v59
	s_or_b32 s0, vcc_lo, s0
	s_waitcnt vmcnt(0) lgkmcnt(0)
	v_fma_f64 v[47:48], v[60:61], v[62:63], v[47:48]
	s_and_not1_b32 exec_lo, exec_lo, s0
	s_cbranch_execnz .LBB86_85
; %bb.86:
	s_or_b32 exec_lo, exec_lo, s0
.LBB86_87:
	s_delay_alu instid0(SALU_CYCLE_1)
	s_or_b32 exec_lo, exec_lo, s4
	v_mov_b32_e32 v58, 0
	ds_load_b64 v[58:59], v58 offset:104
	s_waitcnt lgkmcnt(0)
	v_mul_f64 v[47:48], v[47:48], v[58:59]
	scratch_store_b64 off, v[47:48], off offset:104
.LBB86_88:
	s_or_b32 exec_lo, exec_lo, s3
	scratch_load_b64 v[47:48], off, off offset:96
	v_cmp_lt_u32_e64 s0, 12, v0
	s_waitcnt vmcnt(0)
	ds_store_b64 v50, v[47:48]
	s_waitcnt lgkmcnt(0)
	s_waitcnt_vscnt null, 0x0
	s_barrier
	buffer_gl0_inv
	s_and_saveexec_b32 s3, s0
	s_cbranch_execz .LBB86_98
; %bb.89:
	s_and_not1_b32 vcc_lo, exec_lo, s2
	s_cbranch_vccnz .LBB86_91
; %bb.90:
	scratch_load_b64 v[47:48], v51, off
	ds_load_b64 v[58:59], v50
	s_waitcnt vmcnt(0) lgkmcnt(0)
	v_mul_f64 v[47:48], v[47:48], v[58:59]
	s_cbranch_execz .LBB86_92
	s_branch .LBB86_93
.LBB86_91:
                                        ; implicit-def: $vgpr47_vgpr48
.LBB86_92:
	ds_load_b64 v[47:48], v50
.LBB86_93:
	s_and_saveexec_b32 s4, s1
	s_cbranch_execz .LBB86_97
; %bb.94:
	v_dual_mov_b32 v58, 0 :: v_dual_add_nc_u32 v59, -13, v0
	s_movk_i32 s5, 0x128
	s_mov_b32 s1, 0
	s_delay_alu instid0(VALU_DEP_1)
	v_add_nc_u32_e32 v58, 0x68, v58
.LBB86_95:                              ; =>This Inner Loop Header: Depth=1
	scratch_load_b64 v[60:61], v58, off
	v_dual_mov_b32 v62, s5 :: v_dual_add_nc_u32 v59, -1, v59
	v_add_nc_u32_e32 v58, 8, v58
	s_add_i32 s5, s5, 8
	ds_load_b64 v[62:63], v62
	v_cmp_eq_u32_e32 vcc_lo, 0, v59
	s_or_b32 s1, vcc_lo, s1
	s_waitcnt vmcnt(0) lgkmcnt(0)
	v_fma_f64 v[47:48], v[60:61], v[62:63], v[47:48]
	s_and_not1_b32 exec_lo, exec_lo, s1
	s_cbranch_execnz .LBB86_95
; %bb.96:
	s_or_b32 exec_lo, exec_lo, s1
.LBB86_97:
	s_delay_alu instid0(SALU_CYCLE_1)
	s_or_b32 exec_lo, exec_lo, s4
	v_mov_b32_e32 v58, 0
	ds_load_b64 v[58:59], v58 offset:96
	s_waitcnt lgkmcnt(0)
	v_mul_f64 v[47:48], v[47:48], v[58:59]
	scratch_store_b64 off, v[47:48], off offset:96
.LBB86_98:
	s_or_b32 exec_lo, exec_lo, s3
	scratch_load_b64 v[47:48], off, off offset:88
	v_cmp_lt_u32_e64 s1, 11, v0
	s_waitcnt vmcnt(0)
	ds_store_b64 v50, v[47:48]
	s_waitcnt lgkmcnt(0)
	s_waitcnt_vscnt null, 0x0
	s_barrier
	buffer_gl0_inv
	s_and_saveexec_b32 s3, s1
	s_cbranch_execz .LBB86_108
; %bb.99:
	s_and_not1_b32 vcc_lo, exec_lo, s2
	s_cbranch_vccnz .LBB86_101
; %bb.100:
	scratch_load_b64 v[47:48], v51, off
	ds_load_b64 v[58:59], v50
	s_waitcnt vmcnt(0) lgkmcnt(0)
	v_mul_f64 v[47:48], v[47:48], v[58:59]
	s_cbranch_execz .LBB86_102
	s_branch .LBB86_103
.LBB86_101:
                                        ; implicit-def: $vgpr47_vgpr48
.LBB86_102:
	ds_load_b64 v[47:48], v50
.LBB86_103:
	s_and_saveexec_b32 s4, s0
	s_cbranch_execz .LBB86_107
; %bb.104:
	v_add_nc_u32_e32 v58, -12, v0
	s_movk_i32 s5, 0x120
	s_mov_b32 s0, 0
.LBB86_105:                             ; =>This Inner Loop Header: Depth=1
	scratch_load_b64 v[59:60], v57, off
	v_dual_mov_b32 v61, s5 :: v_dual_add_nc_u32 v58, -1, v58
	v_add_nc_u32_e32 v57, 8, v57
	s_add_i32 s5, s5, 8
	ds_load_b64 v[61:62], v61
	v_cmp_eq_u32_e32 vcc_lo, 0, v58
	s_or_b32 s0, vcc_lo, s0
	s_waitcnt vmcnt(0) lgkmcnt(0)
	v_fma_f64 v[47:48], v[59:60], v[61:62], v[47:48]
	s_and_not1_b32 exec_lo, exec_lo, s0
	s_cbranch_execnz .LBB86_105
; %bb.106:
	s_or_b32 exec_lo, exec_lo, s0
.LBB86_107:
	s_delay_alu instid0(SALU_CYCLE_1)
	s_or_b32 exec_lo, exec_lo, s4
	v_mov_b32_e32 v57, 0
	ds_load_b64 v[57:58], v57 offset:88
	s_waitcnt lgkmcnt(0)
	v_mul_f64 v[47:48], v[47:48], v[57:58]
	scratch_store_b64 off, v[47:48], off offset:88
.LBB86_108:
	s_or_b32 exec_lo, exec_lo, s3
	scratch_load_b64 v[47:48], off, off offset:80
	v_cmp_lt_u32_e64 s0, 10, v0
	s_waitcnt vmcnt(0)
	ds_store_b64 v50, v[47:48]
	s_waitcnt lgkmcnt(0)
	s_waitcnt_vscnt null, 0x0
	s_barrier
	buffer_gl0_inv
	s_and_saveexec_b32 s3, s0
	s_cbranch_execz .LBB86_118
; %bb.109:
	s_and_not1_b32 vcc_lo, exec_lo, s2
	s_cbranch_vccnz .LBB86_111
; %bb.110:
	scratch_load_b64 v[47:48], v51, off
	ds_load_b64 v[57:58], v50
	s_waitcnt vmcnt(0) lgkmcnt(0)
	v_mul_f64 v[47:48], v[47:48], v[57:58]
	s_cbranch_execz .LBB86_112
	s_branch .LBB86_113
.LBB86_111:
                                        ; implicit-def: $vgpr47_vgpr48
.LBB86_112:
	ds_load_b64 v[47:48], v50
.LBB86_113:
	s_and_saveexec_b32 s4, s1
	s_cbranch_execz .LBB86_117
; %bb.114:
	v_dual_mov_b32 v57, 0 :: v_dual_add_nc_u32 v58, -11, v0
	s_movk_i32 s5, 0x118
	s_mov_b32 s1, 0
	s_delay_alu instid0(VALU_DEP_1)
	v_add_nc_u32_e32 v57, 0x58, v57
.LBB86_115:                             ; =>This Inner Loop Header: Depth=1
	scratch_load_b64 v[59:60], v57, off
	v_dual_mov_b32 v61, s5 :: v_dual_add_nc_u32 v58, -1, v58
	v_add_nc_u32_e32 v57, 8, v57
	s_add_i32 s5, s5, 8
	ds_load_b64 v[61:62], v61
	v_cmp_eq_u32_e32 vcc_lo, 0, v58
	s_or_b32 s1, vcc_lo, s1
	s_waitcnt vmcnt(0) lgkmcnt(0)
	v_fma_f64 v[47:48], v[59:60], v[61:62], v[47:48]
	s_and_not1_b32 exec_lo, exec_lo, s1
	s_cbranch_execnz .LBB86_115
; %bb.116:
	s_or_b32 exec_lo, exec_lo, s1
.LBB86_117:
	s_delay_alu instid0(SALU_CYCLE_1)
	s_or_b32 exec_lo, exec_lo, s4
	v_mov_b32_e32 v57, 0
	ds_load_b64 v[57:58], v57 offset:80
	s_waitcnt lgkmcnt(0)
	v_mul_f64 v[47:48], v[47:48], v[57:58]
	scratch_store_b64 off, v[47:48], off offset:80
.LBB86_118:
	s_or_b32 exec_lo, exec_lo, s3
	scratch_load_b64 v[47:48], off, off offset:72
	v_cmp_lt_u32_e64 s1, 9, v0
	s_waitcnt vmcnt(0)
	ds_store_b64 v50, v[47:48]
	s_waitcnt lgkmcnt(0)
	s_waitcnt_vscnt null, 0x0
	s_barrier
	buffer_gl0_inv
	s_and_saveexec_b32 s3, s1
	s_cbranch_execz .LBB86_128
; %bb.119:
	s_and_not1_b32 vcc_lo, exec_lo, s2
	s_cbranch_vccnz .LBB86_121
; %bb.120:
	scratch_load_b64 v[47:48], v51, off
	ds_load_b64 v[57:58], v50
	s_waitcnt vmcnt(0) lgkmcnt(0)
	v_mul_f64 v[47:48], v[47:48], v[57:58]
	s_cbranch_execz .LBB86_122
	s_branch .LBB86_123
.LBB86_121:
                                        ; implicit-def: $vgpr47_vgpr48
.LBB86_122:
	ds_load_b64 v[47:48], v50
.LBB86_123:
	s_and_saveexec_b32 s4, s0
	s_cbranch_execz .LBB86_127
; %bb.124:
	v_add_nc_u32_e32 v57, -10, v0
	s_movk_i32 s5, 0x110
	s_mov_b32 s0, 0
.LBB86_125:                             ; =>This Inner Loop Header: Depth=1
	scratch_load_b64 v[58:59], v56, off
	v_dual_mov_b32 v60, s5 :: v_dual_add_nc_u32 v57, -1, v57
	v_add_nc_u32_e32 v56, 8, v56
	s_add_i32 s5, s5, 8
	ds_load_b64 v[60:61], v60
	v_cmp_eq_u32_e32 vcc_lo, 0, v57
	s_or_b32 s0, vcc_lo, s0
	s_waitcnt vmcnt(0) lgkmcnt(0)
	v_fma_f64 v[47:48], v[58:59], v[60:61], v[47:48]
	s_and_not1_b32 exec_lo, exec_lo, s0
	s_cbranch_execnz .LBB86_125
; %bb.126:
	s_or_b32 exec_lo, exec_lo, s0
.LBB86_127:
	s_delay_alu instid0(SALU_CYCLE_1)
	s_or_b32 exec_lo, exec_lo, s4
	v_mov_b32_e32 v56, 0
	ds_load_b64 v[56:57], v56 offset:72
	s_waitcnt lgkmcnt(0)
	v_mul_f64 v[47:48], v[47:48], v[56:57]
	scratch_store_b64 off, v[47:48], off offset:72
.LBB86_128:
	s_or_b32 exec_lo, exec_lo, s3
	scratch_load_b64 v[47:48], off, off offset:64
	v_cmp_lt_u32_e64 s0, 8, v0
	s_waitcnt vmcnt(0)
	ds_store_b64 v50, v[47:48]
	s_waitcnt lgkmcnt(0)
	s_waitcnt_vscnt null, 0x0
	s_barrier
	buffer_gl0_inv
	s_and_saveexec_b32 s3, s0
	s_cbranch_execz .LBB86_138
; %bb.129:
	s_and_not1_b32 vcc_lo, exec_lo, s2
	s_cbranch_vccnz .LBB86_131
; %bb.130:
	scratch_load_b64 v[47:48], v51, off
	ds_load_b64 v[56:57], v50
	s_waitcnt vmcnt(0) lgkmcnt(0)
	v_mul_f64 v[47:48], v[47:48], v[56:57]
	s_cbranch_execz .LBB86_132
	s_branch .LBB86_133
.LBB86_131:
                                        ; implicit-def: $vgpr47_vgpr48
.LBB86_132:
	ds_load_b64 v[47:48], v50
.LBB86_133:
	s_and_saveexec_b32 s4, s1
	s_cbranch_execz .LBB86_137
; %bb.134:
	v_dual_mov_b32 v56, 0 :: v_dual_add_nc_u32 v57, -9, v0
	s_movk_i32 s5, 0x108
	s_mov_b32 s1, 0
	s_delay_alu instid0(VALU_DEP_1)
	v_add_nc_u32_e32 v56, 0x48, v56
.LBB86_135:                             ; =>This Inner Loop Header: Depth=1
	scratch_load_b64 v[58:59], v56, off
	v_dual_mov_b32 v60, s5 :: v_dual_add_nc_u32 v57, -1, v57
	v_add_nc_u32_e32 v56, 8, v56
	s_add_i32 s5, s5, 8
	ds_load_b64 v[60:61], v60
	v_cmp_eq_u32_e32 vcc_lo, 0, v57
	s_or_b32 s1, vcc_lo, s1
	s_waitcnt vmcnt(0) lgkmcnt(0)
	v_fma_f64 v[47:48], v[58:59], v[60:61], v[47:48]
	s_and_not1_b32 exec_lo, exec_lo, s1
	s_cbranch_execnz .LBB86_135
; %bb.136:
	s_or_b32 exec_lo, exec_lo, s1
.LBB86_137:
	s_delay_alu instid0(SALU_CYCLE_1)
	s_or_b32 exec_lo, exec_lo, s4
	v_mov_b32_e32 v56, 0
	ds_load_b64 v[56:57], v56 offset:64
	s_waitcnt lgkmcnt(0)
	v_mul_f64 v[47:48], v[47:48], v[56:57]
	scratch_store_b64 off, v[47:48], off offset:64
.LBB86_138:
	s_or_b32 exec_lo, exec_lo, s3
	scratch_load_b64 v[47:48], off, off offset:56
	v_cmp_lt_u32_e64 s1, 7, v0
	s_waitcnt vmcnt(0)
	ds_store_b64 v50, v[47:48]
	s_waitcnt lgkmcnt(0)
	s_waitcnt_vscnt null, 0x0
	s_barrier
	buffer_gl0_inv
	s_and_saveexec_b32 s3, s1
	s_cbranch_execz .LBB86_148
; %bb.139:
	s_and_not1_b32 vcc_lo, exec_lo, s2
	s_cbranch_vccnz .LBB86_141
; %bb.140:
	scratch_load_b64 v[47:48], v51, off
	ds_load_b64 v[56:57], v50
	s_waitcnt vmcnt(0) lgkmcnt(0)
	v_mul_f64 v[47:48], v[47:48], v[56:57]
	s_cbranch_execz .LBB86_142
	s_branch .LBB86_143
.LBB86_141:
                                        ; implicit-def: $vgpr47_vgpr48
.LBB86_142:
	ds_load_b64 v[47:48], v50
.LBB86_143:
	s_and_saveexec_b32 s4, s0
	s_cbranch_execz .LBB86_147
; %bb.144:
	v_add_nc_u32_e32 v56, -8, v0
	s_movk_i32 s5, 0x100
	s_mov_b32 s0, 0
.LBB86_145:                             ; =>This Inner Loop Header: Depth=1
	scratch_load_b64 v[57:58], v55, off
	v_dual_mov_b32 v59, s5 :: v_dual_add_nc_u32 v56, -1, v56
	v_add_nc_u32_e32 v55, 8, v55
	s_add_i32 s5, s5, 8
	ds_load_b64 v[59:60], v59
	v_cmp_eq_u32_e32 vcc_lo, 0, v56
	s_or_b32 s0, vcc_lo, s0
	s_waitcnt vmcnt(0) lgkmcnt(0)
	v_fma_f64 v[47:48], v[57:58], v[59:60], v[47:48]
	s_and_not1_b32 exec_lo, exec_lo, s0
	s_cbranch_execnz .LBB86_145
; %bb.146:
	s_or_b32 exec_lo, exec_lo, s0
.LBB86_147:
	s_delay_alu instid0(SALU_CYCLE_1)
	s_or_b32 exec_lo, exec_lo, s4
	v_mov_b32_e32 v55, 0
	ds_load_b64 v[55:56], v55 offset:56
	s_waitcnt lgkmcnt(0)
	v_mul_f64 v[47:48], v[47:48], v[55:56]
	scratch_store_b64 off, v[47:48], off offset:56
.LBB86_148:
	s_or_b32 exec_lo, exec_lo, s3
	scratch_load_b64 v[47:48], off, off offset:48
	v_cmp_lt_u32_e64 s0, 6, v0
	s_waitcnt vmcnt(0)
	ds_store_b64 v50, v[47:48]
	s_waitcnt lgkmcnt(0)
	s_waitcnt_vscnt null, 0x0
	s_barrier
	buffer_gl0_inv
	s_and_saveexec_b32 s3, s0
	s_cbranch_execz .LBB86_158
; %bb.149:
	s_and_not1_b32 vcc_lo, exec_lo, s2
	s_cbranch_vccnz .LBB86_151
; %bb.150:
	scratch_load_b64 v[47:48], v51, off
	ds_load_b64 v[55:56], v50
	s_waitcnt vmcnt(0) lgkmcnt(0)
	v_mul_f64 v[47:48], v[47:48], v[55:56]
	s_cbranch_execz .LBB86_152
	s_branch .LBB86_153
.LBB86_151:
                                        ; implicit-def: $vgpr47_vgpr48
.LBB86_152:
	ds_load_b64 v[47:48], v50
.LBB86_153:
	s_and_saveexec_b32 s4, s1
	s_cbranch_execz .LBB86_157
; %bb.154:
	v_add_nc_u32_e64 v55, 0, 56
	v_add_nc_u32_e32 v56, -7, v0
	s_movk_i32 s5, 0xf8
	s_mov_b32 s1, 0
.LBB86_155:                             ; =>This Inner Loop Header: Depth=1
	scratch_load_b64 v[57:58], v55, off
	v_dual_mov_b32 v59, s5 :: v_dual_add_nc_u32 v56, -1, v56
	v_add_nc_u32_e32 v55, 8, v55
	s_add_i32 s5, s5, 8
	ds_load_b64 v[59:60], v59
	v_cmp_eq_u32_e32 vcc_lo, 0, v56
	s_or_b32 s1, vcc_lo, s1
	s_waitcnt vmcnt(0) lgkmcnt(0)
	v_fma_f64 v[47:48], v[57:58], v[59:60], v[47:48]
	s_and_not1_b32 exec_lo, exec_lo, s1
	s_cbranch_execnz .LBB86_155
; %bb.156:
	s_or_b32 exec_lo, exec_lo, s1
.LBB86_157:
	s_delay_alu instid0(SALU_CYCLE_1)
	s_or_b32 exec_lo, exec_lo, s4
	v_mov_b32_e32 v55, 0
	ds_load_b64 v[55:56], v55 offset:48
	s_waitcnt lgkmcnt(0)
	v_mul_f64 v[47:48], v[47:48], v[55:56]
	scratch_store_b64 off, v[47:48], off offset:48
.LBB86_158:
	s_or_b32 exec_lo, exec_lo, s3
	scratch_load_b64 v[47:48], off, off offset:40
	v_cmp_lt_u32_e64 s1, 5, v0
	s_waitcnt vmcnt(0)
	ds_store_b64 v50, v[47:48]
	s_waitcnt lgkmcnt(0)
	s_waitcnt_vscnt null, 0x0
	s_barrier
	buffer_gl0_inv
	s_and_saveexec_b32 s3, s1
	s_cbranch_execz .LBB86_168
; %bb.159:
	s_and_not1_b32 vcc_lo, exec_lo, s2
	s_cbranch_vccnz .LBB86_161
; %bb.160:
	scratch_load_b64 v[47:48], v51, off
	ds_load_b64 v[55:56], v50
	s_waitcnt vmcnt(0) lgkmcnt(0)
	v_mul_f64 v[47:48], v[47:48], v[55:56]
	s_cbranch_execz .LBB86_162
	s_branch .LBB86_163
.LBB86_161:
                                        ; implicit-def: $vgpr47_vgpr48
.LBB86_162:
	ds_load_b64 v[47:48], v50
.LBB86_163:
	s_and_saveexec_b32 s4, s0
	s_cbranch_execz .LBB86_167
; %bb.164:
	v_add_nc_u32_e32 v55, -6, v0
	s_movk_i32 s5, 0xf0
	s_mov_b32 s0, 0
.LBB86_165:                             ; =>This Inner Loop Header: Depth=1
	scratch_load_b64 v[56:57], v54, off
	v_dual_mov_b32 v58, s5 :: v_dual_add_nc_u32 v55, -1, v55
	v_add_nc_u32_e32 v54, 8, v54
	s_add_i32 s5, s5, 8
	ds_load_b64 v[58:59], v58
	v_cmp_eq_u32_e32 vcc_lo, 0, v55
	s_or_b32 s0, vcc_lo, s0
	s_waitcnt vmcnt(0) lgkmcnt(0)
	v_fma_f64 v[47:48], v[56:57], v[58:59], v[47:48]
	s_and_not1_b32 exec_lo, exec_lo, s0
	s_cbranch_execnz .LBB86_165
; %bb.166:
	s_or_b32 exec_lo, exec_lo, s0
.LBB86_167:
	s_delay_alu instid0(SALU_CYCLE_1)
	s_or_b32 exec_lo, exec_lo, s4
	v_mov_b32_e32 v54, 0
	ds_load_b64 v[54:55], v54 offset:40
	s_waitcnt lgkmcnt(0)
	v_mul_f64 v[47:48], v[47:48], v[54:55]
	scratch_store_b64 off, v[47:48], off offset:40
.LBB86_168:
	s_or_b32 exec_lo, exec_lo, s3
	scratch_load_b64 v[47:48], off, off offset:32
	v_cmp_lt_u32_e64 s0, 4, v0
	s_waitcnt vmcnt(0)
	ds_store_b64 v50, v[47:48]
	s_waitcnt lgkmcnt(0)
	s_waitcnt_vscnt null, 0x0
	s_barrier
	buffer_gl0_inv
	s_and_saveexec_b32 s3, s0
	s_cbranch_execz .LBB86_178
; %bb.169:
	s_and_not1_b32 vcc_lo, exec_lo, s2
	s_cbranch_vccnz .LBB86_171
; %bb.170:
	scratch_load_b64 v[47:48], v51, off
	ds_load_b64 v[54:55], v50
	s_waitcnt vmcnt(0) lgkmcnt(0)
	v_mul_f64 v[47:48], v[47:48], v[54:55]
	s_cbranch_execz .LBB86_172
	s_branch .LBB86_173
.LBB86_171:
                                        ; implicit-def: $vgpr47_vgpr48
.LBB86_172:
	ds_load_b64 v[47:48], v50
.LBB86_173:
	s_and_saveexec_b32 s4, s1
	s_cbranch_execz .LBB86_177
; %bb.174:
	v_add_nc_u32_e64 v54, 0, 40
	v_add_nc_u32_e32 v55, -5, v0
	s_movk_i32 s5, 0xe8
	s_mov_b32 s1, 0
.LBB86_175:                             ; =>This Inner Loop Header: Depth=1
	scratch_load_b64 v[56:57], v54, off
	v_dual_mov_b32 v58, s5 :: v_dual_add_nc_u32 v55, -1, v55
	v_add_nc_u32_e32 v54, 8, v54
	s_add_i32 s5, s5, 8
	ds_load_b64 v[58:59], v58
	v_cmp_eq_u32_e32 vcc_lo, 0, v55
	s_or_b32 s1, vcc_lo, s1
	s_waitcnt vmcnt(0) lgkmcnt(0)
	v_fma_f64 v[47:48], v[56:57], v[58:59], v[47:48]
	s_and_not1_b32 exec_lo, exec_lo, s1
	s_cbranch_execnz .LBB86_175
; %bb.176:
	s_or_b32 exec_lo, exec_lo, s1
.LBB86_177:
	s_delay_alu instid0(SALU_CYCLE_1)
	s_or_b32 exec_lo, exec_lo, s4
	v_mov_b32_e32 v54, 0
	ds_load_b64 v[54:55], v54 offset:32
	s_waitcnt lgkmcnt(0)
	v_mul_f64 v[47:48], v[47:48], v[54:55]
	scratch_store_b64 off, v[47:48], off offset:32
.LBB86_178:
	s_or_b32 exec_lo, exec_lo, s3
	scratch_load_b64 v[47:48], off, off offset:24
	v_cmp_lt_u32_e64 s1, 3, v0
	s_waitcnt vmcnt(0)
	ds_store_b64 v50, v[47:48]
	s_waitcnt lgkmcnt(0)
	s_waitcnt_vscnt null, 0x0
	s_barrier
	buffer_gl0_inv
	s_and_saveexec_b32 s3, s1
	s_cbranch_execz .LBB86_188
; %bb.179:
	s_and_not1_b32 vcc_lo, exec_lo, s2
	s_cbranch_vccnz .LBB86_181
; %bb.180:
	scratch_load_b64 v[47:48], v51, off
	ds_load_b64 v[54:55], v50
	s_waitcnt vmcnt(0) lgkmcnt(0)
	v_mul_f64 v[47:48], v[47:48], v[54:55]
	s_cbranch_execz .LBB86_182
	s_branch .LBB86_183
.LBB86_181:
                                        ; implicit-def: $vgpr47_vgpr48
.LBB86_182:
	ds_load_b64 v[47:48], v50
.LBB86_183:
	s_and_saveexec_b32 s4, s0
	s_cbranch_execz .LBB86_187
; %bb.184:
	v_add_nc_u32_e32 v54, -4, v0
	s_movk_i32 s5, 0xe0
	s_mov_b32 s0, 0
.LBB86_185:                             ; =>This Inner Loop Header: Depth=1
	scratch_load_b64 v[55:56], v53, off
	v_dual_mov_b32 v57, s5 :: v_dual_add_nc_u32 v54, -1, v54
	v_add_nc_u32_e32 v53, 8, v53
	s_add_i32 s5, s5, 8
	ds_load_b64 v[57:58], v57
	v_cmp_eq_u32_e32 vcc_lo, 0, v54
	s_or_b32 s0, vcc_lo, s0
	s_waitcnt vmcnt(0) lgkmcnt(0)
	v_fma_f64 v[47:48], v[55:56], v[57:58], v[47:48]
	s_and_not1_b32 exec_lo, exec_lo, s0
	s_cbranch_execnz .LBB86_185
; %bb.186:
	s_or_b32 exec_lo, exec_lo, s0
.LBB86_187:
	s_delay_alu instid0(SALU_CYCLE_1)
	s_or_b32 exec_lo, exec_lo, s4
	v_mov_b32_e32 v53, 0
	ds_load_b64 v[53:54], v53 offset:24
	s_waitcnt lgkmcnt(0)
	v_mul_f64 v[47:48], v[47:48], v[53:54]
	scratch_store_b64 off, v[47:48], off offset:24
.LBB86_188:
	s_or_b32 exec_lo, exec_lo, s3
	scratch_load_b64 v[47:48], off, off offset:16
	v_cmp_lt_u32_e64 s0, 2, v0
	s_waitcnt vmcnt(0)
	ds_store_b64 v50, v[47:48]
	s_waitcnt lgkmcnt(0)
	s_waitcnt_vscnt null, 0x0
	s_barrier
	buffer_gl0_inv
	s_and_saveexec_b32 s3, s0
	s_cbranch_execz .LBB86_198
; %bb.189:
	s_and_not1_b32 vcc_lo, exec_lo, s2
	s_cbranch_vccnz .LBB86_191
; %bb.190:
	scratch_load_b64 v[47:48], v51, off
	ds_load_b64 v[53:54], v50
	s_waitcnt vmcnt(0) lgkmcnt(0)
	v_mul_f64 v[47:48], v[47:48], v[53:54]
	s_cbranch_execz .LBB86_192
	s_branch .LBB86_193
.LBB86_191:
                                        ; implicit-def: $vgpr47_vgpr48
.LBB86_192:
	ds_load_b64 v[47:48], v50
.LBB86_193:
	s_and_saveexec_b32 s4, s1
	s_cbranch_execz .LBB86_197
; %bb.194:
	v_add_nc_u32_e64 v53, 0, 24
	v_add_nc_u32_e32 v54, -3, v0
	s_movk_i32 s5, 0xd8
	s_mov_b32 s1, 0
.LBB86_195:                             ; =>This Inner Loop Header: Depth=1
	scratch_load_b64 v[55:56], v53, off
	v_dual_mov_b32 v57, s5 :: v_dual_add_nc_u32 v54, -1, v54
	v_add_nc_u32_e32 v53, 8, v53
	s_add_i32 s5, s5, 8
	ds_load_b64 v[57:58], v57
	v_cmp_eq_u32_e32 vcc_lo, 0, v54
	s_or_b32 s1, vcc_lo, s1
	s_waitcnt vmcnt(0) lgkmcnt(0)
	v_fma_f64 v[47:48], v[55:56], v[57:58], v[47:48]
	s_and_not1_b32 exec_lo, exec_lo, s1
	s_cbranch_execnz .LBB86_195
; %bb.196:
	s_or_b32 exec_lo, exec_lo, s1
.LBB86_197:
	s_delay_alu instid0(SALU_CYCLE_1)
	s_or_b32 exec_lo, exec_lo, s4
	v_mov_b32_e32 v53, 0
	ds_load_b64 v[53:54], v53 offset:16
	s_waitcnt lgkmcnt(0)
	v_mul_f64 v[47:48], v[47:48], v[53:54]
	scratch_store_b64 off, v[47:48], off offset:16
.LBB86_198:
	s_or_b32 exec_lo, exec_lo, s3
	scratch_load_b64 v[47:48], off, off offset:8
	v_cmp_lt_u32_e64 s1, 1, v0
	s_waitcnt vmcnt(0)
	ds_store_b64 v50, v[47:48]
	s_waitcnt lgkmcnt(0)
	s_waitcnt_vscnt null, 0x0
	s_barrier
	buffer_gl0_inv
	s_and_saveexec_b32 s3, s1
	s_cbranch_execz .LBB86_208
; %bb.199:
	s_and_not1_b32 vcc_lo, exec_lo, s2
	s_cbranch_vccnz .LBB86_201
; %bb.200:
	scratch_load_b64 v[47:48], v51, off
	ds_load_b64 v[53:54], v50
	s_waitcnt vmcnt(0) lgkmcnt(0)
	v_mul_f64 v[47:48], v[47:48], v[53:54]
	s_cbranch_execz .LBB86_202
	s_branch .LBB86_203
.LBB86_201:
                                        ; implicit-def: $vgpr47_vgpr48
.LBB86_202:
	ds_load_b64 v[47:48], v50
.LBB86_203:
	s_and_saveexec_b32 s4, s0
	s_cbranch_execz .LBB86_207
; %bb.204:
	v_add_nc_u32_e32 v53, -2, v0
	s_movk_i32 s5, 0xd0
	s_mov_b32 s0, 0
.LBB86_205:                             ; =>This Inner Loop Header: Depth=1
	scratch_load_b64 v[54:55], v52, off
	v_dual_mov_b32 v56, s5 :: v_dual_add_nc_u32 v53, -1, v53
	v_add_nc_u32_e32 v52, 8, v52
	s_add_i32 s5, s5, 8
	ds_load_b64 v[56:57], v56
	v_cmp_eq_u32_e32 vcc_lo, 0, v53
	s_or_b32 s0, vcc_lo, s0
	s_waitcnt vmcnt(0) lgkmcnt(0)
	v_fma_f64 v[47:48], v[54:55], v[56:57], v[47:48]
	s_and_not1_b32 exec_lo, exec_lo, s0
	s_cbranch_execnz .LBB86_205
; %bb.206:
	s_or_b32 exec_lo, exec_lo, s0
.LBB86_207:
	s_delay_alu instid0(SALU_CYCLE_1)
	s_or_b32 exec_lo, exec_lo, s4
	v_mov_b32_e32 v52, 0
	ds_load_b64 v[52:53], v52 offset:8
	s_waitcnt lgkmcnt(0)
	v_mul_f64 v[47:48], v[47:48], v[52:53]
	scratch_store_b64 off, v[47:48], off offset:8
.LBB86_208:
	s_or_b32 exec_lo, exec_lo, s3
	scratch_load_b64 v[47:48], off, off
	s_mov_b32 s0, 0
	s_mov_b32 s3, exec_lo
	s_waitcnt vmcnt(0)
	ds_store_b64 v50, v[47:48]
	s_waitcnt lgkmcnt(0)
	s_waitcnt_vscnt null, 0x0
	s_barrier
	buffer_gl0_inv
	v_cmpx_ne_u32_e32 0, v0
	s_cbranch_execz .LBB86_218
; %bb.209:
	s_and_not1_b32 vcc_lo, exec_lo, s2
	s_cbranch_vccnz .LBB86_211
; %bb.210:
	scratch_load_b64 v[47:48], v51, off
	ds_load_b64 v[52:53], v50
	s_waitcnt vmcnt(0) lgkmcnt(0)
	v_mul_f64 v[47:48], v[47:48], v[52:53]
	s_cbranch_execz .LBB86_212
	s_branch .LBB86_213
.LBB86_211:
                                        ; implicit-def: $vgpr47_vgpr48
.LBB86_212:
	ds_load_b64 v[47:48], v50
.LBB86_213:
	s_and_saveexec_b32 s4, s1
	s_cbranch_execz .LBB86_217
; %bb.214:
	v_or_b32_e64 v52, 0, 8
	v_add_nc_u32_e32 v53, -1, v0
	s_movk_i32 s5, 0xc8
	s_mov_b32 s1, 0
.LBB86_215:                             ; =>This Inner Loop Header: Depth=1
	scratch_load_b64 v[54:55], v52, off
	v_dual_mov_b32 v56, s5 :: v_dual_add_nc_u32 v53, -1, v53
	v_add_nc_u32_e32 v52, 8, v52
	s_add_i32 s5, s5, 8
	ds_load_b64 v[56:57], v56
	v_cmp_eq_u32_e32 vcc_lo, 0, v53
	s_or_b32 s1, vcc_lo, s1
	s_waitcnt vmcnt(0) lgkmcnt(0)
	v_fma_f64 v[47:48], v[54:55], v[56:57], v[47:48]
	s_and_not1_b32 exec_lo, exec_lo, s1
	s_cbranch_execnz .LBB86_215
; %bb.216:
	s_or_b32 exec_lo, exec_lo, s1
.LBB86_217:
	s_delay_alu instid0(SALU_CYCLE_1)
	s_or_b32 exec_lo, exec_lo, s4
	v_mov_b32_e32 v52, 0
	ds_load_b64 v[52:53], v52
	s_waitcnt lgkmcnt(0)
	v_mul_f64 v[47:48], v[47:48], v[52:53]
	scratch_store_b64 off, v[47:48], off
.LBB86_218:
	s_or_b32 exec_lo, exec_lo, s3
.LBB86_219:
	s_delay_alu instid0(SALU_CYCLE_1)
	s_and_b32 vcc_lo, exec_lo, s0
	s_cbranch_vccz .LBB86_435
; %bb.220:
	scratch_load_b64 v[47:48], off, off offset:8
	v_cmp_eq_u32_e64 s0, 0, v0
	s_waitcnt vmcnt(0)
	ds_store_b64 v50, v[47:48]
	s_waitcnt lgkmcnt(0)
	s_waitcnt_vscnt null, 0x0
	s_barrier
	buffer_gl0_inv
	s_and_saveexec_b32 s1, s0
	s_cbranch_execz .LBB86_226
; %bb.221:
	s_and_b32 vcc_lo, exec_lo, s2
	s_cbranch_vccz .LBB86_223
; %bb.222:
	scratch_load_b64 v[47:48], v51, off
	ds_load_b64 v[52:53], v50
	s_waitcnt vmcnt(0) lgkmcnt(0)
	v_mul_f64 v[47:48], v[47:48], v[52:53]
	s_cbranch_execz .LBB86_224
	s_branch .LBB86_225
.LBB86_223:
                                        ; implicit-def: $vgpr47_vgpr48
.LBB86_224:
	ds_load_b64 v[47:48], v50
.LBB86_225:
	v_mov_b32_e32 v52, 0
	ds_load_b64 v[52:53], v52 offset:8
	s_waitcnt lgkmcnt(0)
	v_mul_f64 v[47:48], v[47:48], v[52:53]
	scratch_store_b64 off, v[47:48], off offset:8
.LBB86_226:
	s_or_b32 exec_lo, exec_lo, s1
	scratch_load_b64 v[47:48], off, off offset:16
	v_cndmask_b32_e64 v52, 0, 1, s2
	s_mov_b32 s1, exec_lo
	s_waitcnt vmcnt(0)
	ds_store_b64 v50, v[47:48]
	s_waitcnt lgkmcnt(0)
	s_waitcnt_vscnt null, 0x0
	s_barrier
	buffer_gl0_inv
	v_cmpx_gt_u32_e32 2, v0
	s_cbranch_execz .LBB86_234
; %bb.227:
	s_and_not1_b32 vcc_lo, exec_lo, s2
	s_cbranch_vccnz .LBB86_229
; %bb.228:
	scratch_load_b64 v[47:48], v51, off
	ds_load_b64 v[53:54], v50
	s_waitcnt vmcnt(0) lgkmcnt(0)
	v_mul_f64 v[47:48], v[47:48], v[53:54]
	s_cbranch_execz .LBB86_230
	s_branch .LBB86_231
.LBB86_229:
                                        ; implicit-def: $vgpr47_vgpr48
.LBB86_230:
	ds_load_b64 v[47:48], v50
.LBB86_231:
	s_and_saveexec_b32 s2, s0
	s_cbranch_execz .LBB86_233
; %bb.232:
	scratch_load_b64 v[53:54], v51, off offset:8
	ds_load_b64 v[55:56], v50 offset:8
	s_waitcnt vmcnt(0) lgkmcnt(0)
	v_fma_f64 v[47:48], v[53:54], v[55:56], v[47:48]
.LBB86_233:
	s_or_b32 exec_lo, exec_lo, s2
	v_mov_b32_e32 v53, 0
	ds_load_b64 v[53:54], v53 offset:16
	s_waitcnt lgkmcnt(0)
	v_mul_f64 v[47:48], v[47:48], v[53:54]
	scratch_store_b64 off, v[47:48], off offset:16
.LBB86_234:
	s_or_b32 exec_lo, exec_lo, s1
	scratch_load_b64 v[47:48], off, off offset:24
	s_mov_b32 s1, exec_lo
	s_waitcnt vmcnt(0)
	ds_store_b64 v50, v[47:48]
	s_waitcnt lgkmcnt(0)
	s_waitcnt_vscnt null, 0x0
	s_barrier
	buffer_gl0_inv
	v_cmpx_gt_u32_e32 3, v0
	s_cbranch_execz .LBB86_244
; %bb.235:
	v_cmp_ne_u32_e32 vcc_lo, 1, v52
	s_cbranch_vccnz .LBB86_237
; %bb.236:
	scratch_load_b64 v[47:48], v51, off
	ds_load_b64 v[53:54], v50
	s_waitcnt vmcnt(0) lgkmcnt(0)
	v_mul_f64 v[47:48], v[47:48], v[53:54]
	s_cbranch_execz .LBB86_238
	s_branch .LBB86_239
.LBB86_237:
                                        ; implicit-def: $vgpr47_vgpr48
.LBB86_238:
	ds_load_b64 v[47:48], v50
.LBB86_239:
	s_mov_b32 s2, exec_lo
	v_cmpx_ne_u32_e32 2, v0
	s_cbranch_execz .LBB86_243
; %bb.240:
	scratch_load_b64 v[53:54], v51, off offset:8
	ds_load_b64 v[55:56], v50 offset:8
	s_waitcnt vmcnt(0) lgkmcnt(0)
	v_fma_f64 v[47:48], v[53:54], v[55:56], v[47:48]
	s_and_saveexec_b32 s3, s0
	s_cbranch_execz .LBB86_242
; %bb.241:
	scratch_load_b64 v[53:54], off, off offset:16
	v_mov_b32_e32 v55, 0
	ds_load_b64 v[55:56], v55 offset:208
	s_waitcnt vmcnt(0) lgkmcnt(0)
	v_fma_f64 v[47:48], v[53:54], v[55:56], v[47:48]
.LBB86_242:
	s_or_b32 exec_lo, exec_lo, s3
.LBB86_243:
	s_delay_alu instid0(SALU_CYCLE_1)
	s_or_b32 exec_lo, exec_lo, s2
	v_mov_b32_e32 v53, 0
	ds_load_b64 v[53:54], v53 offset:24
	s_waitcnt lgkmcnt(0)
	v_mul_f64 v[47:48], v[47:48], v[53:54]
	scratch_store_b64 off, v[47:48], off offset:24
.LBB86_244:
	s_or_b32 exec_lo, exec_lo, s1
	scratch_load_b64 v[47:48], off, off offset:32
	s_mov_b32 s0, exec_lo
	s_waitcnt vmcnt(0)
	ds_store_b64 v50, v[47:48]
	s_waitcnt lgkmcnt(0)
	s_waitcnt_vscnt null, 0x0
	s_barrier
	buffer_gl0_inv
	v_cmpx_gt_u32_e32 4, v0
	s_cbranch_execz .LBB86_254
; %bb.245:
	v_cmp_ne_u32_e32 vcc_lo, 1, v52
	s_cbranch_vccnz .LBB86_247
; %bb.246:
	scratch_load_b64 v[47:48], v51, off
	ds_load_b64 v[53:54], v50
	s_waitcnt vmcnt(0) lgkmcnt(0)
	v_mul_f64 v[47:48], v[47:48], v[53:54]
	s_cbranch_execz .LBB86_248
	s_branch .LBB86_249
.LBB86_247:
                                        ; implicit-def: $vgpr47_vgpr48
.LBB86_248:
	ds_load_b64 v[47:48], v50
.LBB86_249:
	s_mov_b32 s1, exec_lo
	v_cmpx_ne_u32_e32 3, v0
	s_cbranch_execz .LBB86_253
; %bb.250:
	v_add_nc_u32_e32 v53, 0xc8, v49
	v_add3_u32 v54, 0, v49, 8
	v_mov_b32_e32 v55, v0
	s_mov_b32 s2, 0
.LBB86_251:                             ; =>This Inner Loop Header: Depth=1
	scratch_load_b64 v[56:57], v54, off
	ds_load_b64 v[58:59], v53
	v_add_nc_u32_e32 v55, 1, v55
	v_add_nc_u32_e32 v53, 8, v53
	v_add_nc_u32_e32 v54, 8, v54
	s_delay_alu instid0(VALU_DEP_3)
	v_cmp_lt_u32_e32 vcc_lo, 2, v55
	s_or_b32 s2, vcc_lo, s2
	s_waitcnt vmcnt(0) lgkmcnt(0)
	v_fma_f64 v[47:48], v[56:57], v[58:59], v[47:48]
	s_and_not1_b32 exec_lo, exec_lo, s2
	s_cbranch_execnz .LBB86_251
; %bb.252:
	s_or_b32 exec_lo, exec_lo, s2
.LBB86_253:
	s_delay_alu instid0(SALU_CYCLE_1)
	s_or_b32 exec_lo, exec_lo, s1
	v_mov_b32_e32 v53, 0
	ds_load_b64 v[53:54], v53 offset:32
	s_waitcnt lgkmcnt(0)
	v_mul_f64 v[47:48], v[47:48], v[53:54]
	scratch_store_b64 off, v[47:48], off offset:32
.LBB86_254:
	s_or_b32 exec_lo, exec_lo, s0
	scratch_load_b64 v[47:48], off, off offset:40
	s_mov_b32 s0, exec_lo
	s_waitcnt vmcnt(0)
	ds_store_b64 v50, v[47:48]
	s_waitcnt lgkmcnt(0)
	s_waitcnt_vscnt null, 0x0
	s_barrier
	buffer_gl0_inv
	v_cmpx_gt_u32_e32 5, v0
	s_cbranch_execz .LBB86_264
; %bb.255:
	v_cmp_ne_u32_e32 vcc_lo, 1, v52
	s_cbranch_vccnz .LBB86_257
; %bb.256:
	scratch_load_b64 v[47:48], v51, off
	ds_load_b64 v[53:54], v50
	s_waitcnt vmcnt(0) lgkmcnt(0)
	v_mul_f64 v[47:48], v[47:48], v[53:54]
	s_cbranch_execz .LBB86_258
	s_branch .LBB86_259
.LBB86_257:
                                        ; implicit-def: $vgpr47_vgpr48
.LBB86_258:
	ds_load_b64 v[47:48], v50
.LBB86_259:
	s_mov_b32 s1, exec_lo
	v_cmpx_ne_u32_e32 4, v0
	s_cbranch_execz .LBB86_263
; %bb.260:
	v_add_nc_u32_e32 v53, 0xc8, v49
	v_add3_u32 v54, 0, v49, 8
	v_mov_b32_e32 v55, v0
	s_mov_b32 s2, 0
.LBB86_261:                             ; =>This Inner Loop Header: Depth=1
	scratch_load_b64 v[56:57], v54, off
	ds_load_b64 v[58:59], v53
	v_add_nc_u32_e32 v55, 1, v55
	v_add_nc_u32_e32 v53, 8, v53
	v_add_nc_u32_e32 v54, 8, v54
	s_delay_alu instid0(VALU_DEP_3)
	v_cmp_lt_u32_e32 vcc_lo, 3, v55
	s_or_b32 s2, vcc_lo, s2
	s_waitcnt vmcnt(0) lgkmcnt(0)
	v_fma_f64 v[47:48], v[56:57], v[58:59], v[47:48]
	s_and_not1_b32 exec_lo, exec_lo, s2
	s_cbranch_execnz .LBB86_261
; %bb.262:
	s_or_b32 exec_lo, exec_lo, s2
.LBB86_263:
	s_delay_alu instid0(SALU_CYCLE_1)
	s_or_b32 exec_lo, exec_lo, s1
	v_mov_b32_e32 v53, 0
	ds_load_b64 v[53:54], v53 offset:40
	s_waitcnt lgkmcnt(0)
	v_mul_f64 v[47:48], v[47:48], v[53:54]
	scratch_store_b64 off, v[47:48], off offset:40
.LBB86_264:
	;; [unrolled: 58-line block ×17, first 2 shown]
	s_or_b32 exec_lo, exec_lo, s0
	scratch_load_b64 v[47:48], off, off offset:168
	v_cmp_gt_u32_e64 s0, 21, v0
	s_waitcnt vmcnt(0)
	ds_store_b64 v50, v[47:48]
	s_waitcnt lgkmcnt(0)
	s_waitcnt_vscnt null, 0x0
	s_barrier
	buffer_gl0_inv
	s_and_saveexec_b32 s1, s0
	s_cbranch_execz .LBB86_424
; %bb.415:
	v_cmp_ne_u32_e32 vcc_lo, 1, v52
	s_cbranch_vccnz .LBB86_417
; %bb.416:
	scratch_load_b64 v[47:48], v51, off
	ds_load_b64 v[53:54], v50
	s_waitcnt vmcnt(0) lgkmcnt(0)
	v_mul_f64 v[47:48], v[47:48], v[53:54]
	s_cbranch_execz .LBB86_418
	s_branch .LBB86_419
.LBB86_417:
                                        ; implicit-def: $vgpr47_vgpr48
.LBB86_418:
	ds_load_b64 v[47:48], v50
.LBB86_419:
	s_mov_b32 s2, exec_lo
	v_cmpx_ne_u32_e32 20, v0
	s_cbranch_execz .LBB86_423
; %bb.420:
	v_add_nc_u32_e32 v53, 0xc8, v49
	v_add3_u32 v54, 0, v49, 8
	v_mov_b32_e32 v55, v0
	s_mov_b32 s3, 0
.LBB86_421:                             ; =>This Inner Loop Header: Depth=1
	scratch_load_b64 v[56:57], v54, off
	ds_load_b64 v[58:59], v53
	v_add_nc_u32_e32 v55, 1, v55
	v_add_nc_u32_e32 v53, 8, v53
	;; [unrolled: 1-line block ×3, first 2 shown]
	s_delay_alu instid0(VALU_DEP_3)
	v_cmp_lt_u32_e32 vcc_lo, 19, v55
	s_or_b32 s3, vcc_lo, s3
	s_waitcnt vmcnt(0) lgkmcnt(0)
	v_fma_f64 v[47:48], v[56:57], v[58:59], v[47:48]
	s_and_not1_b32 exec_lo, exec_lo, s3
	s_cbranch_execnz .LBB86_421
; %bb.422:
	s_or_b32 exec_lo, exec_lo, s3
.LBB86_423:
	s_delay_alu instid0(SALU_CYCLE_1)
	s_or_b32 exec_lo, exec_lo, s2
	v_mov_b32_e32 v53, 0
	ds_load_b64 v[53:54], v53 offset:168
	s_waitcnt lgkmcnt(0)
	v_mul_f64 v[47:48], v[47:48], v[53:54]
	scratch_store_b64 off, v[47:48], off offset:168
.LBB86_424:
	s_or_b32 exec_lo, exec_lo, s1
	scratch_load_b64 v[47:48], off, off offset:176
	s_mov_b32 s1, exec_lo
	s_waitcnt vmcnt(0)
	ds_store_b64 v50, v[47:48]
	s_waitcnt lgkmcnt(0)
	s_waitcnt_vscnt null, 0x0
	s_barrier
	buffer_gl0_inv
	v_cmpx_ne_u32_e32 22, v0
	s_cbranch_execz .LBB86_434
; %bb.425:
	v_cmp_ne_u32_e32 vcc_lo, 1, v52
	s_cbranch_vccnz .LBB86_427
; %bb.426:
	scratch_load_b64 v[47:48], v51, off
	ds_load_b64 v[51:52], v50
	s_waitcnt vmcnt(0) lgkmcnt(0)
	v_mul_f64 v[47:48], v[47:48], v[51:52]
	s_cbranch_execz .LBB86_428
	s_branch .LBB86_429
.LBB86_427:
                                        ; implicit-def: $vgpr47_vgpr48
.LBB86_428:
	ds_load_b64 v[47:48], v50
.LBB86_429:
	s_and_saveexec_b32 s2, s0
	s_cbranch_execz .LBB86_433
; %bb.430:
	v_add_nc_u32_e32 v50, 0xc8, v49
	v_add3_u32 v49, 0, v49, 8
	s_mov_b32 s0, 0
.LBB86_431:                             ; =>This Inner Loop Header: Depth=1
	scratch_load_b64 v[51:52], v49, off
	ds_load_b64 v[53:54], v50
	v_add_nc_u32_e32 v0, 1, v0
	v_add_nc_u32_e32 v50, 8, v50
	;; [unrolled: 1-line block ×3, first 2 shown]
	s_delay_alu instid0(VALU_DEP_3)
	v_cmp_lt_u32_e32 vcc_lo, 20, v0
	s_or_b32 s0, vcc_lo, s0
	s_waitcnt vmcnt(0) lgkmcnt(0)
	v_fma_f64 v[47:48], v[51:52], v[53:54], v[47:48]
	s_and_not1_b32 exec_lo, exec_lo, s0
	s_cbranch_execnz .LBB86_431
; %bb.432:
	s_or_b32 exec_lo, exec_lo, s0
.LBB86_433:
	s_delay_alu instid0(SALU_CYCLE_1)
	s_or_b32 exec_lo, exec_lo, s2
	v_mov_b32_e32 v0, 0
	ds_load_b64 v[49:50], v0 offset:176
	s_waitcnt lgkmcnt(0)
	v_mul_f64 v[47:48], v[47:48], v[49:50]
	scratch_store_b64 off, v[47:48], off offset:176
.LBB86_434:
	s_or_b32 exec_lo, exec_lo, s1
.LBB86_435:
	s_clause 0xb
	scratch_load_b128 v[47:50], off, off
	scratch_load_b128 v[51:54], off, off offset:16
	scratch_load_b128 v[55:58], off, off offset:32
	;; [unrolled: 1-line block ×10, first 2 shown]
	scratch_load_b64 v[91:92], off, off offset:176
	s_waitcnt vmcnt(11)
	s_clause 0x1
	global_store_b64 v[1:2], v[47:48], off
	global_store_b64 v[3:4], v[49:50], off
	s_waitcnt vmcnt(10)
	s_clause 0x1
	global_store_b64 v[5:6], v[51:52], off
	global_store_b64 v[7:8], v[53:54], off
	;; [unrolled: 4-line block ×11, first 2 shown]
	s_waitcnt vmcnt(0)
	global_store_b64 v[43:44], v[91:92], off
.LBB86_436:
	s_endpgm
	.section	.rodata,"a",@progbits
	.p2align	6, 0x0
	.amdhsa_kernel _ZN9rocsolver6v33100L18trti2_kernel_smallILi23EdPKPdEEv13rocblas_fill_17rocblas_diagonal_T1_iil
		.amdhsa_group_segment_fixed_size 376
		.amdhsa_private_segment_fixed_size 192
		.amdhsa_kernarg_size 32
		.amdhsa_user_sgpr_count 15
		.amdhsa_user_sgpr_dispatch_ptr 0
		.amdhsa_user_sgpr_queue_ptr 0
		.amdhsa_user_sgpr_kernarg_segment_ptr 1
		.amdhsa_user_sgpr_dispatch_id 0
		.amdhsa_user_sgpr_private_segment_size 0
		.amdhsa_wavefront_size32 1
		.amdhsa_uses_dynamic_stack 0
		.amdhsa_enable_private_segment 1
		.amdhsa_system_sgpr_workgroup_id_x 1
		.amdhsa_system_sgpr_workgroup_id_y 0
		.amdhsa_system_sgpr_workgroup_id_z 0
		.amdhsa_system_sgpr_workgroup_info 0
		.amdhsa_system_vgpr_workitem_id 0
		.amdhsa_next_free_vgpr 93
		.amdhsa_next_free_sgpr 16
		.amdhsa_reserve_vcc 1
		.amdhsa_float_round_mode_32 0
		.amdhsa_float_round_mode_16_64 0
		.amdhsa_float_denorm_mode_32 3
		.amdhsa_float_denorm_mode_16_64 3
		.amdhsa_dx10_clamp 1
		.amdhsa_ieee_mode 1
		.amdhsa_fp16_overflow 0
		.amdhsa_workgroup_processor_mode 1
		.amdhsa_memory_ordered 1
		.amdhsa_forward_progress 0
		.amdhsa_shared_vgpr_count 0
		.amdhsa_exception_fp_ieee_invalid_op 0
		.amdhsa_exception_fp_denorm_src 0
		.amdhsa_exception_fp_ieee_div_zero 0
		.amdhsa_exception_fp_ieee_overflow 0
		.amdhsa_exception_fp_ieee_underflow 0
		.amdhsa_exception_fp_ieee_inexact 0
		.amdhsa_exception_int_div_zero 0
	.end_amdhsa_kernel
	.section	.text._ZN9rocsolver6v33100L18trti2_kernel_smallILi23EdPKPdEEv13rocblas_fill_17rocblas_diagonal_T1_iil,"axG",@progbits,_ZN9rocsolver6v33100L18trti2_kernel_smallILi23EdPKPdEEv13rocblas_fill_17rocblas_diagonal_T1_iil,comdat
.Lfunc_end86:
	.size	_ZN9rocsolver6v33100L18trti2_kernel_smallILi23EdPKPdEEv13rocblas_fill_17rocblas_diagonal_T1_iil, .Lfunc_end86-_ZN9rocsolver6v33100L18trti2_kernel_smallILi23EdPKPdEEv13rocblas_fill_17rocblas_diagonal_T1_iil
                                        ; -- End function
	.section	.AMDGPU.csdata,"",@progbits
; Kernel info:
; codeLenInByte = 12236
; NumSgprs: 18
; NumVgprs: 93
; ScratchSize: 192
; MemoryBound: 0
; FloatMode: 240
; IeeeMode: 1
; LDSByteSize: 376 bytes/workgroup (compile time only)
; SGPRBlocks: 2
; VGPRBlocks: 11
; NumSGPRsForWavesPerEU: 18
; NumVGPRsForWavesPerEU: 93
; Occupancy: 16
; WaveLimiterHint : 1
; COMPUTE_PGM_RSRC2:SCRATCH_EN: 1
; COMPUTE_PGM_RSRC2:USER_SGPR: 15
; COMPUTE_PGM_RSRC2:TRAP_HANDLER: 0
; COMPUTE_PGM_RSRC2:TGID_X_EN: 1
; COMPUTE_PGM_RSRC2:TGID_Y_EN: 0
; COMPUTE_PGM_RSRC2:TGID_Z_EN: 0
; COMPUTE_PGM_RSRC2:TIDIG_COMP_CNT: 0
	.section	.text._ZN9rocsolver6v33100L18trti2_kernel_smallILi24EdPKPdEEv13rocblas_fill_17rocblas_diagonal_T1_iil,"axG",@progbits,_ZN9rocsolver6v33100L18trti2_kernel_smallILi24EdPKPdEEv13rocblas_fill_17rocblas_diagonal_T1_iil,comdat
	.globl	_ZN9rocsolver6v33100L18trti2_kernel_smallILi24EdPKPdEEv13rocblas_fill_17rocblas_diagonal_T1_iil ; -- Begin function _ZN9rocsolver6v33100L18trti2_kernel_smallILi24EdPKPdEEv13rocblas_fill_17rocblas_diagonal_T1_iil
	.p2align	8
	.type	_ZN9rocsolver6v33100L18trti2_kernel_smallILi24EdPKPdEEv13rocblas_fill_17rocblas_diagonal_T1_iil,@function
_ZN9rocsolver6v33100L18trti2_kernel_smallILi24EdPKPdEEv13rocblas_fill_17rocblas_diagonal_T1_iil: ; @_ZN9rocsolver6v33100L18trti2_kernel_smallILi24EdPKPdEEv13rocblas_fill_17rocblas_diagonal_T1_iil
; %bb.0:
	s_mov_b32 s2, exec_lo
	v_cmpx_gt_u32_e32 24, v0
	s_cbranch_execz .LBB87_456
; %bb.1:
	s_clause 0x1
	s_load_b64 s[4:5], s[0:1], 0x10
	s_load_b128 s[0:3], s[0:1], 0x0
	s_mov_b32 s6, s15
	s_ashr_i32 s7, s15, 31
	v_lshlrev_b32_e32 v51, 3, v0
	s_lshl_b64 s[6:7], s[6:7], 3
	s_waitcnt lgkmcnt(0)
	s_ashr_i32 s9, s4, 31
	s_add_u32 s2, s2, s6
	s_addc_u32 s3, s3, s7
	v_add3_u32 v1, s5, s5, v0
	s_load_b64 s[2:3], s[2:3], 0x0
	s_mov_b32 s8, s4
	s_mov_b32 s6, s5
	s_lshl_b64 s[8:9], s[8:9], 3
	v_ashrrev_i32_e32 v2, 31, v1
	v_add_nc_u32_e32 v9, s5, v1
	s_delay_alu instid0(VALU_DEP_2) | instskip(NEXT) | instid1(VALU_DEP_2)
	v_lshlrev_b64 v[1:2], 3, v[1:2]
	v_ashrrev_i32_e32 v10, 31, v9
	s_delay_alu instid0(VALU_DEP_1)
	v_lshlrev_b64 v[3:4], 3, v[9:10]
	v_add_nc_u32_e32 v9, s5, v9
	s_waitcnt lgkmcnt(0)
	s_add_u32 s2, s2, s8
	s_addc_u32 s3, s3, s9
	v_add_co_u32 v7, s4, s2, v51
	s_ashr_i32 s7, s5, 31
	v_add_co_ci_u32_e64 v8, null, s3, 0, s4
	v_add_co_u32 v1, vcc_lo, s2, v1
	s_lshl_b64 s[6:7], s[6:7], 3
	v_add_co_ci_u32_e32 v2, vcc_lo, s3, v2, vcc_lo
	v_add_co_u32 v5, vcc_lo, v7, s6
	v_add_co_ci_u32_e32 v6, vcc_lo, s7, v8, vcc_lo
	v_add_co_u32 v3, vcc_lo, s2, v3
	v_add_co_ci_u32_e32 v4, vcc_lo, s3, v4, vcc_lo
	s_clause 0x3
	global_load_b64 v[52:53], v51, s[2:3]
	global_load_b64 v[54:55], v[5:6], off
	global_load_b64 v[56:57], v[1:2], off
	;; [unrolled: 1-line block ×3, first 2 shown]
	v_add_nc_u32_e32 v11, s5, v9
	v_ashrrev_i32_e32 v10, 31, v9
	s_cmpk_lg_i32 s1, 0x84
	s_delay_alu instid0(VALU_DEP_2) | instskip(SKIP_1) | instid1(VALU_DEP_3)
	v_add_nc_u32_e32 v13, s5, v11
	v_ashrrev_i32_e32 v12, 31, v11
	v_lshlrev_b64 v[9:10], 3, v[9:10]
	s_delay_alu instid0(VALU_DEP_3) | instskip(SKIP_1) | instid1(VALU_DEP_4)
	v_add_nc_u32_e32 v15, s5, v13
	v_ashrrev_i32_e32 v14, 31, v13
	v_lshlrev_b64 v[11:12], 3, v[11:12]
	s_delay_alu instid0(VALU_DEP_4) | instskip(NEXT) | instid1(VALU_DEP_4)
	v_add_co_u32 v9, vcc_lo, s2, v9
	v_add_nc_u32_e32 v17, s5, v15
	v_ashrrev_i32_e32 v16, 31, v15
	v_lshlrev_b64 v[13:14], 3, v[13:14]
	v_add_co_ci_u32_e32 v10, vcc_lo, s3, v10, vcc_lo
	s_delay_alu instid0(VALU_DEP_4) | instskip(SKIP_3) | instid1(VALU_DEP_4)
	v_add_nc_u32_e32 v19, s5, v17
	v_ashrrev_i32_e32 v18, 31, v17
	v_add_co_u32 v11, vcc_lo, s2, v11
	v_lshlrev_b64 v[15:16], 3, v[15:16]
	v_add_nc_u32_e32 v21, s5, v19
	v_ashrrev_i32_e32 v20, 31, v19
	v_add_co_ci_u32_e32 v12, vcc_lo, s3, v12, vcc_lo
	v_add_co_u32 v13, vcc_lo, s2, v13
	s_delay_alu instid0(VALU_DEP_4) | instskip(SKIP_3) | instid1(VALU_DEP_4)
	v_add_nc_u32_e32 v23, s5, v21
	v_lshlrev_b64 v[17:18], 3, v[17:18]
	v_ashrrev_i32_e32 v22, 31, v21
	v_add_co_ci_u32_e32 v14, vcc_lo, s3, v14, vcc_lo
	v_add_nc_u32_e32 v25, s5, v23
	v_add_co_u32 v15, vcc_lo, s2, v15
	v_lshlrev_b64 v[19:20], 3, v[19:20]
	v_ashrrev_i32_e32 v24, 31, v23
	s_delay_alu instid0(VALU_DEP_4) | instskip(SKIP_2) | instid1(VALU_DEP_3)
	v_add_nc_u32_e32 v27, s5, v25
	v_add_co_ci_u32_e32 v16, vcc_lo, s3, v16, vcc_lo
	v_add_co_u32 v17, vcc_lo, s2, v17
	v_add_nc_u32_e32 v29, s5, v27
	v_lshlrev_b64 v[21:22], 3, v[21:22]
	v_ashrrev_i32_e32 v26, 31, v25
	v_add_co_ci_u32_e32 v18, vcc_lo, s3, v18, vcc_lo
	s_delay_alu instid0(VALU_DEP_4) | instskip(SKIP_3) | instid1(VALU_DEP_4)
	v_add_nc_u32_e32 v31, s5, v29
	v_add_co_u32 v19, vcc_lo, s2, v19
	v_lshlrev_b64 v[23:24], 3, v[23:24]
	v_ashrrev_i32_e32 v28, 31, v27
	v_add_nc_u32_e32 v33, s5, v31
	v_add_co_ci_u32_e32 v20, vcc_lo, s3, v20, vcc_lo
	v_add_co_u32 v21, vcc_lo, s2, v21
	s_delay_alu instid0(VALU_DEP_3) | instskip(SKIP_3) | instid1(VALU_DEP_4)
	v_add_nc_u32_e32 v35, s5, v33
	v_lshlrev_b64 v[25:26], 3, v[25:26]
	v_ashrrev_i32_e32 v30, 31, v29
	v_add_co_ci_u32_e32 v22, vcc_lo, s3, v22, vcc_lo
	v_add_nc_u32_e32 v37, s5, v35
	v_add_co_u32 v23, vcc_lo, s2, v23
	v_lshlrev_b64 v[27:28], 3, v[27:28]
	v_ashrrev_i32_e32 v32, 31, v31
	s_delay_alu instid0(VALU_DEP_4)
	v_add_nc_u32_e32 v39, s5, v37
	v_add_co_ci_u32_e32 v24, vcc_lo, s3, v24, vcc_lo
	v_add_co_u32 v25, vcc_lo, s2, v25
	v_lshlrev_b64 v[29:30], 3, v[29:30]
	v_ashrrev_i32_e32 v34, 31, v33
	v_add_nc_u32_e32 v41, s5, v39
	v_add_co_ci_u32_e32 v26, vcc_lo, s3, v26, vcc_lo
	v_add_co_u32 v27, vcc_lo, s2, v27
	v_lshlrev_b64 v[31:32], 3, v[31:32]
	v_ashrrev_i32_e32 v36, 31, v35
	v_add_co_ci_u32_e32 v28, vcc_lo, s3, v28, vcc_lo
	v_add_co_u32 v29, vcc_lo, s2, v29
	v_lshlrev_b64 v[33:34], 3, v[33:34]
	v_add_nc_u32_e32 v43, s5, v41
	v_ashrrev_i32_e32 v38, 31, v37
	v_add_co_ci_u32_e32 v30, vcc_lo, s3, v30, vcc_lo
	v_add_co_u32 v31, vcc_lo, s2, v31
	v_lshlrev_b64 v[35:36], 3, v[35:36]
	v_ashrrev_i32_e32 v40, 31, v39
	v_add_co_ci_u32_e32 v32, vcc_lo, s3, v32, vcc_lo
	v_add_nc_u32_e32 v45, s5, v43
	v_add_co_u32 v33, vcc_lo, s2, v33
	v_lshlrev_b64 v[37:38], 3, v[37:38]
	v_ashrrev_i32_e32 v42, 31, v41
	v_add_co_ci_u32_e32 v34, vcc_lo, s3, v34, vcc_lo
	v_add_co_u32 v35, vcc_lo, s2, v35
	v_lshlrev_b64 v[39:40], 3, v[39:40]
	v_add_nc_u32_e32 v47, s5, v45
	v_add_co_ci_u32_e32 v36, vcc_lo, s3, v36, vcc_lo
	v_add_co_u32 v37, vcc_lo, s2, v37
	v_lshlrev_b64 v[41:42], 3, v[41:42]
	v_ashrrev_i32_e32 v44, 31, v43
	v_add_co_ci_u32_e32 v38, vcc_lo, s3, v38, vcc_lo
	v_add_co_u32 v39, vcc_lo, s2, v39
	v_ashrrev_i32_e32 v48, 31, v47
	v_add_co_ci_u32_e32 v40, vcc_lo, s3, v40, vcc_lo
	v_lshlrev_b64 v[49:50], 3, v[43:44]
	v_ashrrev_i32_e32 v46, 31, v45
	v_add_co_u32 v43, vcc_lo, s2, v41
	v_add_co_ci_u32_e32 v44, vcc_lo, s3, v42, vcc_lo
	v_lshlrev_b64 v[41:42], 3, v[47:48]
	s_delay_alu instid0(VALU_DEP_4) | instskip(SKIP_2) | instid1(VALU_DEP_4)
	v_lshlrev_b64 v[45:46], 3, v[45:46]
	v_add_co_u32 v47, vcc_lo, s2, v49
	v_add_co_ci_u32_e32 v48, vcc_lo, s3, v50, vcc_lo
	v_add_co_u32 v41, vcc_lo, s2, v41
	v_add_co_ci_u32_e32 v42, vcc_lo, s3, v42, vcc_lo
	;; [unrolled: 2-line block ×3, first 2 shown]
	s_clause 0xd
	global_load_b64 v[60:61], v[9:10], off
	global_load_b64 v[62:63], v[11:12], off
	;; [unrolled: 1-line block ×14, first 2 shown]
	v_mov_b32_e32 v49, 0
	v_mov_b32_e32 v50, 0xbff00000
	s_cselect_b32 s2, -1, 0
	s_cmpk_eq_i32 s1, 0x84
	s_waitcnt vmcnt(16)
	scratch_store_b128 off, v[52:55], off
	s_clause 0x2
	global_load_b64 v[86:87], v[35:36], off
	global_load_b64 v[52:53], v[37:38], off
	;; [unrolled: 1-line block ×3, first 2 shown]
	s_waitcnt vmcnt(17)
	scratch_store_b128 off, v[56:59], off offset:16
	s_clause 0x2
	global_load_b64 v[56:57], v[43:44], off
	global_load_b64 v[58:59], v[47:48], off
	;; [unrolled: 1-line block ×3, first 2 shown]
	s_waitcnt vmcnt(18)
	scratch_store_b128 off, v[60:63], off offset:32
	s_waitcnt vmcnt(16)
	scratch_store_b128 off, v[64:67], off offset:48
	;; [unrolled: 2-line block ×10, first 2 shown]
	s_cbranch_scc1 .LBB87_3
; %bb.2:
	scratch_load_b64 v[49:50], v51, off
	s_waitcnt vmcnt(0)
	v_div_scale_f64 v[52:53], null, v[49:50], v[49:50], 1.0
	v_div_scale_f64 v[58:59], vcc_lo, 1.0, v[49:50], 1.0
	s_delay_alu instid0(VALU_DEP_2) | instskip(SKIP_2) | instid1(VALU_DEP_1)
	v_rcp_f64_e32 v[54:55], v[52:53]
	s_waitcnt_depctr 0xfff
	v_fma_f64 v[56:57], -v[52:53], v[54:55], 1.0
	v_fma_f64 v[54:55], v[54:55], v[56:57], v[54:55]
	s_delay_alu instid0(VALU_DEP_1) | instskip(NEXT) | instid1(VALU_DEP_1)
	v_fma_f64 v[56:57], -v[52:53], v[54:55], 1.0
	v_fma_f64 v[54:55], v[54:55], v[56:57], v[54:55]
	s_delay_alu instid0(VALU_DEP_1) | instskip(NEXT) | instid1(VALU_DEP_1)
	v_mul_f64 v[56:57], v[58:59], v[54:55]
	v_fma_f64 v[52:53], -v[52:53], v[56:57], v[58:59]
	s_delay_alu instid0(VALU_DEP_1) | instskip(NEXT) | instid1(VALU_DEP_1)
	v_div_fmas_f64 v[52:53], v[52:53], v[54:55], v[56:57]
	v_div_fixup_f64 v[49:50], v[52:53], v[49:50], 1.0
	scratch_store_b64 v51, v[49:50], off
	v_xor_b32_e32 v50, 0x80000000, v50
.LBB87_3:
	v_add_nc_u32_e32 v52, 0xc0, v51
	v_add_nc_u32_e32 v53, 0, v51
	s_cmpk_eq_i32 s0, 0x79
	s_mov_b32 s0, -1
	ds_store_b64 v51, v[49:50]
	s_cbranch_scc1 .LBB87_229
; %bb.4:
	scratch_load_b64 v[49:50], off, off offset:176
	v_cmp_eq_u32_e64 s0, 23, v0
	s_movk_i32 s1, 0x50
	s_movk_i32 s3, 0x60
	;; [unrolled: 1-line block ×6, first 2 shown]
	s_waitcnt vmcnt(0)
	ds_store_b64 v52, v[49:50]
	s_waitcnt lgkmcnt(0)
	s_waitcnt_vscnt null, 0x0
	s_barrier
	buffer_gl0_inv
	s_and_saveexec_b32 s8, s0
	s_cbranch_execz .LBB87_10
; %bb.5:
	s_and_b32 vcc_lo, exec_lo, s2
	s_cbranch_vccz .LBB87_7
; %bb.6:
	scratch_load_b64 v[49:50], v53, off
	ds_load_b64 v[54:55], v52
	s_waitcnt vmcnt(0) lgkmcnt(0)
	v_mul_f64 v[49:50], v[49:50], v[54:55]
	s_cbranch_execz .LBB87_8
	s_branch .LBB87_9
.LBB87_7:
                                        ; implicit-def: $vgpr49_vgpr50
.LBB87_8:
	ds_load_b64 v[49:50], v52
.LBB87_9:
	v_mov_b32_e32 v54, 0
	ds_load_b64 v[54:55], v54 offset:176
	s_waitcnt lgkmcnt(0)
	v_mul_f64 v[49:50], v[49:50], v[54:55]
	scratch_store_b64 off, v[49:50], off offset:176
.LBB87_10:
	s_or_b32 exec_lo, exec_lo, s8
	scratch_load_b64 v[49:50], off, off offset:168
	v_add_nc_u32_e64 v54, 0, 16
	v_add_nc_u32_e64 v55, 0, 32
	;; [unrolled: 1-line block ×10, first 2 shown]
	v_cmp_lt_u32_e64 s1, 21, v0
	s_waitcnt vmcnt(0)
	ds_store_b64 v52, v[49:50]
	s_waitcnt lgkmcnt(0)
	s_waitcnt_vscnt null, 0x0
	s_barrier
	buffer_gl0_inv
	s_and_saveexec_b32 s3, s1
	s_cbranch_execz .LBB87_18
; %bb.11:
	s_and_not1_b32 vcc_lo, exec_lo, s2
	s_cbranch_vccnz .LBB87_13
; %bb.12:
	scratch_load_b64 v[49:50], v53, off
	ds_load_b64 v[64:65], v52
	s_waitcnt vmcnt(0) lgkmcnt(0)
	v_mul_f64 v[49:50], v[49:50], v[64:65]
	s_cbranch_execz .LBB87_14
	s_branch .LBB87_15
.LBB87_13:
                                        ; implicit-def: $vgpr49_vgpr50
.LBB87_14:
	ds_load_b64 v[49:50], v52
.LBB87_15:
	s_and_saveexec_b32 s4, s0
	s_cbranch_execz .LBB87_17
; %bb.16:
	scratch_load_b64 v[64:65], off, off offset:176
	v_mov_b32_e32 v66, 0
	ds_load_b64 v[66:67], v66 offset:368
	s_waitcnt vmcnt(0) lgkmcnt(0)
	v_fma_f64 v[49:50], v[64:65], v[66:67], v[49:50]
.LBB87_17:
	s_or_b32 exec_lo, exec_lo, s4
	v_mov_b32_e32 v64, 0
	ds_load_b64 v[64:65], v64 offset:168
	s_waitcnt lgkmcnt(0)
	v_mul_f64 v[49:50], v[49:50], v[64:65]
	scratch_store_b64 off, v[49:50], off offset:168
.LBB87_18:
	s_or_b32 exec_lo, exec_lo, s3
	scratch_load_b64 v[49:50], off, off offset:160
	v_cmp_lt_u32_e64 s0, 20, v0
	s_waitcnt vmcnt(0)
	ds_store_b64 v52, v[49:50]
	s_waitcnt lgkmcnt(0)
	s_waitcnt_vscnt null, 0x0
	s_barrier
	buffer_gl0_inv
	s_and_saveexec_b32 s3, s0
	s_cbranch_execz .LBB87_28
; %bb.19:
	s_and_not1_b32 vcc_lo, exec_lo, s2
	s_cbranch_vccnz .LBB87_21
; %bb.20:
	scratch_load_b64 v[49:50], v53, off
	ds_load_b64 v[64:65], v52
	s_waitcnt vmcnt(0) lgkmcnt(0)
	v_mul_f64 v[49:50], v[49:50], v[64:65]
	s_cbranch_execz .LBB87_22
	s_branch .LBB87_23
.LBB87_21:
                                        ; implicit-def: $vgpr49_vgpr50
.LBB87_22:
	ds_load_b64 v[49:50], v52
.LBB87_23:
	s_and_saveexec_b32 s4, s1
	s_cbranch_execz .LBB87_27
; %bb.24:
	v_mov_b32_e32 v64, 0
	v_subrev_nc_u32_e32 v65, 21, v0
	s_movk_i32 s5, 0x168
	s_mov_b32 s1, 0
	s_delay_alu instid0(VALU_DEP_2)
	v_add_nc_u32_e32 v64, 0xa8, v64
.LBB87_25:                              ; =>This Inner Loop Header: Depth=1
	scratch_load_b64 v[66:67], v64, off
	v_dual_mov_b32 v68, s5 :: v_dual_add_nc_u32 v65, -1, v65
	v_add_nc_u32_e32 v64, 8, v64
	s_add_i32 s5, s5, 8
	ds_load_b64 v[68:69], v68
	v_cmp_eq_u32_e32 vcc_lo, 0, v65
	s_or_b32 s1, vcc_lo, s1
	s_waitcnt vmcnt(0) lgkmcnt(0)
	v_fma_f64 v[49:50], v[66:67], v[68:69], v[49:50]
	s_and_not1_b32 exec_lo, exec_lo, s1
	s_cbranch_execnz .LBB87_25
; %bb.26:
	s_or_b32 exec_lo, exec_lo, s1
.LBB87_27:
	s_delay_alu instid0(SALU_CYCLE_1)
	s_or_b32 exec_lo, exec_lo, s4
	v_mov_b32_e32 v64, 0
	ds_load_b64 v[64:65], v64 offset:160
	s_waitcnt lgkmcnt(0)
	v_mul_f64 v[49:50], v[49:50], v[64:65]
	scratch_store_b64 off, v[49:50], off offset:160
.LBB87_28:
	s_or_b32 exec_lo, exec_lo, s3
	scratch_load_b64 v[49:50], off, off offset:152
	v_cmp_lt_u32_e64 s1, 19, v0
	s_waitcnt vmcnt(0)
	ds_store_b64 v52, v[49:50]
	s_waitcnt lgkmcnt(0)
	s_waitcnt_vscnt null, 0x0
	s_barrier
	buffer_gl0_inv
	s_and_saveexec_b32 s3, s1
	s_cbranch_execz .LBB87_38
; %bb.29:
	s_and_not1_b32 vcc_lo, exec_lo, s2
	s_cbranch_vccnz .LBB87_31
; %bb.30:
	scratch_load_b64 v[49:50], v53, off
	ds_load_b64 v[64:65], v52
	s_waitcnt vmcnt(0) lgkmcnt(0)
	v_mul_f64 v[49:50], v[49:50], v[64:65]
	s_cbranch_execz .LBB87_32
	s_branch .LBB87_33
.LBB87_31:
                                        ; implicit-def: $vgpr49_vgpr50
.LBB87_32:
	ds_load_b64 v[49:50], v52
.LBB87_33:
	s_and_saveexec_b32 s4, s0
	s_cbranch_execz .LBB87_37
; %bb.34:
	v_subrev_nc_u32_e32 v64, 20, v0
	s_movk_i32 s5, 0x160
	s_mov_b32 s0, 0
.LBB87_35:                              ; =>This Inner Loop Header: Depth=1
	scratch_load_b64 v[65:66], v63, off
	v_dual_mov_b32 v67, s5 :: v_dual_add_nc_u32 v64, -1, v64
	v_add_nc_u32_e32 v63, 8, v63
	s_add_i32 s5, s5, 8
	ds_load_b64 v[67:68], v67
	v_cmp_eq_u32_e32 vcc_lo, 0, v64
	s_or_b32 s0, vcc_lo, s0
	s_waitcnt vmcnt(0) lgkmcnt(0)
	v_fma_f64 v[49:50], v[65:66], v[67:68], v[49:50]
	s_and_not1_b32 exec_lo, exec_lo, s0
	s_cbranch_execnz .LBB87_35
; %bb.36:
	s_or_b32 exec_lo, exec_lo, s0
.LBB87_37:
	s_delay_alu instid0(SALU_CYCLE_1)
	s_or_b32 exec_lo, exec_lo, s4
	v_mov_b32_e32 v63, 0
	ds_load_b64 v[63:64], v63 offset:152
	s_waitcnt lgkmcnt(0)
	v_mul_f64 v[49:50], v[49:50], v[63:64]
	scratch_store_b64 off, v[49:50], off offset:152
.LBB87_38:
	s_or_b32 exec_lo, exec_lo, s3
	scratch_load_b64 v[49:50], off, off offset:144
	v_cmp_lt_u32_e64 s0, 18, v0
	s_waitcnt vmcnt(0)
	ds_store_b64 v52, v[49:50]
	s_waitcnt lgkmcnt(0)
	s_waitcnt_vscnt null, 0x0
	s_barrier
	buffer_gl0_inv
	s_and_saveexec_b32 s3, s0
	s_cbranch_execz .LBB87_48
; %bb.39:
	s_and_not1_b32 vcc_lo, exec_lo, s2
	s_cbranch_vccnz .LBB87_41
; %bb.40:
	scratch_load_b64 v[49:50], v53, off
	ds_load_b64 v[63:64], v52
	s_waitcnt vmcnt(0) lgkmcnt(0)
	v_mul_f64 v[49:50], v[49:50], v[63:64]
	s_cbranch_execz .LBB87_42
	s_branch .LBB87_43
.LBB87_41:
                                        ; implicit-def: $vgpr49_vgpr50
.LBB87_42:
	ds_load_b64 v[49:50], v52
.LBB87_43:
	s_and_saveexec_b32 s4, s1
	s_cbranch_execz .LBB87_47
; %bb.44:
	v_mov_b32_e32 v63, 0
	v_subrev_nc_u32_e32 v64, 19, v0
	s_movk_i32 s5, 0x158
	s_mov_b32 s1, 0
	s_delay_alu instid0(VALU_DEP_2)
	v_add_nc_u32_e32 v63, 0x98, v63
.LBB87_45:                              ; =>This Inner Loop Header: Depth=1
	scratch_load_b64 v[65:66], v63, off
	v_dual_mov_b32 v67, s5 :: v_dual_add_nc_u32 v64, -1, v64
	v_add_nc_u32_e32 v63, 8, v63
	s_add_i32 s5, s5, 8
	ds_load_b64 v[67:68], v67
	v_cmp_eq_u32_e32 vcc_lo, 0, v64
	s_or_b32 s1, vcc_lo, s1
	s_waitcnt vmcnt(0) lgkmcnt(0)
	v_fma_f64 v[49:50], v[65:66], v[67:68], v[49:50]
	s_and_not1_b32 exec_lo, exec_lo, s1
	s_cbranch_execnz .LBB87_45
; %bb.46:
	s_or_b32 exec_lo, exec_lo, s1
.LBB87_47:
	s_delay_alu instid0(SALU_CYCLE_1)
	s_or_b32 exec_lo, exec_lo, s4
	v_mov_b32_e32 v63, 0
	ds_load_b64 v[63:64], v63 offset:144
	s_waitcnt lgkmcnt(0)
	v_mul_f64 v[49:50], v[49:50], v[63:64]
	scratch_store_b64 off, v[49:50], off offset:144
.LBB87_48:
	s_or_b32 exec_lo, exec_lo, s3
	scratch_load_b64 v[49:50], off, off offset:136
	v_cmp_lt_u32_e64 s1, 17, v0
	s_waitcnt vmcnt(0)
	ds_store_b64 v52, v[49:50]
	s_waitcnt lgkmcnt(0)
	s_waitcnt_vscnt null, 0x0
	s_barrier
	buffer_gl0_inv
	s_and_saveexec_b32 s3, s1
	s_cbranch_execz .LBB87_58
; %bb.49:
	s_and_not1_b32 vcc_lo, exec_lo, s2
	s_cbranch_vccnz .LBB87_51
; %bb.50:
	scratch_load_b64 v[49:50], v53, off
	ds_load_b64 v[63:64], v52
	s_waitcnt vmcnt(0) lgkmcnt(0)
	v_mul_f64 v[49:50], v[49:50], v[63:64]
	s_cbranch_execz .LBB87_52
	s_branch .LBB87_53
.LBB87_51:
                                        ; implicit-def: $vgpr49_vgpr50
.LBB87_52:
	ds_load_b64 v[49:50], v52
.LBB87_53:
	s_and_saveexec_b32 s4, s0
	s_cbranch_execz .LBB87_57
; %bb.54:
	v_subrev_nc_u32_e32 v63, 18, v0
	s_movk_i32 s5, 0x150
	s_mov_b32 s0, 0
.LBB87_55:                              ; =>This Inner Loop Header: Depth=1
	scratch_load_b64 v[64:65], v62, off
	v_dual_mov_b32 v66, s5 :: v_dual_add_nc_u32 v63, -1, v63
	v_add_nc_u32_e32 v62, 8, v62
	s_add_i32 s5, s5, 8
	ds_load_b64 v[66:67], v66
	v_cmp_eq_u32_e32 vcc_lo, 0, v63
	s_or_b32 s0, vcc_lo, s0
	s_waitcnt vmcnt(0) lgkmcnt(0)
	v_fma_f64 v[49:50], v[64:65], v[66:67], v[49:50]
	s_and_not1_b32 exec_lo, exec_lo, s0
	s_cbranch_execnz .LBB87_55
; %bb.56:
	s_or_b32 exec_lo, exec_lo, s0
.LBB87_57:
	s_delay_alu instid0(SALU_CYCLE_1)
	s_or_b32 exec_lo, exec_lo, s4
	v_mov_b32_e32 v62, 0
	ds_load_b64 v[62:63], v62 offset:136
	s_waitcnt lgkmcnt(0)
	v_mul_f64 v[49:50], v[49:50], v[62:63]
	scratch_store_b64 off, v[49:50], off offset:136
.LBB87_58:
	s_or_b32 exec_lo, exec_lo, s3
	scratch_load_b64 v[49:50], off, off offset:128
	v_cmp_lt_u32_e64 s0, 16, v0
	s_waitcnt vmcnt(0)
	ds_store_b64 v52, v[49:50]
	s_waitcnt lgkmcnt(0)
	s_waitcnt_vscnt null, 0x0
	s_barrier
	buffer_gl0_inv
	s_and_saveexec_b32 s3, s0
	s_cbranch_execz .LBB87_68
; %bb.59:
	s_and_not1_b32 vcc_lo, exec_lo, s2
	s_cbranch_vccnz .LBB87_61
; %bb.60:
	scratch_load_b64 v[49:50], v53, off
	ds_load_b64 v[62:63], v52
	s_waitcnt vmcnt(0) lgkmcnt(0)
	v_mul_f64 v[49:50], v[49:50], v[62:63]
	s_cbranch_execz .LBB87_62
	s_branch .LBB87_63
.LBB87_61:
                                        ; implicit-def: $vgpr49_vgpr50
.LBB87_62:
	ds_load_b64 v[49:50], v52
.LBB87_63:
	s_and_saveexec_b32 s4, s1
	s_cbranch_execz .LBB87_67
; %bb.64:
	v_mov_b32_e32 v62, 0
	v_subrev_nc_u32_e32 v63, 17, v0
	s_movk_i32 s5, 0x148
	s_mov_b32 s1, 0
	s_delay_alu instid0(VALU_DEP_2)
	v_add_nc_u32_e32 v62, 0x88, v62
.LBB87_65:                              ; =>This Inner Loop Header: Depth=1
	scratch_load_b64 v[64:65], v62, off
	v_dual_mov_b32 v66, s5 :: v_dual_add_nc_u32 v63, -1, v63
	v_add_nc_u32_e32 v62, 8, v62
	s_add_i32 s5, s5, 8
	ds_load_b64 v[66:67], v66
	v_cmp_eq_u32_e32 vcc_lo, 0, v63
	s_or_b32 s1, vcc_lo, s1
	s_waitcnt vmcnt(0) lgkmcnt(0)
	v_fma_f64 v[49:50], v[64:65], v[66:67], v[49:50]
	s_and_not1_b32 exec_lo, exec_lo, s1
	s_cbranch_execnz .LBB87_65
; %bb.66:
	s_or_b32 exec_lo, exec_lo, s1
.LBB87_67:
	s_delay_alu instid0(SALU_CYCLE_1)
	s_or_b32 exec_lo, exec_lo, s4
	v_mov_b32_e32 v62, 0
	ds_load_b64 v[62:63], v62 offset:128
	s_waitcnt lgkmcnt(0)
	v_mul_f64 v[49:50], v[49:50], v[62:63]
	scratch_store_b64 off, v[49:50], off offset:128
.LBB87_68:
	s_or_b32 exec_lo, exec_lo, s3
	scratch_load_b64 v[49:50], off, off offset:120
	v_cmp_lt_u32_e64 s1, 15, v0
	s_waitcnt vmcnt(0)
	ds_store_b64 v52, v[49:50]
	s_waitcnt lgkmcnt(0)
	s_waitcnt_vscnt null, 0x0
	s_barrier
	buffer_gl0_inv
	s_and_saveexec_b32 s3, s1
	s_cbranch_execz .LBB87_78
; %bb.69:
	s_and_not1_b32 vcc_lo, exec_lo, s2
	s_cbranch_vccnz .LBB87_71
; %bb.70:
	scratch_load_b64 v[49:50], v53, off
	ds_load_b64 v[62:63], v52
	s_waitcnt vmcnt(0) lgkmcnt(0)
	v_mul_f64 v[49:50], v[49:50], v[62:63]
	s_cbranch_execz .LBB87_72
	s_branch .LBB87_73
.LBB87_71:
                                        ; implicit-def: $vgpr49_vgpr50
.LBB87_72:
	ds_load_b64 v[49:50], v52
.LBB87_73:
	s_and_saveexec_b32 s4, s0
	s_cbranch_execz .LBB87_77
; %bb.74:
	v_add_nc_u32_e32 v62, -16, v0
	s_movk_i32 s5, 0x140
	s_mov_b32 s0, 0
.LBB87_75:                              ; =>This Inner Loop Header: Depth=1
	scratch_load_b64 v[63:64], v61, off
	v_dual_mov_b32 v65, s5 :: v_dual_add_nc_u32 v62, -1, v62
	v_add_nc_u32_e32 v61, 8, v61
	s_add_i32 s5, s5, 8
	ds_load_b64 v[65:66], v65
	v_cmp_eq_u32_e32 vcc_lo, 0, v62
	s_or_b32 s0, vcc_lo, s0
	s_waitcnt vmcnt(0) lgkmcnt(0)
	v_fma_f64 v[49:50], v[63:64], v[65:66], v[49:50]
	s_and_not1_b32 exec_lo, exec_lo, s0
	s_cbranch_execnz .LBB87_75
; %bb.76:
	s_or_b32 exec_lo, exec_lo, s0
.LBB87_77:
	s_delay_alu instid0(SALU_CYCLE_1)
	s_or_b32 exec_lo, exec_lo, s4
	v_mov_b32_e32 v61, 0
	ds_load_b64 v[61:62], v61 offset:120
	s_waitcnt lgkmcnt(0)
	v_mul_f64 v[49:50], v[49:50], v[61:62]
	scratch_store_b64 off, v[49:50], off offset:120
.LBB87_78:
	s_or_b32 exec_lo, exec_lo, s3
	scratch_load_b64 v[49:50], off, off offset:112
	v_cmp_lt_u32_e64 s0, 14, v0
	s_waitcnt vmcnt(0)
	ds_store_b64 v52, v[49:50]
	s_waitcnt lgkmcnt(0)
	s_waitcnt_vscnt null, 0x0
	s_barrier
	buffer_gl0_inv
	s_and_saveexec_b32 s3, s0
	s_cbranch_execz .LBB87_88
; %bb.79:
	s_and_not1_b32 vcc_lo, exec_lo, s2
	s_cbranch_vccnz .LBB87_81
; %bb.80:
	scratch_load_b64 v[49:50], v53, off
	ds_load_b64 v[61:62], v52
	s_waitcnt vmcnt(0) lgkmcnt(0)
	v_mul_f64 v[49:50], v[49:50], v[61:62]
	s_cbranch_execz .LBB87_82
	s_branch .LBB87_83
.LBB87_81:
                                        ; implicit-def: $vgpr49_vgpr50
.LBB87_82:
	ds_load_b64 v[49:50], v52
.LBB87_83:
	s_and_saveexec_b32 s4, s1
	s_cbranch_execz .LBB87_87
; %bb.84:
	v_dual_mov_b32 v61, 0 :: v_dual_add_nc_u32 v62, -15, v0
	s_movk_i32 s5, 0x138
	s_mov_b32 s1, 0
	s_delay_alu instid0(VALU_DEP_1)
	v_add_nc_u32_e32 v61, 0x78, v61
.LBB87_85:                              ; =>This Inner Loop Header: Depth=1
	scratch_load_b64 v[63:64], v61, off
	v_dual_mov_b32 v65, s5 :: v_dual_add_nc_u32 v62, -1, v62
	v_add_nc_u32_e32 v61, 8, v61
	s_add_i32 s5, s5, 8
	ds_load_b64 v[65:66], v65
	v_cmp_eq_u32_e32 vcc_lo, 0, v62
	s_or_b32 s1, vcc_lo, s1
	s_waitcnt vmcnt(0) lgkmcnt(0)
	v_fma_f64 v[49:50], v[63:64], v[65:66], v[49:50]
	s_and_not1_b32 exec_lo, exec_lo, s1
	s_cbranch_execnz .LBB87_85
; %bb.86:
	s_or_b32 exec_lo, exec_lo, s1
.LBB87_87:
	s_delay_alu instid0(SALU_CYCLE_1)
	s_or_b32 exec_lo, exec_lo, s4
	v_mov_b32_e32 v61, 0
	ds_load_b64 v[61:62], v61 offset:112
	s_waitcnt lgkmcnt(0)
	v_mul_f64 v[49:50], v[49:50], v[61:62]
	scratch_store_b64 off, v[49:50], off offset:112
.LBB87_88:
	s_or_b32 exec_lo, exec_lo, s3
	scratch_load_b64 v[49:50], off, off offset:104
	v_cmp_lt_u32_e64 s1, 13, v0
	s_waitcnt vmcnt(0)
	ds_store_b64 v52, v[49:50]
	s_waitcnt lgkmcnt(0)
	s_waitcnt_vscnt null, 0x0
	s_barrier
	buffer_gl0_inv
	s_and_saveexec_b32 s3, s1
	s_cbranch_execz .LBB87_98
; %bb.89:
	s_and_not1_b32 vcc_lo, exec_lo, s2
	s_cbranch_vccnz .LBB87_91
; %bb.90:
	scratch_load_b64 v[49:50], v53, off
	ds_load_b64 v[61:62], v52
	s_waitcnt vmcnt(0) lgkmcnt(0)
	v_mul_f64 v[49:50], v[49:50], v[61:62]
	s_cbranch_execz .LBB87_92
	s_branch .LBB87_93
.LBB87_91:
                                        ; implicit-def: $vgpr49_vgpr50
.LBB87_92:
	ds_load_b64 v[49:50], v52
.LBB87_93:
	s_and_saveexec_b32 s4, s0
	s_cbranch_execz .LBB87_97
; %bb.94:
	v_add_nc_u32_e32 v61, -14, v0
	s_movk_i32 s5, 0x130
	s_mov_b32 s0, 0
.LBB87_95:                              ; =>This Inner Loop Header: Depth=1
	scratch_load_b64 v[62:63], v60, off
	v_dual_mov_b32 v64, s5 :: v_dual_add_nc_u32 v61, -1, v61
	v_add_nc_u32_e32 v60, 8, v60
	s_add_i32 s5, s5, 8
	ds_load_b64 v[64:65], v64
	v_cmp_eq_u32_e32 vcc_lo, 0, v61
	s_or_b32 s0, vcc_lo, s0
	s_waitcnt vmcnt(0) lgkmcnt(0)
	v_fma_f64 v[49:50], v[62:63], v[64:65], v[49:50]
	s_and_not1_b32 exec_lo, exec_lo, s0
	s_cbranch_execnz .LBB87_95
; %bb.96:
	s_or_b32 exec_lo, exec_lo, s0
.LBB87_97:
	s_delay_alu instid0(SALU_CYCLE_1)
	s_or_b32 exec_lo, exec_lo, s4
	v_mov_b32_e32 v60, 0
	ds_load_b64 v[60:61], v60 offset:104
	s_waitcnt lgkmcnt(0)
	v_mul_f64 v[49:50], v[49:50], v[60:61]
	scratch_store_b64 off, v[49:50], off offset:104
.LBB87_98:
	s_or_b32 exec_lo, exec_lo, s3
	scratch_load_b64 v[49:50], off, off offset:96
	v_cmp_lt_u32_e64 s0, 12, v0
	s_waitcnt vmcnt(0)
	ds_store_b64 v52, v[49:50]
	s_waitcnt lgkmcnt(0)
	s_waitcnt_vscnt null, 0x0
	s_barrier
	buffer_gl0_inv
	s_and_saveexec_b32 s3, s0
	s_cbranch_execz .LBB87_108
; %bb.99:
	s_and_not1_b32 vcc_lo, exec_lo, s2
	s_cbranch_vccnz .LBB87_101
; %bb.100:
	scratch_load_b64 v[49:50], v53, off
	ds_load_b64 v[60:61], v52
	s_waitcnt vmcnt(0) lgkmcnt(0)
	v_mul_f64 v[49:50], v[49:50], v[60:61]
	s_cbranch_execz .LBB87_102
	s_branch .LBB87_103
.LBB87_101:
                                        ; implicit-def: $vgpr49_vgpr50
.LBB87_102:
	ds_load_b64 v[49:50], v52
.LBB87_103:
	s_and_saveexec_b32 s4, s1
	s_cbranch_execz .LBB87_107
; %bb.104:
	v_dual_mov_b32 v60, 0 :: v_dual_add_nc_u32 v61, -13, v0
	s_movk_i32 s5, 0x128
	s_mov_b32 s1, 0
	s_delay_alu instid0(VALU_DEP_1)
	v_add_nc_u32_e32 v60, 0x68, v60
.LBB87_105:                             ; =>This Inner Loop Header: Depth=1
	scratch_load_b64 v[62:63], v60, off
	v_dual_mov_b32 v64, s5 :: v_dual_add_nc_u32 v61, -1, v61
	v_add_nc_u32_e32 v60, 8, v60
	s_add_i32 s5, s5, 8
	ds_load_b64 v[64:65], v64
	v_cmp_eq_u32_e32 vcc_lo, 0, v61
	s_or_b32 s1, vcc_lo, s1
	s_waitcnt vmcnt(0) lgkmcnt(0)
	v_fma_f64 v[49:50], v[62:63], v[64:65], v[49:50]
	s_and_not1_b32 exec_lo, exec_lo, s1
	s_cbranch_execnz .LBB87_105
; %bb.106:
	s_or_b32 exec_lo, exec_lo, s1
.LBB87_107:
	s_delay_alu instid0(SALU_CYCLE_1)
	s_or_b32 exec_lo, exec_lo, s4
	v_mov_b32_e32 v60, 0
	ds_load_b64 v[60:61], v60 offset:96
	s_waitcnt lgkmcnt(0)
	v_mul_f64 v[49:50], v[49:50], v[60:61]
	scratch_store_b64 off, v[49:50], off offset:96
.LBB87_108:
	s_or_b32 exec_lo, exec_lo, s3
	scratch_load_b64 v[49:50], off, off offset:88
	v_cmp_lt_u32_e64 s1, 11, v0
	s_waitcnt vmcnt(0)
	ds_store_b64 v52, v[49:50]
	s_waitcnt lgkmcnt(0)
	s_waitcnt_vscnt null, 0x0
	s_barrier
	buffer_gl0_inv
	s_and_saveexec_b32 s3, s1
	s_cbranch_execz .LBB87_118
; %bb.109:
	s_and_not1_b32 vcc_lo, exec_lo, s2
	s_cbranch_vccnz .LBB87_111
; %bb.110:
	scratch_load_b64 v[49:50], v53, off
	ds_load_b64 v[60:61], v52
	s_waitcnt vmcnt(0) lgkmcnt(0)
	v_mul_f64 v[49:50], v[49:50], v[60:61]
	s_cbranch_execz .LBB87_112
	s_branch .LBB87_113
.LBB87_111:
                                        ; implicit-def: $vgpr49_vgpr50
.LBB87_112:
	ds_load_b64 v[49:50], v52
.LBB87_113:
	s_and_saveexec_b32 s4, s0
	s_cbranch_execz .LBB87_117
; %bb.114:
	v_add_nc_u32_e32 v60, -12, v0
	s_movk_i32 s5, 0x120
	s_mov_b32 s0, 0
.LBB87_115:                             ; =>This Inner Loop Header: Depth=1
	scratch_load_b64 v[61:62], v59, off
	v_dual_mov_b32 v63, s5 :: v_dual_add_nc_u32 v60, -1, v60
	v_add_nc_u32_e32 v59, 8, v59
	s_add_i32 s5, s5, 8
	ds_load_b64 v[63:64], v63
	v_cmp_eq_u32_e32 vcc_lo, 0, v60
	s_or_b32 s0, vcc_lo, s0
	s_waitcnt vmcnt(0) lgkmcnt(0)
	v_fma_f64 v[49:50], v[61:62], v[63:64], v[49:50]
	s_and_not1_b32 exec_lo, exec_lo, s0
	s_cbranch_execnz .LBB87_115
; %bb.116:
	s_or_b32 exec_lo, exec_lo, s0
.LBB87_117:
	s_delay_alu instid0(SALU_CYCLE_1)
	s_or_b32 exec_lo, exec_lo, s4
	v_mov_b32_e32 v59, 0
	ds_load_b64 v[59:60], v59 offset:88
	s_waitcnt lgkmcnt(0)
	v_mul_f64 v[49:50], v[49:50], v[59:60]
	scratch_store_b64 off, v[49:50], off offset:88
.LBB87_118:
	s_or_b32 exec_lo, exec_lo, s3
	scratch_load_b64 v[49:50], off, off offset:80
	v_cmp_lt_u32_e64 s0, 10, v0
	s_waitcnt vmcnt(0)
	ds_store_b64 v52, v[49:50]
	s_waitcnt lgkmcnt(0)
	s_waitcnt_vscnt null, 0x0
	s_barrier
	buffer_gl0_inv
	s_and_saveexec_b32 s3, s0
	s_cbranch_execz .LBB87_128
; %bb.119:
	s_and_not1_b32 vcc_lo, exec_lo, s2
	s_cbranch_vccnz .LBB87_121
; %bb.120:
	scratch_load_b64 v[49:50], v53, off
	ds_load_b64 v[59:60], v52
	s_waitcnt vmcnt(0) lgkmcnt(0)
	v_mul_f64 v[49:50], v[49:50], v[59:60]
	s_cbranch_execz .LBB87_122
	s_branch .LBB87_123
.LBB87_121:
                                        ; implicit-def: $vgpr49_vgpr50
.LBB87_122:
	ds_load_b64 v[49:50], v52
.LBB87_123:
	s_and_saveexec_b32 s4, s1
	s_cbranch_execz .LBB87_127
; %bb.124:
	v_dual_mov_b32 v59, 0 :: v_dual_add_nc_u32 v60, -11, v0
	s_movk_i32 s5, 0x118
	s_mov_b32 s1, 0
	s_delay_alu instid0(VALU_DEP_1)
	v_add_nc_u32_e32 v59, 0x58, v59
.LBB87_125:                             ; =>This Inner Loop Header: Depth=1
	scratch_load_b64 v[61:62], v59, off
	v_dual_mov_b32 v63, s5 :: v_dual_add_nc_u32 v60, -1, v60
	v_add_nc_u32_e32 v59, 8, v59
	s_add_i32 s5, s5, 8
	ds_load_b64 v[63:64], v63
	v_cmp_eq_u32_e32 vcc_lo, 0, v60
	s_or_b32 s1, vcc_lo, s1
	s_waitcnt vmcnt(0) lgkmcnt(0)
	v_fma_f64 v[49:50], v[61:62], v[63:64], v[49:50]
	s_and_not1_b32 exec_lo, exec_lo, s1
	s_cbranch_execnz .LBB87_125
; %bb.126:
	s_or_b32 exec_lo, exec_lo, s1
.LBB87_127:
	s_delay_alu instid0(SALU_CYCLE_1)
	s_or_b32 exec_lo, exec_lo, s4
	v_mov_b32_e32 v59, 0
	ds_load_b64 v[59:60], v59 offset:80
	s_waitcnt lgkmcnt(0)
	v_mul_f64 v[49:50], v[49:50], v[59:60]
	scratch_store_b64 off, v[49:50], off offset:80
.LBB87_128:
	s_or_b32 exec_lo, exec_lo, s3
	scratch_load_b64 v[49:50], off, off offset:72
	v_cmp_lt_u32_e64 s1, 9, v0
	s_waitcnt vmcnt(0)
	ds_store_b64 v52, v[49:50]
	s_waitcnt lgkmcnt(0)
	s_waitcnt_vscnt null, 0x0
	s_barrier
	buffer_gl0_inv
	s_and_saveexec_b32 s3, s1
	s_cbranch_execz .LBB87_138
; %bb.129:
	s_and_not1_b32 vcc_lo, exec_lo, s2
	s_cbranch_vccnz .LBB87_131
; %bb.130:
	scratch_load_b64 v[49:50], v53, off
	ds_load_b64 v[59:60], v52
	s_waitcnt vmcnt(0) lgkmcnt(0)
	v_mul_f64 v[49:50], v[49:50], v[59:60]
	s_cbranch_execz .LBB87_132
	s_branch .LBB87_133
.LBB87_131:
                                        ; implicit-def: $vgpr49_vgpr50
.LBB87_132:
	ds_load_b64 v[49:50], v52
.LBB87_133:
	s_and_saveexec_b32 s4, s0
	s_cbranch_execz .LBB87_137
; %bb.134:
	v_add_nc_u32_e32 v59, -10, v0
	s_movk_i32 s5, 0x110
	s_mov_b32 s0, 0
.LBB87_135:                             ; =>This Inner Loop Header: Depth=1
	scratch_load_b64 v[60:61], v58, off
	v_dual_mov_b32 v62, s5 :: v_dual_add_nc_u32 v59, -1, v59
	v_add_nc_u32_e32 v58, 8, v58
	s_add_i32 s5, s5, 8
	ds_load_b64 v[62:63], v62
	v_cmp_eq_u32_e32 vcc_lo, 0, v59
	s_or_b32 s0, vcc_lo, s0
	s_waitcnt vmcnt(0) lgkmcnt(0)
	v_fma_f64 v[49:50], v[60:61], v[62:63], v[49:50]
	s_and_not1_b32 exec_lo, exec_lo, s0
	s_cbranch_execnz .LBB87_135
; %bb.136:
	s_or_b32 exec_lo, exec_lo, s0
.LBB87_137:
	s_delay_alu instid0(SALU_CYCLE_1)
	s_or_b32 exec_lo, exec_lo, s4
	v_mov_b32_e32 v58, 0
	ds_load_b64 v[58:59], v58 offset:72
	s_waitcnt lgkmcnt(0)
	v_mul_f64 v[49:50], v[49:50], v[58:59]
	scratch_store_b64 off, v[49:50], off offset:72
.LBB87_138:
	s_or_b32 exec_lo, exec_lo, s3
	scratch_load_b64 v[49:50], off, off offset:64
	v_cmp_lt_u32_e64 s0, 8, v0
	s_waitcnt vmcnt(0)
	ds_store_b64 v52, v[49:50]
	s_waitcnt lgkmcnt(0)
	s_waitcnt_vscnt null, 0x0
	s_barrier
	buffer_gl0_inv
	s_and_saveexec_b32 s3, s0
	s_cbranch_execz .LBB87_148
; %bb.139:
	s_and_not1_b32 vcc_lo, exec_lo, s2
	s_cbranch_vccnz .LBB87_141
; %bb.140:
	scratch_load_b64 v[49:50], v53, off
	ds_load_b64 v[58:59], v52
	s_waitcnt vmcnt(0) lgkmcnt(0)
	v_mul_f64 v[49:50], v[49:50], v[58:59]
	s_cbranch_execz .LBB87_142
	s_branch .LBB87_143
.LBB87_141:
                                        ; implicit-def: $vgpr49_vgpr50
.LBB87_142:
	ds_load_b64 v[49:50], v52
.LBB87_143:
	s_and_saveexec_b32 s4, s1
	s_cbranch_execz .LBB87_147
; %bb.144:
	v_dual_mov_b32 v58, 0 :: v_dual_add_nc_u32 v59, -9, v0
	s_movk_i32 s5, 0x108
	s_mov_b32 s1, 0
	s_delay_alu instid0(VALU_DEP_1)
	v_add_nc_u32_e32 v58, 0x48, v58
.LBB87_145:                             ; =>This Inner Loop Header: Depth=1
	scratch_load_b64 v[60:61], v58, off
	v_dual_mov_b32 v62, s5 :: v_dual_add_nc_u32 v59, -1, v59
	v_add_nc_u32_e32 v58, 8, v58
	s_add_i32 s5, s5, 8
	ds_load_b64 v[62:63], v62
	v_cmp_eq_u32_e32 vcc_lo, 0, v59
	s_or_b32 s1, vcc_lo, s1
	s_waitcnt vmcnt(0) lgkmcnt(0)
	v_fma_f64 v[49:50], v[60:61], v[62:63], v[49:50]
	s_and_not1_b32 exec_lo, exec_lo, s1
	s_cbranch_execnz .LBB87_145
; %bb.146:
	s_or_b32 exec_lo, exec_lo, s1
.LBB87_147:
	s_delay_alu instid0(SALU_CYCLE_1)
	s_or_b32 exec_lo, exec_lo, s4
	v_mov_b32_e32 v58, 0
	ds_load_b64 v[58:59], v58 offset:64
	s_waitcnt lgkmcnt(0)
	v_mul_f64 v[49:50], v[49:50], v[58:59]
	scratch_store_b64 off, v[49:50], off offset:64
.LBB87_148:
	s_or_b32 exec_lo, exec_lo, s3
	scratch_load_b64 v[49:50], off, off offset:56
	v_cmp_lt_u32_e64 s1, 7, v0
	s_waitcnt vmcnt(0)
	ds_store_b64 v52, v[49:50]
	s_waitcnt lgkmcnt(0)
	s_waitcnt_vscnt null, 0x0
	s_barrier
	buffer_gl0_inv
	s_and_saveexec_b32 s3, s1
	s_cbranch_execz .LBB87_158
; %bb.149:
	s_and_not1_b32 vcc_lo, exec_lo, s2
	s_cbranch_vccnz .LBB87_151
; %bb.150:
	scratch_load_b64 v[49:50], v53, off
	ds_load_b64 v[58:59], v52
	s_waitcnt vmcnt(0) lgkmcnt(0)
	v_mul_f64 v[49:50], v[49:50], v[58:59]
	s_cbranch_execz .LBB87_152
	s_branch .LBB87_153
.LBB87_151:
                                        ; implicit-def: $vgpr49_vgpr50
.LBB87_152:
	ds_load_b64 v[49:50], v52
.LBB87_153:
	s_and_saveexec_b32 s4, s0
	s_cbranch_execz .LBB87_157
; %bb.154:
	v_add_nc_u32_e32 v58, -8, v0
	s_movk_i32 s5, 0x100
	s_mov_b32 s0, 0
.LBB87_155:                             ; =>This Inner Loop Header: Depth=1
	scratch_load_b64 v[59:60], v57, off
	v_dual_mov_b32 v61, s5 :: v_dual_add_nc_u32 v58, -1, v58
	v_add_nc_u32_e32 v57, 8, v57
	s_add_i32 s5, s5, 8
	ds_load_b64 v[61:62], v61
	v_cmp_eq_u32_e32 vcc_lo, 0, v58
	s_or_b32 s0, vcc_lo, s0
	s_waitcnt vmcnt(0) lgkmcnt(0)
	v_fma_f64 v[49:50], v[59:60], v[61:62], v[49:50]
	s_and_not1_b32 exec_lo, exec_lo, s0
	s_cbranch_execnz .LBB87_155
; %bb.156:
	s_or_b32 exec_lo, exec_lo, s0
.LBB87_157:
	s_delay_alu instid0(SALU_CYCLE_1)
	s_or_b32 exec_lo, exec_lo, s4
	v_mov_b32_e32 v57, 0
	ds_load_b64 v[57:58], v57 offset:56
	s_waitcnt lgkmcnt(0)
	v_mul_f64 v[49:50], v[49:50], v[57:58]
	scratch_store_b64 off, v[49:50], off offset:56
.LBB87_158:
	s_or_b32 exec_lo, exec_lo, s3
	scratch_load_b64 v[49:50], off, off offset:48
	v_cmp_lt_u32_e64 s0, 6, v0
	s_waitcnt vmcnt(0)
	ds_store_b64 v52, v[49:50]
	s_waitcnt lgkmcnt(0)
	s_waitcnt_vscnt null, 0x0
	s_barrier
	buffer_gl0_inv
	s_and_saveexec_b32 s3, s0
	s_cbranch_execz .LBB87_168
; %bb.159:
	s_and_not1_b32 vcc_lo, exec_lo, s2
	s_cbranch_vccnz .LBB87_161
; %bb.160:
	scratch_load_b64 v[49:50], v53, off
	ds_load_b64 v[57:58], v52
	s_waitcnt vmcnt(0) lgkmcnt(0)
	v_mul_f64 v[49:50], v[49:50], v[57:58]
	s_cbranch_execz .LBB87_162
	s_branch .LBB87_163
.LBB87_161:
                                        ; implicit-def: $vgpr49_vgpr50
.LBB87_162:
	ds_load_b64 v[49:50], v52
.LBB87_163:
	s_and_saveexec_b32 s4, s1
	s_cbranch_execz .LBB87_167
; %bb.164:
	v_add_nc_u32_e64 v57, 0, 56
	v_add_nc_u32_e32 v58, -7, v0
	s_movk_i32 s5, 0xf8
	s_mov_b32 s1, 0
.LBB87_165:                             ; =>This Inner Loop Header: Depth=1
	scratch_load_b64 v[59:60], v57, off
	v_dual_mov_b32 v61, s5 :: v_dual_add_nc_u32 v58, -1, v58
	v_add_nc_u32_e32 v57, 8, v57
	s_add_i32 s5, s5, 8
	ds_load_b64 v[61:62], v61
	v_cmp_eq_u32_e32 vcc_lo, 0, v58
	s_or_b32 s1, vcc_lo, s1
	s_waitcnt vmcnt(0) lgkmcnt(0)
	v_fma_f64 v[49:50], v[59:60], v[61:62], v[49:50]
	s_and_not1_b32 exec_lo, exec_lo, s1
	s_cbranch_execnz .LBB87_165
; %bb.166:
	s_or_b32 exec_lo, exec_lo, s1
.LBB87_167:
	s_delay_alu instid0(SALU_CYCLE_1)
	s_or_b32 exec_lo, exec_lo, s4
	v_mov_b32_e32 v57, 0
	ds_load_b64 v[57:58], v57 offset:48
	s_waitcnt lgkmcnt(0)
	v_mul_f64 v[49:50], v[49:50], v[57:58]
	scratch_store_b64 off, v[49:50], off offset:48
.LBB87_168:
	s_or_b32 exec_lo, exec_lo, s3
	scratch_load_b64 v[49:50], off, off offset:40
	v_cmp_lt_u32_e64 s1, 5, v0
	s_waitcnt vmcnt(0)
	ds_store_b64 v52, v[49:50]
	s_waitcnt lgkmcnt(0)
	s_waitcnt_vscnt null, 0x0
	s_barrier
	buffer_gl0_inv
	s_and_saveexec_b32 s3, s1
	s_cbranch_execz .LBB87_178
; %bb.169:
	s_and_not1_b32 vcc_lo, exec_lo, s2
	s_cbranch_vccnz .LBB87_171
; %bb.170:
	scratch_load_b64 v[49:50], v53, off
	ds_load_b64 v[57:58], v52
	s_waitcnt vmcnt(0) lgkmcnt(0)
	v_mul_f64 v[49:50], v[49:50], v[57:58]
	s_cbranch_execz .LBB87_172
	s_branch .LBB87_173
.LBB87_171:
                                        ; implicit-def: $vgpr49_vgpr50
.LBB87_172:
	ds_load_b64 v[49:50], v52
.LBB87_173:
	s_and_saveexec_b32 s4, s0
	s_cbranch_execz .LBB87_177
; %bb.174:
	v_add_nc_u32_e32 v57, -6, v0
	s_movk_i32 s5, 0xf0
	s_mov_b32 s0, 0
.LBB87_175:                             ; =>This Inner Loop Header: Depth=1
	scratch_load_b64 v[58:59], v56, off
	v_dual_mov_b32 v60, s5 :: v_dual_add_nc_u32 v57, -1, v57
	v_add_nc_u32_e32 v56, 8, v56
	s_add_i32 s5, s5, 8
	ds_load_b64 v[60:61], v60
	v_cmp_eq_u32_e32 vcc_lo, 0, v57
	s_or_b32 s0, vcc_lo, s0
	s_waitcnt vmcnt(0) lgkmcnt(0)
	v_fma_f64 v[49:50], v[58:59], v[60:61], v[49:50]
	s_and_not1_b32 exec_lo, exec_lo, s0
	s_cbranch_execnz .LBB87_175
; %bb.176:
	s_or_b32 exec_lo, exec_lo, s0
.LBB87_177:
	s_delay_alu instid0(SALU_CYCLE_1)
	s_or_b32 exec_lo, exec_lo, s4
	v_mov_b32_e32 v56, 0
	ds_load_b64 v[56:57], v56 offset:40
	s_waitcnt lgkmcnt(0)
	v_mul_f64 v[49:50], v[49:50], v[56:57]
	scratch_store_b64 off, v[49:50], off offset:40
.LBB87_178:
	s_or_b32 exec_lo, exec_lo, s3
	scratch_load_b64 v[49:50], off, off offset:32
	v_cmp_lt_u32_e64 s0, 4, v0
	s_waitcnt vmcnt(0)
	ds_store_b64 v52, v[49:50]
	s_waitcnt lgkmcnt(0)
	s_waitcnt_vscnt null, 0x0
	s_barrier
	buffer_gl0_inv
	s_and_saveexec_b32 s3, s0
	s_cbranch_execz .LBB87_188
; %bb.179:
	s_and_not1_b32 vcc_lo, exec_lo, s2
	s_cbranch_vccnz .LBB87_181
; %bb.180:
	scratch_load_b64 v[49:50], v53, off
	ds_load_b64 v[56:57], v52
	s_waitcnt vmcnt(0) lgkmcnt(0)
	v_mul_f64 v[49:50], v[49:50], v[56:57]
	s_cbranch_execz .LBB87_182
	s_branch .LBB87_183
.LBB87_181:
                                        ; implicit-def: $vgpr49_vgpr50
.LBB87_182:
	ds_load_b64 v[49:50], v52
.LBB87_183:
	s_and_saveexec_b32 s4, s1
	s_cbranch_execz .LBB87_187
; %bb.184:
	v_add_nc_u32_e64 v56, 0, 40
	v_add_nc_u32_e32 v57, -5, v0
	s_movk_i32 s5, 0xe8
	s_mov_b32 s1, 0
.LBB87_185:                             ; =>This Inner Loop Header: Depth=1
	scratch_load_b64 v[58:59], v56, off
	v_dual_mov_b32 v60, s5 :: v_dual_add_nc_u32 v57, -1, v57
	v_add_nc_u32_e32 v56, 8, v56
	s_add_i32 s5, s5, 8
	ds_load_b64 v[60:61], v60
	v_cmp_eq_u32_e32 vcc_lo, 0, v57
	s_or_b32 s1, vcc_lo, s1
	s_waitcnt vmcnt(0) lgkmcnt(0)
	v_fma_f64 v[49:50], v[58:59], v[60:61], v[49:50]
	s_and_not1_b32 exec_lo, exec_lo, s1
	s_cbranch_execnz .LBB87_185
; %bb.186:
	s_or_b32 exec_lo, exec_lo, s1
.LBB87_187:
	s_delay_alu instid0(SALU_CYCLE_1)
	s_or_b32 exec_lo, exec_lo, s4
	v_mov_b32_e32 v56, 0
	ds_load_b64 v[56:57], v56 offset:32
	s_waitcnt lgkmcnt(0)
	v_mul_f64 v[49:50], v[49:50], v[56:57]
	scratch_store_b64 off, v[49:50], off offset:32
.LBB87_188:
	s_or_b32 exec_lo, exec_lo, s3
	scratch_load_b64 v[49:50], off, off offset:24
	v_cmp_lt_u32_e64 s1, 3, v0
	s_waitcnt vmcnt(0)
	ds_store_b64 v52, v[49:50]
	s_waitcnt lgkmcnt(0)
	s_waitcnt_vscnt null, 0x0
	s_barrier
	buffer_gl0_inv
	s_and_saveexec_b32 s3, s1
	s_cbranch_execz .LBB87_198
; %bb.189:
	s_and_not1_b32 vcc_lo, exec_lo, s2
	s_cbranch_vccnz .LBB87_191
; %bb.190:
	scratch_load_b64 v[49:50], v53, off
	ds_load_b64 v[56:57], v52
	s_waitcnt vmcnt(0) lgkmcnt(0)
	v_mul_f64 v[49:50], v[49:50], v[56:57]
	s_cbranch_execz .LBB87_192
	s_branch .LBB87_193
.LBB87_191:
                                        ; implicit-def: $vgpr49_vgpr50
.LBB87_192:
	ds_load_b64 v[49:50], v52
.LBB87_193:
	s_and_saveexec_b32 s4, s0
	s_cbranch_execz .LBB87_197
; %bb.194:
	v_add_nc_u32_e32 v56, -4, v0
	s_movk_i32 s5, 0xe0
	s_mov_b32 s0, 0
.LBB87_195:                             ; =>This Inner Loop Header: Depth=1
	scratch_load_b64 v[57:58], v55, off
	v_dual_mov_b32 v59, s5 :: v_dual_add_nc_u32 v56, -1, v56
	v_add_nc_u32_e32 v55, 8, v55
	s_add_i32 s5, s5, 8
	ds_load_b64 v[59:60], v59
	v_cmp_eq_u32_e32 vcc_lo, 0, v56
	s_or_b32 s0, vcc_lo, s0
	s_waitcnt vmcnt(0) lgkmcnt(0)
	v_fma_f64 v[49:50], v[57:58], v[59:60], v[49:50]
	s_and_not1_b32 exec_lo, exec_lo, s0
	s_cbranch_execnz .LBB87_195
; %bb.196:
	s_or_b32 exec_lo, exec_lo, s0
.LBB87_197:
	s_delay_alu instid0(SALU_CYCLE_1)
	s_or_b32 exec_lo, exec_lo, s4
	v_mov_b32_e32 v55, 0
	ds_load_b64 v[55:56], v55 offset:24
	s_waitcnt lgkmcnt(0)
	v_mul_f64 v[49:50], v[49:50], v[55:56]
	scratch_store_b64 off, v[49:50], off offset:24
.LBB87_198:
	s_or_b32 exec_lo, exec_lo, s3
	scratch_load_b64 v[49:50], off, off offset:16
	v_cmp_lt_u32_e64 s0, 2, v0
	s_waitcnt vmcnt(0)
	ds_store_b64 v52, v[49:50]
	s_waitcnt lgkmcnt(0)
	s_waitcnt_vscnt null, 0x0
	s_barrier
	buffer_gl0_inv
	s_and_saveexec_b32 s3, s0
	s_cbranch_execz .LBB87_208
; %bb.199:
	s_and_not1_b32 vcc_lo, exec_lo, s2
	s_cbranch_vccnz .LBB87_201
; %bb.200:
	scratch_load_b64 v[49:50], v53, off
	ds_load_b64 v[55:56], v52
	s_waitcnt vmcnt(0) lgkmcnt(0)
	v_mul_f64 v[49:50], v[49:50], v[55:56]
	s_cbranch_execz .LBB87_202
	s_branch .LBB87_203
.LBB87_201:
                                        ; implicit-def: $vgpr49_vgpr50
.LBB87_202:
	ds_load_b64 v[49:50], v52
.LBB87_203:
	s_and_saveexec_b32 s4, s1
	s_cbranch_execz .LBB87_207
; %bb.204:
	v_add_nc_u32_e64 v55, 0, 24
	v_add_nc_u32_e32 v56, -3, v0
	s_movk_i32 s5, 0xd8
	s_mov_b32 s1, 0
.LBB87_205:                             ; =>This Inner Loop Header: Depth=1
	scratch_load_b64 v[57:58], v55, off
	v_dual_mov_b32 v59, s5 :: v_dual_add_nc_u32 v56, -1, v56
	v_add_nc_u32_e32 v55, 8, v55
	s_add_i32 s5, s5, 8
	ds_load_b64 v[59:60], v59
	v_cmp_eq_u32_e32 vcc_lo, 0, v56
	s_or_b32 s1, vcc_lo, s1
	s_waitcnt vmcnt(0) lgkmcnt(0)
	v_fma_f64 v[49:50], v[57:58], v[59:60], v[49:50]
	s_and_not1_b32 exec_lo, exec_lo, s1
	s_cbranch_execnz .LBB87_205
; %bb.206:
	s_or_b32 exec_lo, exec_lo, s1
.LBB87_207:
	s_delay_alu instid0(SALU_CYCLE_1)
	s_or_b32 exec_lo, exec_lo, s4
	v_mov_b32_e32 v55, 0
	ds_load_b64 v[55:56], v55 offset:16
	s_waitcnt lgkmcnt(0)
	v_mul_f64 v[49:50], v[49:50], v[55:56]
	scratch_store_b64 off, v[49:50], off offset:16
.LBB87_208:
	s_or_b32 exec_lo, exec_lo, s3
	scratch_load_b64 v[49:50], off, off offset:8
	v_cmp_lt_u32_e64 s1, 1, v0
	s_waitcnt vmcnt(0)
	ds_store_b64 v52, v[49:50]
	s_waitcnt lgkmcnt(0)
	s_waitcnt_vscnt null, 0x0
	s_barrier
	buffer_gl0_inv
	s_and_saveexec_b32 s3, s1
	s_cbranch_execz .LBB87_218
; %bb.209:
	s_and_not1_b32 vcc_lo, exec_lo, s2
	s_cbranch_vccnz .LBB87_211
; %bb.210:
	scratch_load_b64 v[49:50], v53, off
	ds_load_b64 v[55:56], v52
	s_waitcnt vmcnt(0) lgkmcnt(0)
	v_mul_f64 v[49:50], v[49:50], v[55:56]
	s_cbranch_execz .LBB87_212
	s_branch .LBB87_213
.LBB87_211:
                                        ; implicit-def: $vgpr49_vgpr50
.LBB87_212:
	ds_load_b64 v[49:50], v52
.LBB87_213:
	s_and_saveexec_b32 s4, s0
	s_cbranch_execz .LBB87_217
; %bb.214:
	v_add_nc_u32_e32 v55, -2, v0
	s_movk_i32 s5, 0xd0
	s_mov_b32 s0, 0
.LBB87_215:                             ; =>This Inner Loop Header: Depth=1
	scratch_load_b64 v[56:57], v54, off
	v_dual_mov_b32 v58, s5 :: v_dual_add_nc_u32 v55, -1, v55
	v_add_nc_u32_e32 v54, 8, v54
	s_add_i32 s5, s5, 8
	ds_load_b64 v[58:59], v58
	v_cmp_eq_u32_e32 vcc_lo, 0, v55
	s_or_b32 s0, vcc_lo, s0
	s_waitcnt vmcnt(0) lgkmcnt(0)
	v_fma_f64 v[49:50], v[56:57], v[58:59], v[49:50]
	s_and_not1_b32 exec_lo, exec_lo, s0
	s_cbranch_execnz .LBB87_215
; %bb.216:
	s_or_b32 exec_lo, exec_lo, s0
.LBB87_217:
	s_delay_alu instid0(SALU_CYCLE_1)
	s_or_b32 exec_lo, exec_lo, s4
	v_mov_b32_e32 v54, 0
	ds_load_b64 v[54:55], v54 offset:8
	s_waitcnt lgkmcnt(0)
	v_mul_f64 v[49:50], v[49:50], v[54:55]
	scratch_store_b64 off, v[49:50], off offset:8
.LBB87_218:
	s_or_b32 exec_lo, exec_lo, s3
	scratch_load_b64 v[49:50], off, off
	s_mov_b32 s0, 0
	s_mov_b32 s3, exec_lo
	s_waitcnt vmcnt(0)
	ds_store_b64 v52, v[49:50]
	s_waitcnt lgkmcnt(0)
	s_waitcnt_vscnt null, 0x0
	s_barrier
	buffer_gl0_inv
	v_cmpx_ne_u32_e32 0, v0
	s_cbranch_execz .LBB87_228
; %bb.219:
	s_and_not1_b32 vcc_lo, exec_lo, s2
	s_cbranch_vccnz .LBB87_221
; %bb.220:
	scratch_load_b64 v[49:50], v53, off
	ds_load_b64 v[54:55], v52
	s_waitcnt vmcnt(0) lgkmcnt(0)
	v_mul_f64 v[49:50], v[49:50], v[54:55]
	s_cbranch_execz .LBB87_222
	s_branch .LBB87_223
.LBB87_221:
                                        ; implicit-def: $vgpr49_vgpr50
.LBB87_222:
	ds_load_b64 v[49:50], v52
.LBB87_223:
	s_and_saveexec_b32 s4, s1
	s_cbranch_execz .LBB87_227
; %bb.224:
	v_or_b32_e64 v54, 0, 8
	v_add_nc_u32_e32 v55, -1, v0
	s_movk_i32 s5, 0xc8
	s_mov_b32 s1, 0
.LBB87_225:                             ; =>This Inner Loop Header: Depth=1
	scratch_load_b64 v[56:57], v54, off
	v_dual_mov_b32 v58, s5 :: v_dual_add_nc_u32 v55, -1, v55
	v_add_nc_u32_e32 v54, 8, v54
	s_add_i32 s5, s5, 8
	ds_load_b64 v[58:59], v58
	v_cmp_eq_u32_e32 vcc_lo, 0, v55
	s_or_b32 s1, vcc_lo, s1
	s_waitcnt vmcnt(0) lgkmcnt(0)
	v_fma_f64 v[49:50], v[56:57], v[58:59], v[49:50]
	s_and_not1_b32 exec_lo, exec_lo, s1
	s_cbranch_execnz .LBB87_225
; %bb.226:
	s_or_b32 exec_lo, exec_lo, s1
.LBB87_227:
	s_delay_alu instid0(SALU_CYCLE_1)
	s_or_b32 exec_lo, exec_lo, s4
	v_mov_b32_e32 v54, 0
	ds_load_b64 v[54:55], v54
	s_waitcnt lgkmcnt(0)
	v_mul_f64 v[49:50], v[49:50], v[54:55]
	scratch_store_b64 off, v[49:50], off
.LBB87_228:
	s_or_b32 exec_lo, exec_lo, s3
.LBB87_229:
	s_delay_alu instid0(SALU_CYCLE_1)
	s_and_b32 vcc_lo, exec_lo, s0
	s_cbranch_vccz .LBB87_455
; %bb.230:
	scratch_load_b64 v[49:50], off, off offset:8
	v_cmp_eq_u32_e64 s0, 0, v0
	s_waitcnt vmcnt(0)
	ds_store_b64 v52, v[49:50]
	s_waitcnt lgkmcnt(0)
	s_waitcnt_vscnt null, 0x0
	s_barrier
	buffer_gl0_inv
	s_and_saveexec_b32 s1, s0
	s_cbranch_execz .LBB87_236
; %bb.231:
	s_and_b32 vcc_lo, exec_lo, s2
	s_cbranch_vccz .LBB87_233
; %bb.232:
	scratch_load_b64 v[49:50], v53, off
	ds_load_b64 v[54:55], v52
	s_waitcnt vmcnt(0) lgkmcnt(0)
	v_mul_f64 v[49:50], v[49:50], v[54:55]
	s_cbranch_execz .LBB87_234
	s_branch .LBB87_235
.LBB87_233:
                                        ; implicit-def: $vgpr49_vgpr50
.LBB87_234:
	ds_load_b64 v[49:50], v52
.LBB87_235:
	v_mov_b32_e32 v54, 0
	ds_load_b64 v[54:55], v54 offset:8
	s_waitcnt lgkmcnt(0)
	v_mul_f64 v[49:50], v[49:50], v[54:55]
	scratch_store_b64 off, v[49:50], off offset:8
.LBB87_236:
	s_or_b32 exec_lo, exec_lo, s1
	scratch_load_b64 v[49:50], off, off offset:16
	v_cndmask_b32_e64 v54, 0, 1, s2
	s_mov_b32 s1, exec_lo
	s_waitcnt vmcnt(0)
	ds_store_b64 v52, v[49:50]
	s_waitcnt lgkmcnt(0)
	s_waitcnt_vscnt null, 0x0
	s_barrier
	buffer_gl0_inv
	v_cmpx_gt_u32_e32 2, v0
	s_cbranch_execz .LBB87_244
; %bb.237:
	s_and_not1_b32 vcc_lo, exec_lo, s2
	s_cbranch_vccnz .LBB87_239
; %bb.238:
	scratch_load_b64 v[49:50], v53, off
	ds_load_b64 v[55:56], v52
	s_waitcnt vmcnt(0) lgkmcnt(0)
	v_mul_f64 v[49:50], v[49:50], v[55:56]
	s_cbranch_execz .LBB87_240
	s_branch .LBB87_241
.LBB87_239:
                                        ; implicit-def: $vgpr49_vgpr50
.LBB87_240:
	ds_load_b64 v[49:50], v52
.LBB87_241:
	s_and_saveexec_b32 s2, s0
	s_cbranch_execz .LBB87_243
; %bb.242:
	scratch_load_b64 v[55:56], v53, off offset:8
	ds_load_b64 v[57:58], v52 offset:8
	s_waitcnt vmcnt(0) lgkmcnt(0)
	v_fma_f64 v[49:50], v[55:56], v[57:58], v[49:50]
.LBB87_243:
	s_or_b32 exec_lo, exec_lo, s2
	v_mov_b32_e32 v55, 0
	ds_load_b64 v[55:56], v55 offset:16
	s_waitcnt lgkmcnt(0)
	v_mul_f64 v[49:50], v[49:50], v[55:56]
	scratch_store_b64 off, v[49:50], off offset:16
.LBB87_244:
	s_or_b32 exec_lo, exec_lo, s1
	scratch_load_b64 v[49:50], off, off offset:24
	s_mov_b32 s1, exec_lo
	s_waitcnt vmcnt(0)
	ds_store_b64 v52, v[49:50]
	s_waitcnt lgkmcnt(0)
	s_waitcnt_vscnt null, 0x0
	s_barrier
	buffer_gl0_inv
	v_cmpx_gt_u32_e32 3, v0
	s_cbranch_execz .LBB87_254
; %bb.245:
	v_cmp_ne_u32_e32 vcc_lo, 1, v54
	s_cbranch_vccnz .LBB87_247
; %bb.246:
	scratch_load_b64 v[49:50], v53, off
	ds_load_b64 v[55:56], v52
	s_waitcnt vmcnt(0) lgkmcnt(0)
	v_mul_f64 v[49:50], v[49:50], v[55:56]
	s_cbranch_execz .LBB87_248
	s_branch .LBB87_249
.LBB87_247:
                                        ; implicit-def: $vgpr49_vgpr50
.LBB87_248:
	ds_load_b64 v[49:50], v52
.LBB87_249:
	s_mov_b32 s2, exec_lo
	v_cmpx_ne_u32_e32 2, v0
	s_cbranch_execz .LBB87_253
; %bb.250:
	scratch_load_b64 v[55:56], v53, off offset:8
	ds_load_b64 v[57:58], v52 offset:8
	s_waitcnt vmcnt(0) lgkmcnt(0)
	v_fma_f64 v[49:50], v[55:56], v[57:58], v[49:50]
	s_and_saveexec_b32 s3, s0
	s_cbranch_execz .LBB87_252
; %bb.251:
	scratch_load_b64 v[55:56], off, off offset:16
	v_mov_b32_e32 v57, 0
	ds_load_b64 v[57:58], v57 offset:208
	s_waitcnt vmcnt(0) lgkmcnt(0)
	v_fma_f64 v[49:50], v[55:56], v[57:58], v[49:50]
.LBB87_252:
	s_or_b32 exec_lo, exec_lo, s3
.LBB87_253:
	s_delay_alu instid0(SALU_CYCLE_1)
	s_or_b32 exec_lo, exec_lo, s2
	v_mov_b32_e32 v55, 0
	ds_load_b64 v[55:56], v55 offset:24
	s_waitcnt lgkmcnt(0)
	v_mul_f64 v[49:50], v[49:50], v[55:56]
	scratch_store_b64 off, v[49:50], off offset:24
.LBB87_254:
	s_or_b32 exec_lo, exec_lo, s1
	scratch_load_b64 v[49:50], off, off offset:32
	s_mov_b32 s0, exec_lo
	s_waitcnt vmcnt(0)
	ds_store_b64 v52, v[49:50]
	s_waitcnt lgkmcnt(0)
	s_waitcnt_vscnt null, 0x0
	s_barrier
	buffer_gl0_inv
	v_cmpx_gt_u32_e32 4, v0
	s_cbranch_execz .LBB87_264
; %bb.255:
	v_cmp_ne_u32_e32 vcc_lo, 1, v54
	s_cbranch_vccnz .LBB87_257
; %bb.256:
	scratch_load_b64 v[49:50], v53, off
	ds_load_b64 v[55:56], v52
	s_waitcnt vmcnt(0) lgkmcnt(0)
	v_mul_f64 v[49:50], v[49:50], v[55:56]
	s_cbranch_execz .LBB87_258
	s_branch .LBB87_259
.LBB87_257:
                                        ; implicit-def: $vgpr49_vgpr50
.LBB87_258:
	ds_load_b64 v[49:50], v52
.LBB87_259:
	s_mov_b32 s1, exec_lo
	v_cmpx_ne_u32_e32 3, v0
	s_cbranch_execz .LBB87_263
; %bb.260:
	v_add_nc_u32_e32 v55, 0xc8, v51
	v_add3_u32 v56, 0, v51, 8
	v_mov_b32_e32 v57, v0
	s_mov_b32 s2, 0
.LBB87_261:                             ; =>This Inner Loop Header: Depth=1
	scratch_load_b64 v[58:59], v56, off
	ds_load_b64 v[60:61], v55
	v_add_nc_u32_e32 v57, 1, v57
	v_add_nc_u32_e32 v55, 8, v55
	v_add_nc_u32_e32 v56, 8, v56
	s_delay_alu instid0(VALU_DEP_3)
	v_cmp_lt_u32_e32 vcc_lo, 2, v57
	s_or_b32 s2, vcc_lo, s2
	s_waitcnt vmcnt(0) lgkmcnt(0)
	v_fma_f64 v[49:50], v[58:59], v[60:61], v[49:50]
	s_and_not1_b32 exec_lo, exec_lo, s2
	s_cbranch_execnz .LBB87_261
; %bb.262:
	s_or_b32 exec_lo, exec_lo, s2
.LBB87_263:
	s_delay_alu instid0(SALU_CYCLE_1)
	s_or_b32 exec_lo, exec_lo, s1
	v_mov_b32_e32 v55, 0
	ds_load_b64 v[55:56], v55 offset:32
	s_waitcnt lgkmcnt(0)
	v_mul_f64 v[49:50], v[49:50], v[55:56]
	scratch_store_b64 off, v[49:50], off offset:32
.LBB87_264:
	s_or_b32 exec_lo, exec_lo, s0
	scratch_load_b64 v[49:50], off, off offset:40
	s_mov_b32 s0, exec_lo
	s_waitcnt vmcnt(0)
	ds_store_b64 v52, v[49:50]
	s_waitcnt lgkmcnt(0)
	s_waitcnt_vscnt null, 0x0
	s_barrier
	buffer_gl0_inv
	v_cmpx_gt_u32_e32 5, v0
	s_cbranch_execz .LBB87_274
; %bb.265:
	v_cmp_ne_u32_e32 vcc_lo, 1, v54
	s_cbranch_vccnz .LBB87_267
; %bb.266:
	scratch_load_b64 v[49:50], v53, off
	ds_load_b64 v[55:56], v52
	s_waitcnt vmcnt(0) lgkmcnt(0)
	v_mul_f64 v[49:50], v[49:50], v[55:56]
	s_cbranch_execz .LBB87_268
	s_branch .LBB87_269
.LBB87_267:
                                        ; implicit-def: $vgpr49_vgpr50
.LBB87_268:
	ds_load_b64 v[49:50], v52
.LBB87_269:
	s_mov_b32 s1, exec_lo
	v_cmpx_ne_u32_e32 4, v0
	s_cbranch_execz .LBB87_273
; %bb.270:
	v_add_nc_u32_e32 v55, 0xc8, v51
	v_add3_u32 v56, 0, v51, 8
	v_mov_b32_e32 v57, v0
	s_mov_b32 s2, 0
.LBB87_271:                             ; =>This Inner Loop Header: Depth=1
	scratch_load_b64 v[58:59], v56, off
	ds_load_b64 v[60:61], v55
	v_add_nc_u32_e32 v57, 1, v57
	v_add_nc_u32_e32 v55, 8, v55
	v_add_nc_u32_e32 v56, 8, v56
	s_delay_alu instid0(VALU_DEP_3)
	v_cmp_lt_u32_e32 vcc_lo, 3, v57
	s_or_b32 s2, vcc_lo, s2
	s_waitcnt vmcnt(0) lgkmcnt(0)
	v_fma_f64 v[49:50], v[58:59], v[60:61], v[49:50]
	s_and_not1_b32 exec_lo, exec_lo, s2
	s_cbranch_execnz .LBB87_271
; %bb.272:
	s_or_b32 exec_lo, exec_lo, s2
.LBB87_273:
	s_delay_alu instid0(SALU_CYCLE_1)
	s_or_b32 exec_lo, exec_lo, s1
	v_mov_b32_e32 v55, 0
	ds_load_b64 v[55:56], v55 offset:40
	s_waitcnt lgkmcnt(0)
	v_mul_f64 v[49:50], v[49:50], v[55:56]
	scratch_store_b64 off, v[49:50], off offset:40
.LBB87_274:
	;; [unrolled: 58-line block ×18, first 2 shown]
	s_or_b32 exec_lo, exec_lo, s0
	scratch_load_b64 v[49:50], off, off offset:176
	v_cmp_gt_u32_e64 s0, 22, v0
	s_waitcnt vmcnt(0)
	ds_store_b64 v52, v[49:50]
	s_waitcnt lgkmcnt(0)
	s_waitcnt_vscnt null, 0x0
	s_barrier
	buffer_gl0_inv
	s_and_saveexec_b32 s1, s0
	s_cbranch_execz .LBB87_444
; %bb.435:
	v_cmp_ne_u32_e32 vcc_lo, 1, v54
	s_cbranch_vccnz .LBB87_437
; %bb.436:
	scratch_load_b64 v[49:50], v53, off
	ds_load_b64 v[55:56], v52
	s_waitcnt vmcnt(0) lgkmcnt(0)
	v_mul_f64 v[49:50], v[49:50], v[55:56]
	s_cbranch_execz .LBB87_438
	s_branch .LBB87_439
.LBB87_437:
                                        ; implicit-def: $vgpr49_vgpr50
.LBB87_438:
	ds_load_b64 v[49:50], v52
.LBB87_439:
	s_mov_b32 s2, exec_lo
	v_cmpx_ne_u32_e32 21, v0
	s_cbranch_execz .LBB87_443
; %bb.440:
	v_add_nc_u32_e32 v55, 0xc8, v51
	v_add3_u32 v56, 0, v51, 8
	v_mov_b32_e32 v57, v0
	s_mov_b32 s3, 0
.LBB87_441:                             ; =>This Inner Loop Header: Depth=1
	scratch_load_b64 v[58:59], v56, off
	ds_load_b64 v[60:61], v55
	v_add_nc_u32_e32 v57, 1, v57
	v_add_nc_u32_e32 v55, 8, v55
	;; [unrolled: 1-line block ×3, first 2 shown]
	s_delay_alu instid0(VALU_DEP_3)
	v_cmp_lt_u32_e32 vcc_lo, 20, v57
	s_or_b32 s3, vcc_lo, s3
	s_waitcnt vmcnt(0) lgkmcnt(0)
	v_fma_f64 v[49:50], v[58:59], v[60:61], v[49:50]
	s_and_not1_b32 exec_lo, exec_lo, s3
	s_cbranch_execnz .LBB87_441
; %bb.442:
	s_or_b32 exec_lo, exec_lo, s3
.LBB87_443:
	s_delay_alu instid0(SALU_CYCLE_1)
	s_or_b32 exec_lo, exec_lo, s2
	v_mov_b32_e32 v55, 0
	ds_load_b64 v[55:56], v55 offset:176
	s_waitcnt lgkmcnt(0)
	v_mul_f64 v[49:50], v[49:50], v[55:56]
	scratch_store_b64 off, v[49:50], off offset:176
.LBB87_444:
	s_or_b32 exec_lo, exec_lo, s1
	scratch_load_b64 v[49:50], off, off offset:184
	s_mov_b32 s1, exec_lo
	s_waitcnt vmcnt(0)
	ds_store_b64 v52, v[49:50]
	s_waitcnt lgkmcnt(0)
	s_waitcnt_vscnt null, 0x0
	s_barrier
	buffer_gl0_inv
	v_cmpx_ne_u32_e32 23, v0
	s_cbranch_execz .LBB87_454
; %bb.445:
	v_cmp_ne_u32_e32 vcc_lo, 1, v54
	s_cbranch_vccnz .LBB87_447
; %bb.446:
	scratch_load_b64 v[49:50], v53, off
	ds_load_b64 v[53:54], v52
	s_waitcnt vmcnt(0) lgkmcnt(0)
	v_mul_f64 v[49:50], v[49:50], v[53:54]
	s_cbranch_execz .LBB87_448
	s_branch .LBB87_449
.LBB87_447:
                                        ; implicit-def: $vgpr49_vgpr50
.LBB87_448:
	ds_load_b64 v[49:50], v52
.LBB87_449:
	s_and_saveexec_b32 s2, s0
	s_cbranch_execz .LBB87_453
; %bb.450:
	v_add_nc_u32_e32 v52, 0xc8, v51
	v_add3_u32 v51, 0, v51, 8
	s_mov_b32 s0, 0
.LBB87_451:                             ; =>This Inner Loop Header: Depth=1
	scratch_load_b64 v[53:54], v51, off
	ds_load_b64 v[55:56], v52
	v_add_nc_u32_e32 v0, 1, v0
	v_add_nc_u32_e32 v52, 8, v52
	;; [unrolled: 1-line block ×3, first 2 shown]
	s_delay_alu instid0(VALU_DEP_3)
	v_cmp_lt_u32_e32 vcc_lo, 21, v0
	s_or_b32 s0, vcc_lo, s0
	s_waitcnt vmcnt(0) lgkmcnt(0)
	v_fma_f64 v[49:50], v[53:54], v[55:56], v[49:50]
	s_and_not1_b32 exec_lo, exec_lo, s0
	s_cbranch_execnz .LBB87_451
; %bb.452:
	s_or_b32 exec_lo, exec_lo, s0
.LBB87_453:
	s_delay_alu instid0(SALU_CYCLE_1)
	s_or_b32 exec_lo, exec_lo, s2
	v_mov_b32_e32 v0, 0
	ds_load_b64 v[51:52], v0 offset:184
	s_waitcnt lgkmcnt(0)
	v_mul_f64 v[49:50], v[49:50], v[51:52]
	scratch_store_b64 off, v[49:50], off offset:184
.LBB87_454:
	s_or_b32 exec_lo, exec_lo, s1
.LBB87_455:
	s_clause 0xa
	scratch_load_b128 v[49:52], off, off
	scratch_load_b128 v[53:56], off, off offset:16
	scratch_load_b128 v[57:60], off, off offset:32
	;; [unrolled: 1-line block ×10, first 2 shown]
	s_waitcnt vmcnt(10)
	s_clause 0x1
	global_store_b64 v[7:8], v[49:50], off
	global_store_b64 v[5:6], v[51:52], off
	scratch_load_b128 v[5:8], off, off offset:176
	s_waitcnt vmcnt(10)
	s_clause 0x1
	global_store_b64 v[1:2], v[53:54], off
	global_store_b64 v[3:4], v[55:56], off
	s_waitcnt vmcnt(9)
	s_clause 0x1
	global_store_b64 v[9:10], v[57:58], off
	global_store_b64 v[11:12], v[59:60], off
	;; [unrolled: 4-line block ×11, first 2 shown]
.LBB87_456:
	s_endpgm
	.section	.rodata,"a",@progbits
	.p2align	6, 0x0
	.amdhsa_kernel _ZN9rocsolver6v33100L18trti2_kernel_smallILi24EdPKPdEEv13rocblas_fill_17rocblas_diagonal_T1_iil
		.amdhsa_group_segment_fixed_size 384
		.amdhsa_private_segment_fixed_size 208
		.amdhsa_kernarg_size 32
		.amdhsa_user_sgpr_count 15
		.amdhsa_user_sgpr_dispatch_ptr 0
		.amdhsa_user_sgpr_queue_ptr 0
		.amdhsa_user_sgpr_kernarg_segment_ptr 1
		.amdhsa_user_sgpr_dispatch_id 0
		.amdhsa_user_sgpr_private_segment_size 0
		.amdhsa_wavefront_size32 1
		.amdhsa_uses_dynamic_stack 0
		.amdhsa_enable_private_segment 1
		.amdhsa_system_sgpr_workgroup_id_x 1
		.amdhsa_system_sgpr_workgroup_id_y 0
		.amdhsa_system_sgpr_workgroup_id_z 0
		.amdhsa_system_sgpr_workgroup_info 0
		.amdhsa_system_vgpr_workitem_id 0
		.amdhsa_next_free_vgpr 93
		.amdhsa_next_free_sgpr 16
		.amdhsa_reserve_vcc 1
		.amdhsa_float_round_mode_32 0
		.amdhsa_float_round_mode_16_64 0
		.amdhsa_float_denorm_mode_32 3
		.amdhsa_float_denorm_mode_16_64 3
		.amdhsa_dx10_clamp 1
		.amdhsa_ieee_mode 1
		.amdhsa_fp16_overflow 0
		.amdhsa_workgroup_processor_mode 1
		.amdhsa_memory_ordered 1
		.amdhsa_forward_progress 0
		.amdhsa_shared_vgpr_count 0
		.amdhsa_exception_fp_ieee_invalid_op 0
		.amdhsa_exception_fp_denorm_src 0
		.amdhsa_exception_fp_ieee_div_zero 0
		.amdhsa_exception_fp_ieee_overflow 0
		.amdhsa_exception_fp_ieee_underflow 0
		.amdhsa_exception_fp_ieee_inexact 0
		.amdhsa_exception_int_div_zero 0
	.end_amdhsa_kernel
	.section	.text._ZN9rocsolver6v33100L18trti2_kernel_smallILi24EdPKPdEEv13rocblas_fill_17rocblas_diagonal_T1_iil,"axG",@progbits,_ZN9rocsolver6v33100L18trti2_kernel_smallILi24EdPKPdEEv13rocblas_fill_17rocblas_diagonal_T1_iil,comdat
.Lfunc_end87:
	.size	_ZN9rocsolver6v33100L18trti2_kernel_smallILi24EdPKPdEEv13rocblas_fill_17rocblas_diagonal_T1_iil, .Lfunc_end87-_ZN9rocsolver6v33100L18trti2_kernel_smallILi24EdPKPdEEv13rocblas_fill_17rocblas_diagonal_T1_iil
                                        ; -- End function
	.section	.AMDGPU.csdata,"",@progbits
; Kernel info:
; codeLenInByte = 12804
; NumSgprs: 18
; NumVgprs: 93
; ScratchSize: 208
; MemoryBound: 0
; FloatMode: 240
; IeeeMode: 1
; LDSByteSize: 384 bytes/workgroup (compile time only)
; SGPRBlocks: 2
; VGPRBlocks: 11
; NumSGPRsForWavesPerEU: 18
; NumVGPRsForWavesPerEU: 93
; Occupancy: 16
; WaveLimiterHint : 1
; COMPUTE_PGM_RSRC2:SCRATCH_EN: 1
; COMPUTE_PGM_RSRC2:USER_SGPR: 15
; COMPUTE_PGM_RSRC2:TRAP_HANDLER: 0
; COMPUTE_PGM_RSRC2:TGID_X_EN: 1
; COMPUTE_PGM_RSRC2:TGID_Y_EN: 0
; COMPUTE_PGM_RSRC2:TGID_Z_EN: 0
; COMPUTE_PGM_RSRC2:TIDIG_COMP_CNT: 0
	.section	.text._ZN9rocsolver6v33100L18trti2_kernel_smallILi25EdPKPdEEv13rocblas_fill_17rocblas_diagonal_T1_iil,"axG",@progbits,_ZN9rocsolver6v33100L18trti2_kernel_smallILi25EdPKPdEEv13rocblas_fill_17rocblas_diagonal_T1_iil,comdat
	.globl	_ZN9rocsolver6v33100L18trti2_kernel_smallILi25EdPKPdEEv13rocblas_fill_17rocblas_diagonal_T1_iil ; -- Begin function _ZN9rocsolver6v33100L18trti2_kernel_smallILi25EdPKPdEEv13rocblas_fill_17rocblas_diagonal_T1_iil
	.p2align	8
	.type	_ZN9rocsolver6v33100L18trti2_kernel_smallILi25EdPKPdEEv13rocblas_fill_17rocblas_diagonal_T1_iil,@function
_ZN9rocsolver6v33100L18trti2_kernel_smallILi25EdPKPdEEv13rocblas_fill_17rocblas_diagonal_T1_iil: ; @_ZN9rocsolver6v33100L18trti2_kernel_smallILi25EdPKPdEEv13rocblas_fill_17rocblas_diagonal_T1_iil
; %bb.0:
	s_mov_b32 s2, exec_lo
	v_cmpx_gt_u32_e32 25, v0
	s_cbranch_execz .LBB88_476
; %bb.1:
	s_clause 0x1
	s_load_b64 s[4:5], s[0:1], 0x10
	s_load_b128 s[0:3], s[0:1], 0x0
	s_mov_b32 s6, s15
	s_ashr_i32 s7, s15, 31
	v_mov_b32_e32 v51, 0
	s_lshl_b64 s[6:7], s[6:7], 3
	v_dual_mov_b32 v52, 0xbff00000 :: v_dual_lshlrev_b32 v53, 3, v0
	s_waitcnt lgkmcnt(0)
	s_ashr_i32 s9, s4, 31
	s_add_u32 s2, s2, s6
	s_addc_u32 s3, s3, s7
	v_add3_u32 v1, s5, s5, v0
	s_load_b64 s[2:3], s[2:3], 0x0
	s_mov_b32 s8, s4
	s_mov_b32 s6, s5
	s_lshl_b64 s[8:9], s[8:9], 3
	v_add_nc_u32_e32 v3, s5, v1
	v_ashrrev_i32_e32 v2, 31, v1
	s_delay_alu instid0(VALU_DEP_2) | instskip(SKIP_1) | instid1(VALU_DEP_3)
	v_add_nc_u32_e32 v5, s5, v3
	v_ashrrev_i32_e32 v4, 31, v3
	v_lshlrev_b64 v[1:2], 3, v[1:2]
	s_delay_alu instid0(VALU_DEP_3) | instskip(NEXT) | instid1(VALU_DEP_3)
	v_add_nc_u32_e32 v13, s5, v5
	v_lshlrev_b64 v[3:4], 3, v[3:4]
	v_ashrrev_i32_e32 v6, 31, v5
	s_delay_alu instid0(VALU_DEP_3)
	v_ashrrev_i32_e32 v14, 31, v13
	s_waitcnt lgkmcnt(0)
	s_add_u32 s2, s2, s8
	s_addc_u32 s3, s3, s9
	v_add_co_u32 v1, vcc_lo, s2, v1
	v_add_co_u32 v11, s4, s2, v53
	s_ashr_i32 s7, s5, 31
	v_add_co_ci_u32_e32 v2, vcc_lo, s3, v2, vcc_lo
	v_lshlrev_b64 v[7:8], 3, v[5:6]
	v_lshlrev_b64 v[5:6], 3, v[13:14]
	v_add_co_ci_u32_e64 v12, null, s3, 0, s4
	v_add_co_u32 v3, vcc_lo, s2, v3
	s_lshl_b64 s[6:7], s[6:7], 3
	v_add_co_ci_u32_e32 v4, vcc_lo, s3, v4, vcc_lo
	v_add_co_u32 v9, vcc_lo, v11, s6
	v_add_co_ci_u32_e32 v10, vcc_lo, s7, v12, vcc_lo
	v_add_co_u32 v5, vcc_lo, s2, v5
	;; [unrolled: 2-line block ×3, first 2 shown]
	v_add_co_ci_u32_e32 v8, vcc_lo, s3, v8, vcc_lo
	s_clause 0x5
	global_load_b64 v[54:55], v53, s[2:3]
	global_load_b64 v[56:57], v[9:10], off
	global_load_b64 v[60:61], v[5:6], off
	;; [unrolled: 1-line block ×5, first 2 shown]
	v_add_nc_u32_e32 v13, s5, v13
	s_cmpk_lg_i32 s1, 0x84
	s_delay_alu instid0(VALU_DEP_1) | instskip(SKIP_1) | instid1(VALU_DEP_2)
	v_add_nc_u32_e32 v15, s5, v13
	v_ashrrev_i32_e32 v14, 31, v13
	v_add_nc_u32_e32 v17, s5, v15
	v_ashrrev_i32_e32 v16, 31, v15
	s_delay_alu instid0(VALU_DEP_3) | instskip(NEXT) | instid1(VALU_DEP_3)
	v_lshlrev_b64 v[13:14], 3, v[13:14]
	v_add_nc_u32_e32 v19, s5, v17
	v_ashrrev_i32_e32 v18, 31, v17
	s_delay_alu instid0(VALU_DEP_4) | instskip(NEXT) | instid1(VALU_DEP_4)
	v_lshlrev_b64 v[15:16], 3, v[15:16]
	v_add_co_u32 v13, vcc_lo, s2, v13
	s_delay_alu instid0(VALU_DEP_4) | instskip(SKIP_3) | instid1(VALU_DEP_4)
	v_add_nc_u32_e32 v21, s5, v19
	v_ashrrev_i32_e32 v20, 31, v19
	v_lshlrev_b64 v[17:18], 3, v[17:18]
	v_add_co_ci_u32_e32 v14, vcc_lo, s3, v14, vcc_lo
	v_add_nc_u32_e32 v23, s5, v21
	v_ashrrev_i32_e32 v22, 31, v21
	v_add_co_u32 v15, vcc_lo, s2, v15
	v_lshlrev_b64 v[19:20], 3, v[19:20]
	s_delay_alu instid0(VALU_DEP_4) | instskip(SKIP_3) | instid1(VALU_DEP_4)
	v_add_nc_u32_e32 v25, s5, v23
	v_ashrrev_i32_e32 v24, 31, v23
	v_add_co_ci_u32_e32 v16, vcc_lo, s3, v16, vcc_lo
	v_add_co_u32 v17, vcc_lo, s2, v17
	v_add_nc_u32_e32 v27, s5, v25
	v_lshlrev_b64 v[21:22], 3, v[21:22]
	v_ashrrev_i32_e32 v26, 31, v25
	v_add_co_ci_u32_e32 v18, vcc_lo, s3, v18, vcc_lo
	s_delay_alu instid0(VALU_DEP_4) | instskip(SKIP_3) | instid1(VALU_DEP_4)
	v_add_nc_u32_e32 v29, s5, v27
	v_add_co_u32 v19, vcc_lo, s2, v19
	v_lshlrev_b64 v[23:24], 3, v[23:24]
	v_ashrrev_i32_e32 v28, 31, v27
	v_add_nc_u32_e32 v31, s5, v29
	v_add_co_ci_u32_e32 v20, vcc_lo, s3, v20, vcc_lo
	v_add_co_u32 v21, vcc_lo, s2, v21
	s_delay_alu instid0(VALU_DEP_3) | instskip(SKIP_3) | instid1(VALU_DEP_4)
	v_add_nc_u32_e32 v33, s5, v31
	v_lshlrev_b64 v[25:26], 3, v[25:26]
	v_ashrrev_i32_e32 v30, 31, v29
	v_add_co_ci_u32_e32 v22, vcc_lo, s3, v22, vcc_lo
	v_add_nc_u32_e32 v35, s5, v33
	v_add_co_u32 v23, vcc_lo, s2, v23
	v_lshlrev_b64 v[27:28], 3, v[27:28]
	v_ashrrev_i32_e32 v32, 31, v31
	s_delay_alu instid0(VALU_DEP_4) | instskip(SKIP_2) | instid1(VALU_DEP_3)
	v_add_nc_u32_e32 v37, s5, v35
	v_add_co_ci_u32_e32 v24, vcc_lo, s3, v24, vcc_lo
	v_add_co_u32 v25, vcc_lo, s2, v25
	v_add_nc_u32_e32 v39, s5, v37
	v_lshlrev_b64 v[29:30], 3, v[29:30]
	v_ashrrev_i32_e32 v34, 31, v33
	v_add_co_ci_u32_e32 v26, vcc_lo, s3, v26, vcc_lo
	s_delay_alu instid0(VALU_DEP_4)
	v_add_nc_u32_e32 v41, s5, v39
	v_add_co_u32 v27, vcc_lo, s2, v27
	v_lshlrev_b64 v[31:32], 3, v[31:32]
	v_ashrrev_i32_e32 v36, 31, v35
	v_add_co_ci_u32_e32 v28, vcc_lo, s3, v28, vcc_lo
	v_add_nc_u32_e32 v43, s5, v41
	v_add_co_u32 v29, vcc_lo, s2, v29
	v_lshlrev_b64 v[33:34], 3, v[33:34]
	v_ashrrev_i32_e32 v38, 31, v37
	v_add_co_ci_u32_e32 v30, vcc_lo, s3, v30, vcc_lo
	v_add_co_u32 v31, vcc_lo, s2, v31
	v_lshlrev_b64 v[35:36], 3, v[35:36]
	v_ashrrev_i32_e32 v40, 31, v39
	v_add_nc_u32_e32 v45, s5, v43
	v_add_co_ci_u32_e32 v32, vcc_lo, s3, v32, vcc_lo
	v_add_co_u32 v33, vcc_lo, s2, v33
	v_lshlrev_b64 v[37:38], 3, v[37:38]
	v_ashrrev_i32_e32 v42, 31, v41
	v_add_co_ci_u32_e32 v34, vcc_lo, s3, v34, vcc_lo
	v_add_co_u32 v35, vcc_lo, s2, v35
	v_lshlrev_b64 v[39:40], 3, v[39:40]
	v_add_nc_u32_e32 v47, s5, v45
	v_ashrrev_i32_e32 v44, 31, v43
	v_add_co_ci_u32_e32 v36, vcc_lo, s3, v36, vcc_lo
	v_add_co_u32 v37, vcc_lo, s2, v37
	v_lshlrev_b64 v[41:42], 3, v[41:42]
	v_ashrrev_i32_e32 v46, 31, v45
	v_add_co_ci_u32_e32 v38, vcc_lo, s3, v38, vcc_lo
	v_add_nc_u32_e32 v49, s5, v47
	v_add_co_u32 v39, vcc_lo, s2, v39
	v_lshlrev_b64 v[43:44], 3, v[43:44]
	v_ashrrev_i32_e32 v48, 31, v47
	v_add_co_ci_u32_e32 v40, vcc_lo, s3, v40, vcc_lo
	v_add_co_u32 v41, vcc_lo, s2, v41
	v_lshlrev_b64 v[45:46], 3, v[45:46]
	v_ashrrev_i32_e32 v50, 31, v49
	v_add_co_ci_u32_e32 v42, vcc_lo, s3, v42, vcc_lo
	v_add_co_u32 v43, vcc_lo, s2, v43
	v_lshlrev_b64 v[47:48], 3, v[47:48]
	v_add_co_ci_u32_e32 v44, vcc_lo, s3, v44, vcc_lo
	v_add_co_u32 v45, vcc_lo, s2, v45
	v_lshlrev_b64 v[49:50], 3, v[49:50]
	v_add_co_ci_u32_e32 v46, vcc_lo, s3, v46, vcc_lo
	v_add_co_u32 v47, vcc_lo, s2, v47
	v_add_co_ci_u32_e32 v48, vcc_lo, s3, v48, vcc_lo
	s_delay_alu instid0(VALU_DEP_4)
	v_add_co_u32 v49, vcc_lo, s2, v49
	s_clause 0xa
	global_load_b64 v[66:67], v[13:14], off
	global_load_b64 v[68:69], v[15:16], off
	;; [unrolled: 1-line block ×11, first 2 shown]
	v_add_co_ci_u32_e32 v50, vcc_lo, s3, v50, vcc_lo
	s_cselect_b32 s2, -1, 0
	s_cmpk_eq_i32 s1, 0x84
	s_waitcnt vmcnt(15)
	scratch_store_b128 off, v[54:57], off
	s_clause 0x3
	global_load_b64 v[88:89], v[35:36], off
	global_load_b64 v[54:55], v[37:38], off
	global_load_b64 v[56:57], v[39:40], off
	global_load_b64 v[90:91], v[41:42], off
	s_waitcnt vmcnt(16)
	scratch_store_b128 off, v[62:65], off offset:16
	s_waitcnt vmcnt(15)
	scratch_store_b128 off, v[58:61], off offset:32
	s_clause 0x3
	global_load_b64 v[92:93], v[43:44], off
	global_load_b64 v[58:59], v[45:46], off
	;; [unrolled: 1-line block ×4, first 2 shown]
	s_waitcnt vmcnt(17)
	scratch_store_b128 off, v[66:69], off offset:48
	s_waitcnt vmcnt(15)
	scratch_store_b128 off, v[70:73], off offset:64
	;; [unrolled: 2-line block ×9, first 2 shown]
	s_waitcnt vmcnt(0)
	scratch_store_b64 off, v[62:63], off offset:192
	s_cbranch_scc1 .LBB88_3
; %bb.2:
	scratch_load_b64 v[51:52], v53, off
	s_waitcnt vmcnt(0)
	v_div_scale_f64 v[54:55], null, v[51:52], v[51:52], 1.0
	v_div_scale_f64 v[60:61], vcc_lo, 1.0, v[51:52], 1.0
	s_delay_alu instid0(VALU_DEP_2) | instskip(SKIP_2) | instid1(VALU_DEP_1)
	v_rcp_f64_e32 v[56:57], v[54:55]
	s_waitcnt_depctr 0xfff
	v_fma_f64 v[58:59], -v[54:55], v[56:57], 1.0
	v_fma_f64 v[56:57], v[56:57], v[58:59], v[56:57]
	s_delay_alu instid0(VALU_DEP_1) | instskip(NEXT) | instid1(VALU_DEP_1)
	v_fma_f64 v[58:59], -v[54:55], v[56:57], 1.0
	v_fma_f64 v[56:57], v[56:57], v[58:59], v[56:57]
	s_delay_alu instid0(VALU_DEP_1) | instskip(NEXT) | instid1(VALU_DEP_1)
	v_mul_f64 v[58:59], v[60:61], v[56:57]
	v_fma_f64 v[54:55], -v[54:55], v[58:59], v[60:61]
	s_delay_alu instid0(VALU_DEP_1) | instskip(NEXT) | instid1(VALU_DEP_1)
	v_div_fmas_f64 v[54:55], v[54:55], v[56:57], v[58:59]
	v_div_fixup_f64 v[51:52], v[54:55], v[51:52], 1.0
	scratch_store_b64 v53, v[51:52], off
	v_xor_b32_e32 v52, 0x80000000, v52
.LBB88_3:
	v_add_nc_u32_e32 v54, 0xd0, v53
	v_add_nc_u32_e32 v55, 0, v53
	s_cmpk_eq_i32 s0, 0x79
	s_mov_b32 s0, -1
	ds_store_b64 v53, v[51:52]
	s_cbranch_scc1 .LBB88_239
; %bb.4:
	scratch_load_b64 v[51:52], off, off offset:184
	v_cmp_eq_u32_e64 s1, 24, v0
	s_movk_i32 s0, 0x50
	s_movk_i32 s3, 0x60
	;; [unrolled: 1-line block ×7, first 2 shown]
	s_waitcnt vmcnt(0)
	ds_store_b64 v54, v[51:52]
	s_waitcnt lgkmcnt(0)
	s_waitcnt_vscnt null, 0x0
	s_barrier
	buffer_gl0_inv
	s_and_saveexec_b32 s9, s1
	s_cbranch_execz .LBB88_10
; %bb.5:
	s_and_b32 vcc_lo, exec_lo, s2
	s_cbranch_vccz .LBB88_7
; %bb.6:
	scratch_load_b64 v[51:52], v55, off
	ds_load_b64 v[56:57], v54
	s_waitcnt vmcnt(0) lgkmcnt(0)
	v_mul_f64 v[51:52], v[51:52], v[56:57]
	s_cbranch_execz .LBB88_8
	s_branch .LBB88_9
.LBB88_7:
                                        ; implicit-def: $vgpr51_vgpr52
.LBB88_8:
	ds_load_b64 v[51:52], v54
.LBB88_9:
	v_mov_b32_e32 v56, 0
	ds_load_b64 v[56:57], v56 offset:184
	s_waitcnt lgkmcnt(0)
	v_mul_f64 v[51:52], v[51:52], v[56:57]
	scratch_store_b64 off, v[51:52], off offset:184
.LBB88_10:
	s_or_b32 exec_lo, exec_lo, s9
	scratch_load_b64 v[51:52], off, off offset:176
	v_add_nc_u32_e64 v56, 0, 16
	v_add_nc_u32_e64 v57, 0, 32
	v_add_nc_u32_e64 v58, 0, 48
	v_add_nc_u32_e64 v59, 0, 64
	v_add_nc_u32_e64 v60, s0, 0
	v_add_nc_u32_e64 v61, s3, 0
	v_add_nc_u32_e64 v62, s4, 0
	v_add_nc_u32_e64 v63, s5, 0
	v_add_nc_u32_e64 v64, s6, 0
	v_add_nc_u32_e64 v65, s7, 0
	v_add_nc_u32_e64 v66, s8, 0
	v_cmp_lt_u32_e64 s0, 22, v0
	s_waitcnt vmcnt(0)
	ds_store_b64 v54, v[51:52]
	s_waitcnt lgkmcnt(0)
	s_waitcnt_vscnt null, 0x0
	s_barrier
	buffer_gl0_inv
	s_and_saveexec_b32 s3, s0
	s_cbranch_execz .LBB88_18
; %bb.11:
	s_and_not1_b32 vcc_lo, exec_lo, s2
	s_cbranch_vccnz .LBB88_13
; %bb.12:
	scratch_load_b64 v[51:52], v55, off
	ds_load_b64 v[67:68], v54
	s_waitcnt vmcnt(0) lgkmcnt(0)
	v_mul_f64 v[51:52], v[51:52], v[67:68]
	s_cbranch_execz .LBB88_14
	s_branch .LBB88_15
.LBB88_13:
                                        ; implicit-def: $vgpr51_vgpr52
.LBB88_14:
	ds_load_b64 v[51:52], v54
.LBB88_15:
	s_and_saveexec_b32 s4, s1
	s_cbranch_execz .LBB88_17
; %bb.16:
	scratch_load_b64 v[67:68], off, off offset:184
	v_mov_b32_e32 v69, 0
	ds_load_b64 v[69:70], v69 offset:392
	s_waitcnt vmcnt(0) lgkmcnt(0)
	v_fma_f64 v[51:52], v[67:68], v[69:70], v[51:52]
.LBB88_17:
	s_or_b32 exec_lo, exec_lo, s4
	v_mov_b32_e32 v67, 0
	ds_load_b64 v[67:68], v67 offset:176
	s_waitcnt lgkmcnt(0)
	v_mul_f64 v[51:52], v[51:52], v[67:68]
	scratch_store_b64 off, v[51:52], off offset:176
.LBB88_18:
	s_or_b32 exec_lo, exec_lo, s3
	scratch_load_b64 v[51:52], off, off offset:168
	v_cmp_lt_u32_e64 s1, 21, v0
	s_waitcnt vmcnt(0)
	ds_store_b64 v54, v[51:52]
	s_waitcnt lgkmcnt(0)
	s_waitcnt_vscnt null, 0x0
	s_barrier
	buffer_gl0_inv
	s_and_saveexec_b32 s3, s1
	s_cbranch_execz .LBB88_28
; %bb.19:
	s_and_not1_b32 vcc_lo, exec_lo, s2
	s_cbranch_vccnz .LBB88_21
; %bb.20:
	scratch_load_b64 v[51:52], v55, off
	ds_load_b64 v[67:68], v54
	s_waitcnt vmcnt(0) lgkmcnt(0)
	v_mul_f64 v[51:52], v[51:52], v[67:68]
	s_cbranch_execz .LBB88_22
	s_branch .LBB88_23
.LBB88_21:
                                        ; implicit-def: $vgpr51_vgpr52
.LBB88_22:
	ds_load_b64 v[51:52], v54
.LBB88_23:
	s_and_saveexec_b32 s4, s0
	s_cbranch_execz .LBB88_27
; %bb.24:
	v_subrev_nc_u32_e32 v67, 22, v0
	s_movk_i32 s5, 0x180
	s_mov_b32 s0, 0
.LBB88_25:                              ; =>This Inner Loop Header: Depth=1
	scratch_load_b64 v[68:69], v66, off
	v_dual_mov_b32 v70, s5 :: v_dual_add_nc_u32 v67, -1, v67
	v_add_nc_u32_e32 v66, 8, v66
	s_add_i32 s5, s5, 8
	ds_load_b64 v[70:71], v70
	v_cmp_eq_u32_e32 vcc_lo, 0, v67
	s_or_b32 s0, vcc_lo, s0
	s_waitcnt vmcnt(0) lgkmcnt(0)
	v_fma_f64 v[51:52], v[68:69], v[70:71], v[51:52]
	s_and_not1_b32 exec_lo, exec_lo, s0
	s_cbranch_execnz .LBB88_25
; %bb.26:
	s_or_b32 exec_lo, exec_lo, s0
.LBB88_27:
	s_delay_alu instid0(SALU_CYCLE_1)
	s_or_b32 exec_lo, exec_lo, s4
	v_mov_b32_e32 v66, 0
	ds_load_b64 v[66:67], v66 offset:168
	s_waitcnt lgkmcnt(0)
	v_mul_f64 v[51:52], v[51:52], v[66:67]
	scratch_store_b64 off, v[51:52], off offset:168
.LBB88_28:
	s_or_b32 exec_lo, exec_lo, s3
	scratch_load_b64 v[51:52], off, off offset:160
	v_cmp_lt_u32_e64 s0, 20, v0
	s_waitcnt vmcnt(0)
	ds_store_b64 v54, v[51:52]
	s_waitcnt lgkmcnt(0)
	s_waitcnt_vscnt null, 0x0
	s_barrier
	buffer_gl0_inv
	s_and_saveexec_b32 s3, s0
	s_cbranch_execz .LBB88_38
; %bb.29:
	s_and_not1_b32 vcc_lo, exec_lo, s2
	s_cbranch_vccnz .LBB88_31
; %bb.30:
	scratch_load_b64 v[51:52], v55, off
	ds_load_b64 v[66:67], v54
	s_waitcnt vmcnt(0) lgkmcnt(0)
	v_mul_f64 v[51:52], v[51:52], v[66:67]
	s_cbranch_execz .LBB88_32
	s_branch .LBB88_33
.LBB88_31:
                                        ; implicit-def: $vgpr51_vgpr52
.LBB88_32:
	ds_load_b64 v[51:52], v54
.LBB88_33:
	s_and_saveexec_b32 s4, s1
	s_cbranch_execz .LBB88_37
; %bb.34:
	v_mov_b32_e32 v66, 0
	v_subrev_nc_u32_e32 v67, 21, v0
	s_movk_i32 s5, 0x178
	s_mov_b32 s1, 0
	s_delay_alu instid0(VALU_DEP_2)
	v_add_nc_u32_e32 v66, 0xa8, v66
.LBB88_35:                              ; =>This Inner Loop Header: Depth=1
	scratch_load_b64 v[68:69], v66, off
	v_dual_mov_b32 v70, s5 :: v_dual_add_nc_u32 v67, -1, v67
	v_add_nc_u32_e32 v66, 8, v66
	s_add_i32 s5, s5, 8
	ds_load_b64 v[70:71], v70
	v_cmp_eq_u32_e32 vcc_lo, 0, v67
	s_or_b32 s1, vcc_lo, s1
	s_waitcnt vmcnt(0) lgkmcnt(0)
	v_fma_f64 v[51:52], v[68:69], v[70:71], v[51:52]
	s_and_not1_b32 exec_lo, exec_lo, s1
	s_cbranch_execnz .LBB88_35
; %bb.36:
	s_or_b32 exec_lo, exec_lo, s1
.LBB88_37:
	s_delay_alu instid0(SALU_CYCLE_1)
	s_or_b32 exec_lo, exec_lo, s4
	v_mov_b32_e32 v66, 0
	ds_load_b64 v[66:67], v66 offset:160
	s_waitcnt lgkmcnt(0)
	v_mul_f64 v[51:52], v[51:52], v[66:67]
	scratch_store_b64 off, v[51:52], off offset:160
.LBB88_38:
	s_or_b32 exec_lo, exec_lo, s3
	scratch_load_b64 v[51:52], off, off offset:152
	v_cmp_lt_u32_e64 s1, 19, v0
	s_waitcnt vmcnt(0)
	ds_store_b64 v54, v[51:52]
	s_waitcnt lgkmcnt(0)
	s_waitcnt_vscnt null, 0x0
	s_barrier
	buffer_gl0_inv
	s_and_saveexec_b32 s3, s1
	s_cbranch_execz .LBB88_48
; %bb.39:
	s_and_not1_b32 vcc_lo, exec_lo, s2
	s_cbranch_vccnz .LBB88_41
; %bb.40:
	scratch_load_b64 v[51:52], v55, off
	ds_load_b64 v[66:67], v54
	s_waitcnt vmcnt(0) lgkmcnt(0)
	v_mul_f64 v[51:52], v[51:52], v[66:67]
	s_cbranch_execz .LBB88_42
	s_branch .LBB88_43
.LBB88_41:
                                        ; implicit-def: $vgpr51_vgpr52
.LBB88_42:
	ds_load_b64 v[51:52], v54
.LBB88_43:
	s_and_saveexec_b32 s4, s0
	s_cbranch_execz .LBB88_47
; %bb.44:
	v_subrev_nc_u32_e32 v66, 20, v0
	s_movk_i32 s5, 0x170
	s_mov_b32 s0, 0
.LBB88_45:                              ; =>This Inner Loop Header: Depth=1
	scratch_load_b64 v[67:68], v65, off
	v_dual_mov_b32 v69, s5 :: v_dual_add_nc_u32 v66, -1, v66
	v_add_nc_u32_e32 v65, 8, v65
	s_add_i32 s5, s5, 8
	ds_load_b64 v[69:70], v69
	v_cmp_eq_u32_e32 vcc_lo, 0, v66
	s_or_b32 s0, vcc_lo, s0
	s_waitcnt vmcnt(0) lgkmcnt(0)
	v_fma_f64 v[51:52], v[67:68], v[69:70], v[51:52]
	s_and_not1_b32 exec_lo, exec_lo, s0
	s_cbranch_execnz .LBB88_45
; %bb.46:
	s_or_b32 exec_lo, exec_lo, s0
.LBB88_47:
	s_delay_alu instid0(SALU_CYCLE_1)
	s_or_b32 exec_lo, exec_lo, s4
	v_mov_b32_e32 v65, 0
	ds_load_b64 v[65:66], v65 offset:152
	s_waitcnt lgkmcnt(0)
	v_mul_f64 v[51:52], v[51:52], v[65:66]
	scratch_store_b64 off, v[51:52], off offset:152
.LBB88_48:
	s_or_b32 exec_lo, exec_lo, s3
	scratch_load_b64 v[51:52], off, off offset:144
	v_cmp_lt_u32_e64 s0, 18, v0
	s_waitcnt vmcnt(0)
	ds_store_b64 v54, v[51:52]
	s_waitcnt lgkmcnt(0)
	s_waitcnt_vscnt null, 0x0
	s_barrier
	buffer_gl0_inv
	s_and_saveexec_b32 s3, s0
	s_cbranch_execz .LBB88_58
; %bb.49:
	s_and_not1_b32 vcc_lo, exec_lo, s2
	s_cbranch_vccnz .LBB88_51
; %bb.50:
	scratch_load_b64 v[51:52], v55, off
	ds_load_b64 v[65:66], v54
	s_waitcnt vmcnt(0) lgkmcnt(0)
	v_mul_f64 v[51:52], v[51:52], v[65:66]
	s_cbranch_execz .LBB88_52
	s_branch .LBB88_53
.LBB88_51:
                                        ; implicit-def: $vgpr51_vgpr52
.LBB88_52:
	ds_load_b64 v[51:52], v54
.LBB88_53:
	s_and_saveexec_b32 s4, s1
	s_cbranch_execz .LBB88_57
; %bb.54:
	v_mov_b32_e32 v65, 0
	v_subrev_nc_u32_e32 v66, 19, v0
	s_movk_i32 s5, 0x168
	s_mov_b32 s1, 0
	s_delay_alu instid0(VALU_DEP_2)
	v_add_nc_u32_e32 v65, 0x98, v65
.LBB88_55:                              ; =>This Inner Loop Header: Depth=1
	scratch_load_b64 v[67:68], v65, off
	v_dual_mov_b32 v69, s5 :: v_dual_add_nc_u32 v66, -1, v66
	v_add_nc_u32_e32 v65, 8, v65
	s_add_i32 s5, s5, 8
	ds_load_b64 v[69:70], v69
	v_cmp_eq_u32_e32 vcc_lo, 0, v66
	s_or_b32 s1, vcc_lo, s1
	s_waitcnt vmcnt(0) lgkmcnt(0)
	v_fma_f64 v[51:52], v[67:68], v[69:70], v[51:52]
	s_and_not1_b32 exec_lo, exec_lo, s1
	s_cbranch_execnz .LBB88_55
; %bb.56:
	s_or_b32 exec_lo, exec_lo, s1
.LBB88_57:
	s_delay_alu instid0(SALU_CYCLE_1)
	s_or_b32 exec_lo, exec_lo, s4
	v_mov_b32_e32 v65, 0
	ds_load_b64 v[65:66], v65 offset:144
	s_waitcnt lgkmcnt(0)
	v_mul_f64 v[51:52], v[51:52], v[65:66]
	scratch_store_b64 off, v[51:52], off offset:144
.LBB88_58:
	s_or_b32 exec_lo, exec_lo, s3
	scratch_load_b64 v[51:52], off, off offset:136
	v_cmp_lt_u32_e64 s1, 17, v0
	s_waitcnt vmcnt(0)
	ds_store_b64 v54, v[51:52]
	s_waitcnt lgkmcnt(0)
	s_waitcnt_vscnt null, 0x0
	s_barrier
	buffer_gl0_inv
	s_and_saveexec_b32 s3, s1
	s_cbranch_execz .LBB88_68
; %bb.59:
	s_and_not1_b32 vcc_lo, exec_lo, s2
	s_cbranch_vccnz .LBB88_61
; %bb.60:
	scratch_load_b64 v[51:52], v55, off
	ds_load_b64 v[65:66], v54
	s_waitcnt vmcnt(0) lgkmcnt(0)
	v_mul_f64 v[51:52], v[51:52], v[65:66]
	s_cbranch_execz .LBB88_62
	s_branch .LBB88_63
.LBB88_61:
                                        ; implicit-def: $vgpr51_vgpr52
.LBB88_62:
	ds_load_b64 v[51:52], v54
.LBB88_63:
	s_and_saveexec_b32 s4, s0
	s_cbranch_execz .LBB88_67
; %bb.64:
	v_subrev_nc_u32_e32 v65, 18, v0
	s_movk_i32 s5, 0x160
	s_mov_b32 s0, 0
.LBB88_65:                              ; =>This Inner Loop Header: Depth=1
	scratch_load_b64 v[66:67], v64, off
	v_dual_mov_b32 v68, s5 :: v_dual_add_nc_u32 v65, -1, v65
	v_add_nc_u32_e32 v64, 8, v64
	s_add_i32 s5, s5, 8
	ds_load_b64 v[68:69], v68
	v_cmp_eq_u32_e32 vcc_lo, 0, v65
	s_or_b32 s0, vcc_lo, s0
	s_waitcnt vmcnt(0) lgkmcnt(0)
	v_fma_f64 v[51:52], v[66:67], v[68:69], v[51:52]
	s_and_not1_b32 exec_lo, exec_lo, s0
	s_cbranch_execnz .LBB88_65
; %bb.66:
	s_or_b32 exec_lo, exec_lo, s0
.LBB88_67:
	s_delay_alu instid0(SALU_CYCLE_1)
	s_or_b32 exec_lo, exec_lo, s4
	v_mov_b32_e32 v64, 0
	ds_load_b64 v[64:65], v64 offset:136
	s_waitcnt lgkmcnt(0)
	v_mul_f64 v[51:52], v[51:52], v[64:65]
	scratch_store_b64 off, v[51:52], off offset:136
.LBB88_68:
	s_or_b32 exec_lo, exec_lo, s3
	scratch_load_b64 v[51:52], off, off offset:128
	v_cmp_lt_u32_e64 s0, 16, v0
	s_waitcnt vmcnt(0)
	ds_store_b64 v54, v[51:52]
	s_waitcnt lgkmcnt(0)
	s_waitcnt_vscnt null, 0x0
	s_barrier
	buffer_gl0_inv
	s_and_saveexec_b32 s3, s0
	s_cbranch_execz .LBB88_78
; %bb.69:
	s_and_not1_b32 vcc_lo, exec_lo, s2
	s_cbranch_vccnz .LBB88_71
; %bb.70:
	scratch_load_b64 v[51:52], v55, off
	ds_load_b64 v[64:65], v54
	s_waitcnt vmcnt(0) lgkmcnt(0)
	v_mul_f64 v[51:52], v[51:52], v[64:65]
	s_cbranch_execz .LBB88_72
	s_branch .LBB88_73
.LBB88_71:
                                        ; implicit-def: $vgpr51_vgpr52
.LBB88_72:
	ds_load_b64 v[51:52], v54
.LBB88_73:
	s_and_saveexec_b32 s4, s1
	s_cbranch_execz .LBB88_77
; %bb.74:
	v_mov_b32_e32 v64, 0
	v_subrev_nc_u32_e32 v65, 17, v0
	s_movk_i32 s5, 0x158
	s_mov_b32 s1, 0
	s_delay_alu instid0(VALU_DEP_2)
	v_add_nc_u32_e32 v64, 0x88, v64
.LBB88_75:                              ; =>This Inner Loop Header: Depth=1
	scratch_load_b64 v[66:67], v64, off
	v_dual_mov_b32 v68, s5 :: v_dual_add_nc_u32 v65, -1, v65
	v_add_nc_u32_e32 v64, 8, v64
	s_add_i32 s5, s5, 8
	ds_load_b64 v[68:69], v68
	v_cmp_eq_u32_e32 vcc_lo, 0, v65
	s_or_b32 s1, vcc_lo, s1
	s_waitcnt vmcnt(0) lgkmcnt(0)
	v_fma_f64 v[51:52], v[66:67], v[68:69], v[51:52]
	s_and_not1_b32 exec_lo, exec_lo, s1
	s_cbranch_execnz .LBB88_75
; %bb.76:
	s_or_b32 exec_lo, exec_lo, s1
.LBB88_77:
	s_delay_alu instid0(SALU_CYCLE_1)
	s_or_b32 exec_lo, exec_lo, s4
	v_mov_b32_e32 v64, 0
	ds_load_b64 v[64:65], v64 offset:128
	s_waitcnt lgkmcnt(0)
	v_mul_f64 v[51:52], v[51:52], v[64:65]
	scratch_store_b64 off, v[51:52], off offset:128
.LBB88_78:
	s_or_b32 exec_lo, exec_lo, s3
	scratch_load_b64 v[51:52], off, off offset:120
	v_cmp_lt_u32_e64 s1, 15, v0
	s_waitcnt vmcnt(0)
	ds_store_b64 v54, v[51:52]
	s_waitcnt lgkmcnt(0)
	s_waitcnt_vscnt null, 0x0
	s_barrier
	buffer_gl0_inv
	s_and_saveexec_b32 s3, s1
	s_cbranch_execz .LBB88_88
; %bb.79:
	s_and_not1_b32 vcc_lo, exec_lo, s2
	s_cbranch_vccnz .LBB88_81
; %bb.80:
	scratch_load_b64 v[51:52], v55, off
	ds_load_b64 v[64:65], v54
	s_waitcnt vmcnt(0) lgkmcnt(0)
	v_mul_f64 v[51:52], v[51:52], v[64:65]
	s_cbranch_execz .LBB88_82
	s_branch .LBB88_83
.LBB88_81:
                                        ; implicit-def: $vgpr51_vgpr52
.LBB88_82:
	ds_load_b64 v[51:52], v54
.LBB88_83:
	s_and_saveexec_b32 s4, s0
	s_cbranch_execz .LBB88_87
; %bb.84:
	v_add_nc_u32_e32 v64, -16, v0
	s_movk_i32 s5, 0x150
	s_mov_b32 s0, 0
.LBB88_85:                              ; =>This Inner Loop Header: Depth=1
	scratch_load_b64 v[65:66], v63, off
	v_dual_mov_b32 v67, s5 :: v_dual_add_nc_u32 v64, -1, v64
	v_add_nc_u32_e32 v63, 8, v63
	s_add_i32 s5, s5, 8
	ds_load_b64 v[67:68], v67
	v_cmp_eq_u32_e32 vcc_lo, 0, v64
	s_or_b32 s0, vcc_lo, s0
	s_waitcnt vmcnt(0) lgkmcnt(0)
	v_fma_f64 v[51:52], v[65:66], v[67:68], v[51:52]
	s_and_not1_b32 exec_lo, exec_lo, s0
	s_cbranch_execnz .LBB88_85
; %bb.86:
	s_or_b32 exec_lo, exec_lo, s0
.LBB88_87:
	s_delay_alu instid0(SALU_CYCLE_1)
	s_or_b32 exec_lo, exec_lo, s4
	v_mov_b32_e32 v63, 0
	ds_load_b64 v[63:64], v63 offset:120
	s_waitcnt lgkmcnt(0)
	v_mul_f64 v[51:52], v[51:52], v[63:64]
	scratch_store_b64 off, v[51:52], off offset:120
.LBB88_88:
	s_or_b32 exec_lo, exec_lo, s3
	scratch_load_b64 v[51:52], off, off offset:112
	v_cmp_lt_u32_e64 s0, 14, v0
	s_waitcnt vmcnt(0)
	ds_store_b64 v54, v[51:52]
	s_waitcnt lgkmcnt(0)
	s_waitcnt_vscnt null, 0x0
	s_barrier
	buffer_gl0_inv
	s_and_saveexec_b32 s3, s0
	s_cbranch_execz .LBB88_98
; %bb.89:
	s_and_not1_b32 vcc_lo, exec_lo, s2
	s_cbranch_vccnz .LBB88_91
; %bb.90:
	scratch_load_b64 v[51:52], v55, off
	ds_load_b64 v[63:64], v54
	s_waitcnt vmcnt(0) lgkmcnt(0)
	v_mul_f64 v[51:52], v[51:52], v[63:64]
	s_cbranch_execz .LBB88_92
	s_branch .LBB88_93
.LBB88_91:
                                        ; implicit-def: $vgpr51_vgpr52
.LBB88_92:
	ds_load_b64 v[51:52], v54
.LBB88_93:
	s_and_saveexec_b32 s4, s1
	s_cbranch_execz .LBB88_97
; %bb.94:
	v_dual_mov_b32 v63, 0 :: v_dual_add_nc_u32 v64, -15, v0
	s_movk_i32 s5, 0x148
	s_mov_b32 s1, 0
	s_delay_alu instid0(VALU_DEP_1)
	v_add_nc_u32_e32 v63, 0x78, v63
.LBB88_95:                              ; =>This Inner Loop Header: Depth=1
	scratch_load_b64 v[65:66], v63, off
	v_dual_mov_b32 v67, s5 :: v_dual_add_nc_u32 v64, -1, v64
	v_add_nc_u32_e32 v63, 8, v63
	s_add_i32 s5, s5, 8
	ds_load_b64 v[67:68], v67
	v_cmp_eq_u32_e32 vcc_lo, 0, v64
	s_or_b32 s1, vcc_lo, s1
	s_waitcnt vmcnt(0) lgkmcnt(0)
	v_fma_f64 v[51:52], v[65:66], v[67:68], v[51:52]
	s_and_not1_b32 exec_lo, exec_lo, s1
	s_cbranch_execnz .LBB88_95
; %bb.96:
	s_or_b32 exec_lo, exec_lo, s1
.LBB88_97:
	s_delay_alu instid0(SALU_CYCLE_1)
	s_or_b32 exec_lo, exec_lo, s4
	v_mov_b32_e32 v63, 0
	ds_load_b64 v[63:64], v63 offset:112
	s_waitcnt lgkmcnt(0)
	v_mul_f64 v[51:52], v[51:52], v[63:64]
	scratch_store_b64 off, v[51:52], off offset:112
.LBB88_98:
	s_or_b32 exec_lo, exec_lo, s3
	scratch_load_b64 v[51:52], off, off offset:104
	v_cmp_lt_u32_e64 s1, 13, v0
	s_waitcnt vmcnt(0)
	ds_store_b64 v54, v[51:52]
	s_waitcnt lgkmcnt(0)
	s_waitcnt_vscnt null, 0x0
	s_barrier
	buffer_gl0_inv
	s_and_saveexec_b32 s3, s1
	s_cbranch_execz .LBB88_108
; %bb.99:
	s_and_not1_b32 vcc_lo, exec_lo, s2
	s_cbranch_vccnz .LBB88_101
; %bb.100:
	scratch_load_b64 v[51:52], v55, off
	ds_load_b64 v[63:64], v54
	s_waitcnt vmcnt(0) lgkmcnt(0)
	v_mul_f64 v[51:52], v[51:52], v[63:64]
	s_cbranch_execz .LBB88_102
	s_branch .LBB88_103
.LBB88_101:
                                        ; implicit-def: $vgpr51_vgpr52
.LBB88_102:
	ds_load_b64 v[51:52], v54
.LBB88_103:
	s_and_saveexec_b32 s4, s0
	s_cbranch_execz .LBB88_107
; %bb.104:
	v_add_nc_u32_e32 v63, -14, v0
	s_movk_i32 s5, 0x140
	s_mov_b32 s0, 0
.LBB88_105:                             ; =>This Inner Loop Header: Depth=1
	scratch_load_b64 v[64:65], v62, off
	v_dual_mov_b32 v66, s5 :: v_dual_add_nc_u32 v63, -1, v63
	v_add_nc_u32_e32 v62, 8, v62
	s_add_i32 s5, s5, 8
	ds_load_b64 v[66:67], v66
	v_cmp_eq_u32_e32 vcc_lo, 0, v63
	s_or_b32 s0, vcc_lo, s0
	s_waitcnt vmcnt(0) lgkmcnt(0)
	v_fma_f64 v[51:52], v[64:65], v[66:67], v[51:52]
	s_and_not1_b32 exec_lo, exec_lo, s0
	s_cbranch_execnz .LBB88_105
; %bb.106:
	s_or_b32 exec_lo, exec_lo, s0
.LBB88_107:
	s_delay_alu instid0(SALU_CYCLE_1)
	s_or_b32 exec_lo, exec_lo, s4
	v_mov_b32_e32 v62, 0
	ds_load_b64 v[62:63], v62 offset:104
	s_waitcnt lgkmcnt(0)
	v_mul_f64 v[51:52], v[51:52], v[62:63]
	scratch_store_b64 off, v[51:52], off offset:104
.LBB88_108:
	s_or_b32 exec_lo, exec_lo, s3
	scratch_load_b64 v[51:52], off, off offset:96
	v_cmp_lt_u32_e64 s0, 12, v0
	s_waitcnt vmcnt(0)
	ds_store_b64 v54, v[51:52]
	s_waitcnt lgkmcnt(0)
	s_waitcnt_vscnt null, 0x0
	s_barrier
	buffer_gl0_inv
	s_and_saveexec_b32 s3, s0
	s_cbranch_execz .LBB88_118
; %bb.109:
	s_and_not1_b32 vcc_lo, exec_lo, s2
	s_cbranch_vccnz .LBB88_111
; %bb.110:
	scratch_load_b64 v[51:52], v55, off
	ds_load_b64 v[62:63], v54
	s_waitcnt vmcnt(0) lgkmcnt(0)
	v_mul_f64 v[51:52], v[51:52], v[62:63]
	s_cbranch_execz .LBB88_112
	s_branch .LBB88_113
.LBB88_111:
                                        ; implicit-def: $vgpr51_vgpr52
.LBB88_112:
	ds_load_b64 v[51:52], v54
.LBB88_113:
	s_and_saveexec_b32 s4, s1
	s_cbranch_execz .LBB88_117
; %bb.114:
	v_dual_mov_b32 v62, 0 :: v_dual_add_nc_u32 v63, -13, v0
	s_movk_i32 s5, 0x138
	s_mov_b32 s1, 0
	s_delay_alu instid0(VALU_DEP_1)
	v_add_nc_u32_e32 v62, 0x68, v62
.LBB88_115:                             ; =>This Inner Loop Header: Depth=1
	scratch_load_b64 v[64:65], v62, off
	v_dual_mov_b32 v66, s5 :: v_dual_add_nc_u32 v63, -1, v63
	v_add_nc_u32_e32 v62, 8, v62
	s_add_i32 s5, s5, 8
	ds_load_b64 v[66:67], v66
	v_cmp_eq_u32_e32 vcc_lo, 0, v63
	s_or_b32 s1, vcc_lo, s1
	s_waitcnt vmcnt(0) lgkmcnt(0)
	v_fma_f64 v[51:52], v[64:65], v[66:67], v[51:52]
	s_and_not1_b32 exec_lo, exec_lo, s1
	s_cbranch_execnz .LBB88_115
; %bb.116:
	s_or_b32 exec_lo, exec_lo, s1
.LBB88_117:
	s_delay_alu instid0(SALU_CYCLE_1)
	s_or_b32 exec_lo, exec_lo, s4
	v_mov_b32_e32 v62, 0
	ds_load_b64 v[62:63], v62 offset:96
	s_waitcnt lgkmcnt(0)
	v_mul_f64 v[51:52], v[51:52], v[62:63]
	scratch_store_b64 off, v[51:52], off offset:96
.LBB88_118:
	s_or_b32 exec_lo, exec_lo, s3
	scratch_load_b64 v[51:52], off, off offset:88
	v_cmp_lt_u32_e64 s1, 11, v0
	s_waitcnt vmcnt(0)
	ds_store_b64 v54, v[51:52]
	s_waitcnt lgkmcnt(0)
	s_waitcnt_vscnt null, 0x0
	s_barrier
	buffer_gl0_inv
	s_and_saveexec_b32 s3, s1
	s_cbranch_execz .LBB88_128
; %bb.119:
	s_and_not1_b32 vcc_lo, exec_lo, s2
	s_cbranch_vccnz .LBB88_121
; %bb.120:
	scratch_load_b64 v[51:52], v55, off
	ds_load_b64 v[62:63], v54
	s_waitcnt vmcnt(0) lgkmcnt(0)
	v_mul_f64 v[51:52], v[51:52], v[62:63]
	s_cbranch_execz .LBB88_122
	s_branch .LBB88_123
.LBB88_121:
                                        ; implicit-def: $vgpr51_vgpr52
.LBB88_122:
	ds_load_b64 v[51:52], v54
.LBB88_123:
	s_and_saveexec_b32 s4, s0
	s_cbranch_execz .LBB88_127
; %bb.124:
	v_add_nc_u32_e32 v62, -12, v0
	s_movk_i32 s5, 0x130
	s_mov_b32 s0, 0
.LBB88_125:                             ; =>This Inner Loop Header: Depth=1
	scratch_load_b64 v[63:64], v61, off
	v_dual_mov_b32 v65, s5 :: v_dual_add_nc_u32 v62, -1, v62
	v_add_nc_u32_e32 v61, 8, v61
	s_add_i32 s5, s5, 8
	ds_load_b64 v[65:66], v65
	v_cmp_eq_u32_e32 vcc_lo, 0, v62
	s_or_b32 s0, vcc_lo, s0
	s_waitcnt vmcnt(0) lgkmcnt(0)
	v_fma_f64 v[51:52], v[63:64], v[65:66], v[51:52]
	s_and_not1_b32 exec_lo, exec_lo, s0
	s_cbranch_execnz .LBB88_125
; %bb.126:
	s_or_b32 exec_lo, exec_lo, s0
.LBB88_127:
	s_delay_alu instid0(SALU_CYCLE_1)
	s_or_b32 exec_lo, exec_lo, s4
	v_mov_b32_e32 v61, 0
	ds_load_b64 v[61:62], v61 offset:88
	s_waitcnt lgkmcnt(0)
	v_mul_f64 v[51:52], v[51:52], v[61:62]
	scratch_store_b64 off, v[51:52], off offset:88
.LBB88_128:
	s_or_b32 exec_lo, exec_lo, s3
	scratch_load_b64 v[51:52], off, off offset:80
	v_cmp_lt_u32_e64 s0, 10, v0
	s_waitcnt vmcnt(0)
	ds_store_b64 v54, v[51:52]
	s_waitcnt lgkmcnt(0)
	s_waitcnt_vscnt null, 0x0
	s_barrier
	buffer_gl0_inv
	s_and_saveexec_b32 s3, s0
	s_cbranch_execz .LBB88_138
; %bb.129:
	s_and_not1_b32 vcc_lo, exec_lo, s2
	s_cbranch_vccnz .LBB88_131
; %bb.130:
	scratch_load_b64 v[51:52], v55, off
	ds_load_b64 v[61:62], v54
	s_waitcnt vmcnt(0) lgkmcnt(0)
	v_mul_f64 v[51:52], v[51:52], v[61:62]
	s_cbranch_execz .LBB88_132
	s_branch .LBB88_133
.LBB88_131:
                                        ; implicit-def: $vgpr51_vgpr52
.LBB88_132:
	ds_load_b64 v[51:52], v54
.LBB88_133:
	s_and_saveexec_b32 s4, s1
	s_cbranch_execz .LBB88_137
; %bb.134:
	v_dual_mov_b32 v61, 0 :: v_dual_add_nc_u32 v62, -11, v0
	s_movk_i32 s5, 0x128
	s_mov_b32 s1, 0
	s_delay_alu instid0(VALU_DEP_1)
	v_add_nc_u32_e32 v61, 0x58, v61
.LBB88_135:                             ; =>This Inner Loop Header: Depth=1
	scratch_load_b64 v[63:64], v61, off
	v_dual_mov_b32 v65, s5 :: v_dual_add_nc_u32 v62, -1, v62
	v_add_nc_u32_e32 v61, 8, v61
	s_add_i32 s5, s5, 8
	ds_load_b64 v[65:66], v65
	v_cmp_eq_u32_e32 vcc_lo, 0, v62
	s_or_b32 s1, vcc_lo, s1
	s_waitcnt vmcnt(0) lgkmcnt(0)
	v_fma_f64 v[51:52], v[63:64], v[65:66], v[51:52]
	s_and_not1_b32 exec_lo, exec_lo, s1
	s_cbranch_execnz .LBB88_135
; %bb.136:
	s_or_b32 exec_lo, exec_lo, s1
.LBB88_137:
	s_delay_alu instid0(SALU_CYCLE_1)
	s_or_b32 exec_lo, exec_lo, s4
	v_mov_b32_e32 v61, 0
	ds_load_b64 v[61:62], v61 offset:80
	s_waitcnt lgkmcnt(0)
	v_mul_f64 v[51:52], v[51:52], v[61:62]
	scratch_store_b64 off, v[51:52], off offset:80
.LBB88_138:
	s_or_b32 exec_lo, exec_lo, s3
	scratch_load_b64 v[51:52], off, off offset:72
	v_cmp_lt_u32_e64 s1, 9, v0
	s_waitcnt vmcnt(0)
	ds_store_b64 v54, v[51:52]
	s_waitcnt lgkmcnt(0)
	s_waitcnt_vscnt null, 0x0
	s_barrier
	buffer_gl0_inv
	s_and_saveexec_b32 s3, s1
	s_cbranch_execz .LBB88_148
; %bb.139:
	s_and_not1_b32 vcc_lo, exec_lo, s2
	s_cbranch_vccnz .LBB88_141
; %bb.140:
	scratch_load_b64 v[51:52], v55, off
	ds_load_b64 v[61:62], v54
	s_waitcnt vmcnt(0) lgkmcnt(0)
	v_mul_f64 v[51:52], v[51:52], v[61:62]
	s_cbranch_execz .LBB88_142
	s_branch .LBB88_143
.LBB88_141:
                                        ; implicit-def: $vgpr51_vgpr52
.LBB88_142:
	ds_load_b64 v[51:52], v54
.LBB88_143:
	s_and_saveexec_b32 s4, s0
	s_cbranch_execz .LBB88_147
; %bb.144:
	v_add_nc_u32_e32 v61, -10, v0
	s_movk_i32 s5, 0x120
	s_mov_b32 s0, 0
.LBB88_145:                             ; =>This Inner Loop Header: Depth=1
	scratch_load_b64 v[62:63], v60, off
	v_dual_mov_b32 v64, s5 :: v_dual_add_nc_u32 v61, -1, v61
	v_add_nc_u32_e32 v60, 8, v60
	s_add_i32 s5, s5, 8
	ds_load_b64 v[64:65], v64
	v_cmp_eq_u32_e32 vcc_lo, 0, v61
	s_or_b32 s0, vcc_lo, s0
	s_waitcnt vmcnt(0) lgkmcnt(0)
	v_fma_f64 v[51:52], v[62:63], v[64:65], v[51:52]
	s_and_not1_b32 exec_lo, exec_lo, s0
	s_cbranch_execnz .LBB88_145
; %bb.146:
	s_or_b32 exec_lo, exec_lo, s0
.LBB88_147:
	s_delay_alu instid0(SALU_CYCLE_1)
	s_or_b32 exec_lo, exec_lo, s4
	v_mov_b32_e32 v60, 0
	ds_load_b64 v[60:61], v60 offset:72
	s_waitcnt lgkmcnt(0)
	v_mul_f64 v[51:52], v[51:52], v[60:61]
	scratch_store_b64 off, v[51:52], off offset:72
.LBB88_148:
	s_or_b32 exec_lo, exec_lo, s3
	scratch_load_b64 v[51:52], off, off offset:64
	v_cmp_lt_u32_e64 s0, 8, v0
	s_waitcnt vmcnt(0)
	ds_store_b64 v54, v[51:52]
	s_waitcnt lgkmcnt(0)
	s_waitcnt_vscnt null, 0x0
	s_barrier
	buffer_gl0_inv
	s_and_saveexec_b32 s3, s0
	s_cbranch_execz .LBB88_158
; %bb.149:
	s_and_not1_b32 vcc_lo, exec_lo, s2
	s_cbranch_vccnz .LBB88_151
; %bb.150:
	scratch_load_b64 v[51:52], v55, off
	ds_load_b64 v[60:61], v54
	s_waitcnt vmcnt(0) lgkmcnt(0)
	v_mul_f64 v[51:52], v[51:52], v[60:61]
	s_cbranch_execz .LBB88_152
	s_branch .LBB88_153
.LBB88_151:
                                        ; implicit-def: $vgpr51_vgpr52
.LBB88_152:
	ds_load_b64 v[51:52], v54
.LBB88_153:
	s_and_saveexec_b32 s4, s1
	s_cbranch_execz .LBB88_157
; %bb.154:
	v_dual_mov_b32 v60, 0 :: v_dual_add_nc_u32 v61, -9, v0
	s_movk_i32 s5, 0x118
	s_mov_b32 s1, 0
	s_delay_alu instid0(VALU_DEP_1)
	v_add_nc_u32_e32 v60, 0x48, v60
.LBB88_155:                             ; =>This Inner Loop Header: Depth=1
	scratch_load_b64 v[62:63], v60, off
	v_dual_mov_b32 v64, s5 :: v_dual_add_nc_u32 v61, -1, v61
	v_add_nc_u32_e32 v60, 8, v60
	s_add_i32 s5, s5, 8
	ds_load_b64 v[64:65], v64
	v_cmp_eq_u32_e32 vcc_lo, 0, v61
	s_or_b32 s1, vcc_lo, s1
	s_waitcnt vmcnt(0) lgkmcnt(0)
	v_fma_f64 v[51:52], v[62:63], v[64:65], v[51:52]
	s_and_not1_b32 exec_lo, exec_lo, s1
	s_cbranch_execnz .LBB88_155
; %bb.156:
	s_or_b32 exec_lo, exec_lo, s1
.LBB88_157:
	s_delay_alu instid0(SALU_CYCLE_1)
	s_or_b32 exec_lo, exec_lo, s4
	v_mov_b32_e32 v60, 0
	ds_load_b64 v[60:61], v60 offset:64
	s_waitcnt lgkmcnt(0)
	v_mul_f64 v[51:52], v[51:52], v[60:61]
	scratch_store_b64 off, v[51:52], off offset:64
.LBB88_158:
	s_or_b32 exec_lo, exec_lo, s3
	scratch_load_b64 v[51:52], off, off offset:56
	v_cmp_lt_u32_e64 s1, 7, v0
	s_waitcnt vmcnt(0)
	ds_store_b64 v54, v[51:52]
	s_waitcnt lgkmcnt(0)
	s_waitcnt_vscnt null, 0x0
	s_barrier
	buffer_gl0_inv
	s_and_saveexec_b32 s3, s1
	s_cbranch_execz .LBB88_168
; %bb.159:
	s_and_not1_b32 vcc_lo, exec_lo, s2
	s_cbranch_vccnz .LBB88_161
; %bb.160:
	scratch_load_b64 v[51:52], v55, off
	ds_load_b64 v[60:61], v54
	s_waitcnt vmcnt(0) lgkmcnt(0)
	v_mul_f64 v[51:52], v[51:52], v[60:61]
	s_cbranch_execz .LBB88_162
	s_branch .LBB88_163
.LBB88_161:
                                        ; implicit-def: $vgpr51_vgpr52
.LBB88_162:
	ds_load_b64 v[51:52], v54
.LBB88_163:
	s_and_saveexec_b32 s4, s0
	s_cbranch_execz .LBB88_167
; %bb.164:
	v_add_nc_u32_e32 v60, -8, v0
	s_movk_i32 s5, 0x110
	s_mov_b32 s0, 0
.LBB88_165:                             ; =>This Inner Loop Header: Depth=1
	scratch_load_b64 v[61:62], v59, off
	v_dual_mov_b32 v63, s5 :: v_dual_add_nc_u32 v60, -1, v60
	v_add_nc_u32_e32 v59, 8, v59
	s_add_i32 s5, s5, 8
	ds_load_b64 v[63:64], v63
	v_cmp_eq_u32_e32 vcc_lo, 0, v60
	s_or_b32 s0, vcc_lo, s0
	s_waitcnt vmcnt(0) lgkmcnt(0)
	v_fma_f64 v[51:52], v[61:62], v[63:64], v[51:52]
	s_and_not1_b32 exec_lo, exec_lo, s0
	s_cbranch_execnz .LBB88_165
; %bb.166:
	s_or_b32 exec_lo, exec_lo, s0
.LBB88_167:
	s_delay_alu instid0(SALU_CYCLE_1)
	s_or_b32 exec_lo, exec_lo, s4
	v_mov_b32_e32 v59, 0
	ds_load_b64 v[59:60], v59 offset:56
	s_waitcnt lgkmcnt(0)
	v_mul_f64 v[51:52], v[51:52], v[59:60]
	scratch_store_b64 off, v[51:52], off offset:56
.LBB88_168:
	s_or_b32 exec_lo, exec_lo, s3
	scratch_load_b64 v[51:52], off, off offset:48
	v_cmp_lt_u32_e64 s0, 6, v0
	s_waitcnt vmcnt(0)
	ds_store_b64 v54, v[51:52]
	s_waitcnt lgkmcnt(0)
	s_waitcnt_vscnt null, 0x0
	s_barrier
	buffer_gl0_inv
	s_and_saveexec_b32 s3, s0
	s_cbranch_execz .LBB88_178
; %bb.169:
	s_and_not1_b32 vcc_lo, exec_lo, s2
	s_cbranch_vccnz .LBB88_171
; %bb.170:
	scratch_load_b64 v[51:52], v55, off
	ds_load_b64 v[59:60], v54
	s_waitcnt vmcnt(0) lgkmcnt(0)
	v_mul_f64 v[51:52], v[51:52], v[59:60]
	s_cbranch_execz .LBB88_172
	s_branch .LBB88_173
.LBB88_171:
                                        ; implicit-def: $vgpr51_vgpr52
.LBB88_172:
	ds_load_b64 v[51:52], v54
.LBB88_173:
	s_and_saveexec_b32 s4, s1
	s_cbranch_execz .LBB88_177
; %bb.174:
	v_add_nc_u32_e64 v59, 0, 56
	v_add_nc_u32_e32 v60, -7, v0
	s_movk_i32 s5, 0x108
	s_mov_b32 s1, 0
.LBB88_175:                             ; =>This Inner Loop Header: Depth=1
	scratch_load_b64 v[61:62], v59, off
	v_dual_mov_b32 v63, s5 :: v_dual_add_nc_u32 v60, -1, v60
	v_add_nc_u32_e32 v59, 8, v59
	s_add_i32 s5, s5, 8
	ds_load_b64 v[63:64], v63
	v_cmp_eq_u32_e32 vcc_lo, 0, v60
	s_or_b32 s1, vcc_lo, s1
	s_waitcnt vmcnt(0) lgkmcnt(0)
	v_fma_f64 v[51:52], v[61:62], v[63:64], v[51:52]
	s_and_not1_b32 exec_lo, exec_lo, s1
	s_cbranch_execnz .LBB88_175
; %bb.176:
	s_or_b32 exec_lo, exec_lo, s1
.LBB88_177:
	s_delay_alu instid0(SALU_CYCLE_1)
	s_or_b32 exec_lo, exec_lo, s4
	v_mov_b32_e32 v59, 0
	ds_load_b64 v[59:60], v59 offset:48
	s_waitcnt lgkmcnt(0)
	v_mul_f64 v[51:52], v[51:52], v[59:60]
	scratch_store_b64 off, v[51:52], off offset:48
.LBB88_178:
	s_or_b32 exec_lo, exec_lo, s3
	scratch_load_b64 v[51:52], off, off offset:40
	v_cmp_lt_u32_e64 s1, 5, v0
	s_waitcnt vmcnt(0)
	ds_store_b64 v54, v[51:52]
	s_waitcnt lgkmcnt(0)
	s_waitcnt_vscnt null, 0x0
	s_barrier
	buffer_gl0_inv
	s_and_saveexec_b32 s3, s1
	s_cbranch_execz .LBB88_188
; %bb.179:
	s_and_not1_b32 vcc_lo, exec_lo, s2
	s_cbranch_vccnz .LBB88_181
; %bb.180:
	scratch_load_b64 v[51:52], v55, off
	ds_load_b64 v[59:60], v54
	s_waitcnt vmcnt(0) lgkmcnt(0)
	v_mul_f64 v[51:52], v[51:52], v[59:60]
	s_cbranch_execz .LBB88_182
	s_branch .LBB88_183
.LBB88_181:
                                        ; implicit-def: $vgpr51_vgpr52
.LBB88_182:
	ds_load_b64 v[51:52], v54
.LBB88_183:
	s_and_saveexec_b32 s4, s0
	s_cbranch_execz .LBB88_187
; %bb.184:
	v_add_nc_u32_e32 v59, -6, v0
	s_movk_i32 s5, 0x100
	s_mov_b32 s0, 0
.LBB88_185:                             ; =>This Inner Loop Header: Depth=1
	scratch_load_b64 v[60:61], v58, off
	v_dual_mov_b32 v62, s5 :: v_dual_add_nc_u32 v59, -1, v59
	v_add_nc_u32_e32 v58, 8, v58
	s_add_i32 s5, s5, 8
	ds_load_b64 v[62:63], v62
	v_cmp_eq_u32_e32 vcc_lo, 0, v59
	s_or_b32 s0, vcc_lo, s0
	s_waitcnt vmcnt(0) lgkmcnt(0)
	v_fma_f64 v[51:52], v[60:61], v[62:63], v[51:52]
	s_and_not1_b32 exec_lo, exec_lo, s0
	s_cbranch_execnz .LBB88_185
; %bb.186:
	s_or_b32 exec_lo, exec_lo, s0
.LBB88_187:
	s_delay_alu instid0(SALU_CYCLE_1)
	s_or_b32 exec_lo, exec_lo, s4
	v_mov_b32_e32 v58, 0
	ds_load_b64 v[58:59], v58 offset:40
	s_waitcnt lgkmcnt(0)
	v_mul_f64 v[51:52], v[51:52], v[58:59]
	scratch_store_b64 off, v[51:52], off offset:40
.LBB88_188:
	s_or_b32 exec_lo, exec_lo, s3
	scratch_load_b64 v[51:52], off, off offset:32
	v_cmp_lt_u32_e64 s0, 4, v0
	s_waitcnt vmcnt(0)
	ds_store_b64 v54, v[51:52]
	s_waitcnt lgkmcnt(0)
	s_waitcnt_vscnt null, 0x0
	s_barrier
	buffer_gl0_inv
	s_and_saveexec_b32 s3, s0
	s_cbranch_execz .LBB88_198
; %bb.189:
	s_and_not1_b32 vcc_lo, exec_lo, s2
	s_cbranch_vccnz .LBB88_191
; %bb.190:
	scratch_load_b64 v[51:52], v55, off
	ds_load_b64 v[58:59], v54
	s_waitcnt vmcnt(0) lgkmcnt(0)
	v_mul_f64 v[51:52], v[51:52], v[58:59]
	s_cbranch_execz .LBB88_192
	s_branch .LBB88_193
.LBB88_191:
                                        ; implicit-def: $vgpr51_vgpr52
.LBB88_192:
	ds_load_b64 v[51:52], v54
.LBB88_193:
	s_and_saveexec_b32 s4, s1
	s_cbranch_execz .LBB88_197
; %bb.194:
	v_add_nc_u32_e64 v58, 0, 40
	v_add_nc_u32_e32 v59, -5, v0
	s_movk_i32 s5, 0xf8
	s_mov_b32 s1, 0
.LBB88_195:                             ; =>This Inner Loop Header: Depth=1
	scratch_load_b64 v[60:61], v58, off
	v_dual_mov_b32 v62, s5 :: v_dual_add_nc_u32 v59, -1, v59
	v_add_nc_u32_e32 v58, 8, v58
	s_add_i32 s5, s5, 8
	ds_load_b64 v[62:63], v62
	v_cmp_eq_u32_e32 vcc_lo, 0, v59
	s_or_b32 s1, vcc_lo, s1
	s_waitcnt vmcnt(0) lgkmcnt(0)
	v_fma_f64 v[51:52], v[60:61], v[62:63], v[51:52]
	s_and_not1_b32 exec_lo, exec_lo, s1
	s_cbranch_execnz .LBB88_195
; %bb.196:
	s_or_b32 exec_lo, exec_lo, s1
.LBB88_197:
	s_delay_alu instid0(SALU_CYCLE_1)
	s_or_b32 exec_lo, exec_lo, s4
	v_mov_b32_e32 v58, 0
	ds_load_b64 v[58:59], v58 offset:32
	s_waitcnt lgkmcnt(0)
	v_mul_f64 v[51:52], v[51:52], v[58:59]
	scratch_store_b64 off, v[51:52], off offset:32
.LBB88_198:
	s_or_b32 exec_lo, exec_lo, s3
	scratch_load_b64 v[51:52], off, off offset:24
	v_cmp_lt_u32_e64 s1, 3, v0
	s_waitcnt vmcnt(0)
	ds_store_b64 v54, v[51:52]
	s_waitcnt lgkmcnt(0)
	s_waitcnt_vscnt null, 0x0
	s_barrier
	buffer_gl0_inv
	s_and_saveexec_b32 s3, s1
	s_cbranch_execz .LBB88_208
; %bb.199:
	s_and_not1_b32 vcc_lo, exec_lo, s2
	s_cbranch_vccnz .LBB88_201
; %bb.200:
	scratch_load_b64 v[51:52], v55, off
	ds_load_b64 v[58:59], v54
	s_waitcnt vmcnt(0) lgkmcnt(0)
	v_mul_f64 v[51:52], v[51:52], v[58:59]
	s_cbranch_execz .LBB88_202
	s_branch .LBB88_203
.LBB88_201:
                                        ; implicit-def: $vgpr51_vgpr52
.LBB88_202:
	ds_load_b64 v[51:52], v54
.LBB88_203:
	s_and_saveexec_b32 s4, s0
	s_cbranch_execz .LBB88_207
; %bb.204:
	v_add_nc_u32_e32 v58, -4, v0
	s_movk_i32 s5, 0xf0
	s_mov_b32 s0, 0
.LBB88_205:                             ; =>This Inner Loop Header: Depth=1
	scratch_load_b64 v[59:60], v57, off
	v_dual_mov_b32 v61, s5 :: v_dual_add_nc_u32 v58, -1, v58
	v_add_nc_u32_e32 v57, 8, v57
	s_add_i32 s5, s5, 8
	ds_load_b64 v[61:62], v61
	v_cmp_eq_u32_e32 vcc_lo, 0, v58
	s_or_b32 s0, vcc_lo, s0
	s_waitcnt vmcnt(0) lgkmcnt(0)
	v_fma_f64 v[51:52], v[59:60], v[61:62], v[51:52]
	s_and_not1_b32 exec_lo, exec_lo, s0
	s_cbranch_execnz .LBB88_205
; %bb.206:
	s_or_b32 exec_lo, exec_lo, s0
.LBB88_207:
	s_delay_alu instid0(SALU_CYCLE_1)
	s_or_b32 exec_lo, exec_lo, s4
	v_mov_b32_e32 v57, 0
	ds_load_b64 v[57:58], v57 offset:24
	s_waitcnt lgkmcnt(0)
	v_mul_f64 v[51:52], v[51:52], v[57:58]
	scratch_store_b64 off, v[51:52], off offset:24
.LBB88_208:
	s_or_b32 exec_lo, exec_lo, s3
	scratch_load_b64 v[51:52], off, off offset:16
	v_cmp_lt_u32_e64 s0, 2, v0
	s_waitcnt vmcnt(0)
	ds_store_b64 v54, v[51:52]
	s_waitcnt lgkmcnt(0)
	s_waitcnt_vscnt null, 0x0
	s_barrier
	buffer_gl0_inv
	s_and_saveexec_b32 s3, s0
	s_cbranch_execz .LBB88_218
; %bb.209:
	s_and_not1_b32 vcc_lo, exec_lo, s2
	s_cbranch_vccnz .LBB88_211
; %bb.210:
	scratch_load_b64 v[51:52], v55, off
	ds_load_b64 v[57:58], v54
	s_waitcnt vmcnt(0) lgkmcnt(0)
	v_mul_f64 v[51:52], v[51:52], v[57:58]
	s_cbranch_execz .LBB88_212
	s_branch .LBB88_213
.LBB88_211:
                                        ; implicit-def: $vgpr51_vgpr52
.LBB88_212:
	ds_load_b64 v[51:52], v54
.LBB88_213:
	s_and_saveexec_b32 s4, s1
	s_cbranch_execz .LBB88_217
; %bb.214:
	v_add_nc_u32_e64 v57, 0, 24
	v_add_nc_u32_e32 v58, -3, v0
	s_movk_i32 s5, 0xe8
	s_mov_b32 s1, 0
.LBB88_215:                             ; =>This Inner Loop Header: Depth=1
	scratch_load_b64 v[59:60], v57, off
	v_dual_mov_b32 v61, s5 :: v_dual_add_nc_u32 v58, -1, v58
	v_add_nc_u32_e32 v57, 8, v57
	s_add_i32 s5, s5, 8
	ds_load_b64 v[61:62], v61
	v_cmp_eq_u32_e32 vcc_lo, 0, v58
	s_or_b32 s1, vcc_lo, s1
	s_waitcnt vmcnt(0) lgkmcnt(0)
	v_fma_f64 v[51:52], v[59:60], v[61:62], v[51:52]
	s_and_not1_b32 exec_lo, exec_lo, s1
	s_cbranch_execnz .LBB88_215
; %bb.216:
	s_or_b32 exec_lo, exec_lo, s1
.LBB88_217:
	s_delay_alu instid0(SALU_CYCLE_1)
	s_or_b32 exec_lo, exec_lo, s4
	v_mov_b32_e32 v57, 0
	ds_load_b64 v[57:58], v57 offset:16
	s_waitcnt lgkmcnt(0)
	v_mul_f64 v[51:52], v[51:52], v[57:58]
	scratch_store_b64 off, v[51:52], off offset:16
.LBB88_218:
	s_or_b32 exec_lo, exec_lo, s3
	scratch_load_b64 v[51:52], off, off offset:8
	v_cmp_lt_u32_e64 s1, 1, v0
	s_waitcnt vmcnt(0)
	ds_store_b64 v54, v[51:52]
	s_waitcnt lgkmcnt(0)
	s_waitcnt_vscnt null, 0x0
	s_barrier
	buffer_gl0_inv
	s_and_saveexec_b32 s3, s1
	s_cbranch_execz .LBB88_228
; %bb.219:
	s_and_not1_b32 vcc_lo, exec_lo, s2
	s_cbranch_vccnz .LBB88_221
; %bb.220:
	scratch_load_b64 v[51:52], v55, off
	ds_load_b64 v[57:58], v54
	s_waitcnt vmcnt(0) lgkmcnt(0)
	v_mul_f64 v[51:52], v[51:52], v[57:58]
	s_cbranch_execz .LBB88_222
	s_branch .LBB88_223
.LBB88_221:
                                        ; implicit-def: $vgpr51_vgpr52
.LBB88_222:
	ds_load_b64 v[51:52], v54
.LBB88_223:
	s_and_saveexec_b32 s4, s0
	s_cbranch_execz .LBB88_227
; %bb.224:
	v_add_nc_u32_e32 v57, -2, v0
	s_movk_i32 s5, 0xe0
	s_mov_b32 s0, 0
.LBB88_225:                             ; =>This Inner Loop Header: Depth=1
	scratch_load_b64 v[58:59], v56, off
	v_dual_mov_b32 v60, s5 :: v_dual_add_nc_u32 v57, -1, v57
	v_add_nc_u32_e32 v56, 8, v56
	s_add_i32 s5, s5, 8
	ds_load_b64 v[60:61], v60
	v_cmp_eq_u32_e32 vcc_lo, 0, v57
	s_or_b32 s0, vcc_lo, s0
	s_waitcnt vmcnt(0) lgkmcnt(0)
	v_fma_f64 v[51:52], v[58:59], v[60:61], v[51:52]
	s_and_not1_b32 exec_lo, exec_lo, s0
	s_cbranch_execnz .LBB88_225
; %bb.226:
	s_or_b32 exec_lo, exec_lo, s0
.LBB88_227:
	s_delay_alu instid0(SALU_CYCLE_1)
	s_or_b32 exec_lo, exec_lo, s4
	v_mov_b32_e32 v56, 0
	ds_load_b64 v[56:57], v56 offset:8
	s_waitcnt lgkmcnt(0)
	v_mul_f64 v[51:52], v[51:52], v[56:57]
	scratch_store_b64 off, v[51:52], off offset:8
.LBB88_228:
	s_or_b32 exec_lo, exec_lo, s3
	scratch_load_b64 v[51:52], off, off
	s_mov_b32 s0, 0
	s_mov_b32 s3, exec_lo
	s_waitcnt vmcnt(0)
	ds_store_b64 v54, v[51:52]
	s_waitcnt lgkmcnt(0)
	s_waitcnt_vscnt null, 0x0
	s_barrier
	buffer_gl0_inv
	v_cmpx_ne_u32_e32 0, v0
	s_cbranch_execz .LBB88_238
; %bb.229:
	s_and_not1_b32 vcc_lo, exec_lo, s2
	s_cbranch_vccnz .LBB88_231
; %bb.230:
	scratch_load_b64 v[51:52], v55, off
	ds_load_b64 v[56:57], v54
	s_waitcnt vmcnt(0) lgkmcnt(0)
	v_mul_f64 v[51:52], v[51:52], v[56:57]
	s_cbranch_execz .LBB88_232
	s_branch .LBB88_233
.LBB88_231:
                                        ; implicit-def: $vgpr51_vgpr52
.LBB88_232:
	ds_load_b64 v[51:52], v54
.LBB88_233:
	s_and_saveexec_b32 s4, s1
	s_cbranch_execz .LBB88_237
; %bb.234:
	v_or_b32_e64 v56, 0, 8
	v_add_nc_u32_e32 v57, -1, v0
	s_movk_i32 s5, 0xd8
	s_mov_b32 s1, 0
.LBB88_235:                             ; =>This Inner Loop Header: Depth=1
	scratch_load_b64 v[58:59], v56, off
	v_dual_mov_b32 v60, s5 :: v_dual_add_nc_u32 v57, -1, v57
	v_add_nc_u32_e32 v56, 8, v56
	s_add_i32 s5, s5, 8
	ds_load_b64 v[60:61], v60
	v_cmp_eq_u32_e32 vcc_lo, 0, v57
	s_or_b32 s1, vcc_lo, s1
	s_waitcnt vmcnt(0) lgkmcnt(0)
	v_fma_f64 v[51:52], v[58:59], v[60:61], v[51:52]
	s_and_not1_b32 exec_lo, exec_lo, s1
	s_cbranch_execnz .LBB88_235
; %bb.236:
	s_or_b32 exec_lo, exec_lo, s1
.LBB88_237:
	s_delay_alu instid0(SALU_CYCLE_1)
	s_or_b32 exec_lo, exec_lo, s4
	v_mov_b32_e32 v56, 0
	ds_load_b64 v[56:57], v56
	s_waitcnt lgkmcnt(0)
	v_mul_f64 v[51:52], v[51:52], v[56:57]
	scratch_store_b64 off, v[51:52], off
.LBB88_238:
	s_or_b32 exec_lo, exec_lo, s3
.LBB88_239:
	s_delay_alu instid0(SALU_CYCLE_1)
	s_and_b32 vcc_lo, exec_lo, s0
	s_cbranch_vccz .LBB88_475
; %bb.240:
	scratch_load_b64 v[51:52], off, off offset:8
	v_cmp_eq_u32_e64 s0, 0, v0
	s_waitcnt vmcnt(0)
	ds_store_b64 v54, v[51:52]
	s_waitcnt lgkmcnt(0)
	s_waitcnt_vscnt null, 0x0
	s_barrier
	buffer_gl0_inv
	s_and_saveexec_b32 s1, s0
	s_cbranch_execz .LBB88_246
; %bb.241:
	s_and_b32 vcc_lo, exec_lo, s2
	s_cbranch_vccz .LBB88_243
; %bb.242:
	scratch_load_b64 v[51:52], v55, off
	ds_load_b64 v[56:57], v54
	s_waitcnt vmcnt(0) lgkmcnt(0)
	v_mul_f64 v[51:52], v[51:52], v[56:57]
	s_cbranch_execz .LBB88_244
	s_branch .LBB88_245
.LBB88_243:
                                        ; implicit-def: $vgpr51_vgpr52
.LBB88_244:
	ds_load_b64 v[51:52], v54
.LBB88_245:
	v_mov_b32_e32 v56, 0
	ds_load_b64 v[56:57], v56 offset:8
	s_waitcnt lgkmcnt(0)
	v_mul_f64 v[51:52], v[51:52], v[56:57]
	scratch_store_b64 off, v[51:52], off offset:8
.LBB88_246:
	s_or_b32 exec_lo, exec_lo, s1
	scratch_load_b64 v[51:52], off, off offset:16
	v_cndmask_b32_e64 v56, 0, 1, s2
	s_mov_b32 s1, exec_lo
	s_waitcnt vmcnt(0)
	ds_store_b64 v54, v[51:52]
	s_waitcnt lgkmcnt(0)
	s_waitcnt_vscnt null, 0x0
	s_barrier
	buffer_gl0_inv
	v_cmpx_gt_u32_e32 2, v0
	s_cbranch_execz .LBB88_254
; %bb.247:
	s_and_not1_b32 vcc_lo, exec_lo, s2
	s_cbranch_vccnz .LBB88_249
; %bb.248:
	scratch_load_b64 v[51:52], v55, off
	ds_load_b64 v[57:58], v54
	s_waitcnt vmcnt(0) lgkmcnt(0)
	v_mul_f64 v[51:52], v[51:52], v[57:58]
	s_cbranch_execz .LBB88_250
	s_branch .LBB88_251
.LBB88_249:
                                        ; implicit-def: $vgpr51_vgpr52
.LBB88_250:
	ds_load_b64 v[51:52], v54
.LBB88_251:
	s_and_saveexec_b32 s2, s0
	s_cbranch_execz .LBB88_253
; %bb.252:
	scratch_load_b64 v[57:58], v55, off offset:8
	ds_load_b64 v[59:60], v54 offset:8
	s_waitcnt vmcnt(0) lgkmcnt(0)
	v_fma_f64 v[51:52], v[57:58], v[59:60], v[51:52]
.LBB88_253:
	s_or_b32 exec_lo, exec_lo, s2
	v_mov_b32_e32 v57, 0
	ds_load_b64 v[57:58], v57 offset:16
	s_waitcnt lgkmcnt(0)
	v_mul_f64 v[51:52], v[51:52], v[57:58]
	scratch_store_b64 off, v[51:52], off offset:16
.LBB88_254:
	s_or_b32 exec_lo, exec_lo, s1
	scratch_load_b64 v[51:52], off, off offset:24
	s_mov_b32 s1, exec_lo
	s_waitcnt vmcnt(0)
	ds_store_b64 v54, v[51:52]
	s_waitcnt lgkmcnt(0)
	s_waitcnt_vscnt null, 0x0
	s_barrier
	buffer_gl0_inv
	v_cmpx_gt_u32_e32 3, v0
	s_cbranch_execz .LBB88_264
; %bb.255:
	v_cmp_ne_u32_e32 vcc_lo, 1, v56
	s_cbranch_vccnz .LBB88_257
; %bb.256:
	scratch_load_b64 v[51:52], v55, off
	ds_load_b64 v[57:58], v54
	s_waitcnt vmcnt(0) lgkmcnt(0)
	v_mul_f64 v[51:52], v[51:52], v[57:58]
	s_cbranch_execz .LBB88_258
	s_branch .LBB88_259
.LBB88_257:
                                        ; implicit-def: $vgpr51_vgpr52
.LBB88_258:
	ds_load_b64 v[51:52], v54
.LBB88_259:
	s_mov_b32 s2, exec_lo
	v_cmpx_ne_u32_e32 2, v0
	s_cbranch_execz .LBB88_263
; %bb.260:
	scratch_load_b64 v[57:58], v55, off offset:8
	ds_load_b64 v[59:60], v54 offset:8
	s_waitcnt vmcnt(0) lgkmcnt(0)
	v_fma_f64 v[51:52], v[57:58], v[59:60], v[51:52]
	s_and_saveexec_b32 s3, s0
	s_cbranch_execz .LBB88_262
; %bb.261:
	scratch_load_b64 v[57:58], off, off offset:16
	v_mov_b32_e32 v59, 0
	ds_load_b64 v[59:60], v59 offset:224
	s_waitcnt vmcnt(0) lgkmcnt(0)
	v_fma_f64 v[51:52], v[57:58], v[59:60], v[51:52]
.LBB88_262:
	s_or_b32 exec_lo, exec_lo, s3
.LBB88_263:
	s_delay_alu instid0(SALU_CYCLE_1)
	s_or_b32 exec_lo, exec_lo, s2
	v_mov_b32_e32 v57, 0
	ds_load_b64 v[57:58], v57 offset:24
	s_waitcnt lgkmcnt(0)
	v_mul_f64 v[51:52], v[51:52], v[57:58]
	scratch_store_b64 off, v[51:52], off offset:24
.LBB88_264:
	s_or_b32 exec_lo, exec_lo, s1
	scratch_load_b64 v[51:52], off, off offset:32
	s_mov_b32 s0, exec_lo
	s_waitcnt vmcnt(0)
	ds_store_b64 v54, v[51:52]
	s_waitcnt lgkmcnt(0)
	s_waitcnt_vscnt null, 0x0
	s_barrier
	buffer_gl0_inv
	v_cmpx_gt_u32_e32 4, v0
	s_cbranch_execz .LBB88_274
; %bb.265:
	v_cmp_ne_u32_e32 vcc_lo, 1, v56
	s_cbranch_vccnz .LBB88_267
; %bb.266:
	scratch_load_b64 v[51:52], v55, off
	ds_load_b64 v[57:58], v54
	s_waitcnt vmcnt(0) lgkmcnt(0)
	v_mul_f64 v[51:52], v[51:52], v[57:58]
	s_cbranch_execz .LBB88_268
	s_branch .LBB88_269
.LBB88_267:
                                        ; implicit-def: $vgpr51_vgpr52
.LBB88_268:
	ds_load_b64 v[51:52], v54
.LBB88_269:
	s_mov_b32 s1, exec_lo
	v_cmpx_ne_u32_e32 3, v0
	s_cbranch_execz .LBB88_273
; %bb.270:
	v_add_nc_u32_e32 v57, 0xd8, v53
	v_add3_u32 v58, 0, v53, 8
	v_mov_b32_e32 v59, v0
	s_mov_b32 s2, 0
.LBB88_271:                             ; =>This Inner Loop Header: Depth=1
	scratch_load_b64 v[60:61], v58, off
	ds_load_b64 v[62:63], v57
	v_add_nc_u32_e32 v59, 1, v59
	v_add_nc_u32_e32 v57, 8, v57
	v_add_nc_u32_e32 v58, 8, v58
	s_delay_alu instid0(VALU_DEP_3)
	v_cmp_lt_u32_e32 vcc_lo, 2, v59
	s_or_b32 s2, vcc_lo, s2
	s_waitcnt vmcnt(0) lgkmcnt(0)
	v_fma_f64 v[51:52], v[60:61], v[62:63], v[51:52]
	s_and_not1_b32 exec_lo, exec_lo, s2
	s_cbranch_execnz .LBB88_271
; %bb.272:
	s_or_b32 exec_lo, exec_lo, s2
.LBB88_273:
	s_delay_alu instid0(SALU_CYCLE_1)
	s_or_b32 exec_lo, exec_lo, s1
	v_mov_b32_e32 v57, 0
	ds_load_b64 v[57:58], v57 offset:32
	s_waitcnt lgkmcnt(0)
	v_mul_f64 v[51:52], v[51:52], v[57:58]
	scratch_store_b64 off, v[51:52], off offset:32
.LBB88_274:
	s_or_b32 exec_lo, exec_lo, s0
	scratch_load_b64 v[51:52], off, off offset:40
	s_mov_b32 s0, exec_lo
	s_waitcnt vmcnt(0)
	ds_store_b64 v54, v[51:52]
	s_waitcnt lgkmcnt(0)
	s_waitcnt_vscnt null, 0x0
	s_barrier
	buffer_gl0_inv
	v_cmpx_gt_u32_e32 5, v0
	s_cbranch_execz .LBB88_284
; %bb.275:
	v_cmp_ne_u32_e32 vcc_lo, 1, v56
	s_cbranch_vccnz .LBB88_277
; %bb.276:
	scratch_load_b64 v[51:52], v55, off
	ds_load_b64 v[57:58], v54
	s_waitcnt vmcnt(0) lgkmcnt(0)
	v_mul_f64 v[51:52], v[51:52], v[57:58]
	s_cbranch_execz .LBB88_278
	s_branch .LBB88_279
.LBB88_277:
                                        ; implicit-def: $vgpr51_vgpr52
.LBB88_278:
	ds_load_b64 v[51:52], v54
.LBB88_279:
	s_mov_b32 s1, exec_lo
	v_cmpx_ne_u32_e32 4, v0
	s_cbranch_execz .LBB88_283
; %bb.280:
	v_add_nc_u32_e32 v57, 0xd8, v53
	v_add3_u32 v58, 0, v53, 8
	v_mov_b32_e32 v59, v0
	s_mov_b32 s2, 0
.LBB88_281:                             ; =>This Inner Loop Header: Depth=1
	scratch_load_b64 v[60:61], v58, off
	ds_load_b64 v[62:63], v57
	v_add_nc_u32_e32 v59, 1, v59
	v_add_nc_u32_e32 v57, 8, v57
	v_add_nc_u32_e32 v58, 8, v58
	s_delay_alu instid0(VALU_DEP_3)
	v_cmp_lt_u32_e32 vcc_lo, 3, v59
	s_or_b32 s2, vcc_lo, s2
	s_waitcnt vmcnt(0) lgkmcnt(0)
	v_fma_f64 v[51:52], v[60:61], v[62:63], v[51:52]
	s_and_not1_b32 exec_lo, exec_lo, s2
	s_cbranch_execnz .LBB88_281
; %bb.282:
	s_or_b32 exec_lo, exec_lo, s2
.LBB88_283:
	s_delay_alu instid0(SALU_CYCLE_1)
	s_or_b32 exec_lo, exec_lo, s1
	v_mov_b32_e32 v57, 0
	ds_load_b64 v[57:58], v57 offset:40
	s_waitcnt lgkmcnt(0)
	v_mul_f64 v[51:52], v[51:52], v[57:58]
	scratch_store_b64 off, v[51:52], off offset:40
.LBB88_284:
	;; [unrolled: 58-line block ×19, first 2 shown]
	s_or_b32 exec_lo, exec_lo, s0
	scratch_load_b64 v[51:52], off, off offset:184
	v_cmp_gt_u32_e64 s0, 23, v0
	s_waitcnt vmcnt(0)
	ds_store_b64 v54, v[51:52]
	s_waitcnt lgkmcnt(0)
	s_waitcnt_vscnt null, 0x0
	s_barrier
	buffer_gl0_inv
	s_and_saveexec_b32 s1, s0
	s_cbranch_execz .LBB88_464
; %bb.455:
	v_cmp_ne_u32_e32 vcc_lo, 1, v56
	s_cbranch_vccnz .LBB88_457
; %bb.456:
	scratch_load_b64 v[51:52], v55, off
	ds_load_b64 v[57:58], v54
	s_waitcnt vmcnt(0) lgkmcnt(0)
	v_mul_f64 v[51:52], v[51:52], v[57:58]
	s_cbranch_execz .LBB88_458
	s_branch .LBB88_459
.LBB88_457:
                                        ; implicit-def: $vgpr51_vgpr52
.LBB88_458:
	ds_load_b64 v[51:52], v54
.LBB88_459:
	s_mov_b32 s2, exec_lo
	v_cmpx_ne_u32_e32 22, v0
	s_cbranch_execz .LBB88_463
; %bb.460:
	v_add_nc_u32_e32 v57, 0xd8, v53
	v_add3_u32 v58, 0, v53, 8
	v_mov_b32_e32 v59, v0
	s_mov_b32 s3, 0
.LBB88_461:                             ; =>This Inner Loop Header: Depth=1
	scratch_load_b64 v[60:61], v58, off
	ds_load_b64 v[62:63], v57
	v_add_nc_u32_e32 v59, 1, v59
	v_add_nc_u32_e32 v57, 8, v57
	v_add_nc_u32_e32 v58, 8, v58
	s_delay_alu instid0(VALU_DEP_3)
	v_cmp_lt_u32_e32 vcc_lo, 21, v59
	s_or_b32 s3, vcc_lo, s3
	s_waitcnt vmcnt(0) lgkmcnt(0)
	v_fma_f64 v[51:52], v[60:61], v[62:63], v[51:52]
	s_and_not1_b32 exec_lo, exec_lo, s3
	s_cbranch_execnz .LBB88_461
; %bb.462:
	s_or_b32 exec_lo, exec_lo, s3
.LBB88_463:
	s_delay_alu instid0(SALU_CYCLE_1)
	s_or_b32 exec_lo, exec_lo, s2
	v_mov_b32_e32 v57, 0
	ds_load_b64 v[57:58], v57 offset:184
	s_waitcnt lgkmcnt(0)
	v_mul_f64 v[51:52], v[51:52], v[57:58]
	scratch_store_b64 off, v[51:52], off offset:184
.LBB88_464:
	s_or_b32 exec_lo, exec_lo, s1
	scratch_load_b64 v[51:52], off, off offset:192
	s_mov_b32 s1, exec_lo
	s_waitcnt vmcnt(0)
	ds_store_b64 v54, v[51:52]
	s_waitcnt lgkmcnt(0)
	s_waitcnt_vscnt null, 0x0
	s_barrier
	buffer_gl0_inv
	v_cmpx_ne_u32_e32 24, v0
	s_cbranch_execz .LBB88_474
; %bb.465:
	v_cmp_ne_u32_e32 vcc_lo, 1, v56
	s_cbranch_vccnz .LBB88_467
; %bb.466:
	scratch_load_b64 v[51:52], v55, off
	ds_load_b64 v[55:56], v54
	s_waitcnt vmcnt(0) lgkmcnt(0)
	v_mul_f64 v[51:52], v[51:52], v[55:56]
	s_cbranch_execz .LBB88_468
	s_branch .LBB88_469
.LBB88_467:
                                        ; implicit-def: $vgpr51_vgpr52
.LBB88_468:
	ds_load_b64 v[51:52], v54
.LBB88_469:
	s_and_saveexec_b32 s2, s0
	s_cbranch_execz .LBB88_473
; %bb.470:
	v_add_nc_u32_e32 v54, 0xd8, v53
	v_add3_u32 v53, 0, v53, 8
	s_mov_b32 s0, 0
.LBB88_471:                             ; =>This Inner Loop Header: Depth=1
	scratch_load_b64 v[55:56], v53, off
	ds_load_b64 v[57:58], v54
	v_add_nc_u32_e32 v0, 1, v0
	v_add_nc_u32_e32 v54, 8, v54
	;; [unrolled: 1-line block ×3, first 2 shown]
	s_delay_alu instid0(VALU_DEP_3)
	v_cmp_lt_u32_e32 vcc_lo, 22, v0
	s_or_b32 s0, vcc_lo, s0
	s_waitcnt vmcnt(0) lgkmcnt(0)
	v_fma_f64 v[51:52], v[55:56], v[57:58], v[51:52]
	s_and_not1_b32 exec_lo, exec_lo, s0
	s_cbranch_execnz .LBB88_471
; %bb.472:
	s_or_b32 exec_lo, exec_lo, s0
.LBB88_473:
	s_delay_alu instid0(SALU_CYCLE_1)
	s_or_b32 exec_lo, exec_lo, s2
	v_mov_b32_e32 v0, 0
	ds_load_b64 v[53:54], v0 offset:192
	s_waitcnt lgkmcnt(0)
	v_mul_f64 v[51:52], v[51:52], v[53:54]
	scratch_store_b64 off, v[51:52], off offset:192
.LBB88_474:
	s_or_b32 exec_lo, exec_lo, s1
.LBB88_475:
	s_clause 0xa
	scratch_load_b128 v[51:54], off, off
	scratch_load_b128 v[55:58], off, off offset:16
	scratch_load_b128 v[59:62], off, off offset:32
	;; [unrolled: 1-line block ×10, first 2 shown]
	s_waitcnt vmcnt(10)
	s_clause 0x1
	global_store_b64 v[11:12], v[51:52], off
	global_store_b64 v[9:10], v[53:54], off
	s_clause 0x1
	scratch_load_b128 v[9:12], off, off offset:176
	scratch_load_b64 v[51:52], off, off offset:192
	s_waitcnt vmcnt(11)
	s_clause 0x1
	global_store_b64 v[1:2], v[55:56], off
	global_store_b64 v[3:4], v[57:58], off
	s_waitcnt vmcnt(10)
	s_clause 0x1
	global_store_b64 v[7:8], v[59:60], off
	global_store_b64 v[5:6], v[61:62], off
	;; [unrolled: 4-line block ×11, first 2 shown]
	s_waitcnt vmcnt(0)
	global_store_b64 v[49:50], v[51:52], off
.LBB88_476:
	s_endpgm
	.section	.rodata,"a",@progbits
	.p2align	6, 0x0
	.amdhsa_kernel _ZN9rocsolver6v33100L18trti2_kernel_smallILi25EdPKPdEEv13rocblas_fill_17rocblas_diagonal_T1_iil
		.amdhsa_group_segment_fixed_size 408
		.amdhsa_private_segment_fixed_size 208
		.amdhsa_kernarg_size 32
		.amdhsa_user_sgpr_count 15
		.amdhsa_user_sgpr_dispatch_ptr 0
		.amdhsa_user_sgpr_queue_ptr 0
		.amdhsa_user_sgpr_kernarg_segment_ptr 1
		.amdhsa_user_sgpr_dispatch_id 0
		.amdhsa_user_sgpr_private_segment_size 0
		.amdhsa_wavefront_size32 1
		.amdhsa_uses_dynamic_stack 0
		.amdhsa_enable_private_segment 1
		.amdhsa_system_sgpr_workgroup_id_x 1
		.amdhsa_system_sgpr_workgroup_id_y 0
		.amdhsa_system_sgpr_workgroup_id_z 0
		.amdhsa_system_sgpr_workgroup_info 0
		.amdhsa_system_vgpr_workitem_id 0
		.amdhsa_next_free_vgpr 95
		.amdhsa_next_free_sgpr 16
		.amdhsa_reserve_vcc 1
		.amdhsa_float_round_mode_32 0
		.amdhsa_float_round_mode_16_64 0
		.amdhsa_float_denorm_mode_32 3
		.amdhsa_float_denorm_mode_16_64 3
		.amdhsa_dx10_clamp 1
		.amdhsa_ieee_mode 1
		.amdhsa_fp16_overflow 0
		.amdhsa_workgroup_processor_mode 1
		.amdhsa_memory_ordered 1
		.amdhsa_forward_progress 0
		.amdhsa_shared_vgpr_count 0
		.amdhsa_exception_fp_ieee_invalid_op 0
		.amdhsa_exception_fp_denorm_src 0
		.amdhsa_exception_fp_ieee_div_zero 0
		.amdhsa_exception_fp_ieee_overflow 0
		.amdhsa_exception_fp_ieee_underflow 0
		.amdhsa_exception_fp_ieee_inexact 0
		.amdhsa_exception_int_div_zero 0
	.end_amdhsa_kernel
	.section	.text._ZN9rocsolver6v33100L18trti2_kernel_smallILi25EdPKPdEEv13rocblas_fill_17rocblas_diagonal_T1_iil,"axG",@progbits,_ZN9rocsolver6v33100L18trti2_kernel_smallILi25EdPKPdEEv13rocblas_fill_17rocblas_diagonal_T1_iil,comdat
.Lfunc_end88:
	.size	_ZN9rocsolver6v33100L18trti2_kernel_smallILi25EdPKPdEEv13rocblas_fill_17rocblas_diagonal_T1_iil, .Lfunc_end88-_ZN9rocsolver6v33100L18trti2_kernel_smallILi25EdPKPdEEv13rocblas_fill_17rocblas_diagonal_T1_iil
                                        ; -- End function
	.section	.AMDGPU.csdata,"",@progbits
; Kernel info:
; codeLenInByte = 13376
; NumSgprs: 18
; NumVgprs: 95
; ScratchSize: 208
; MemoryBound: 0
; FloatMode: 240
; IeeeMode: 1
; LDSByteSize: 408 bytes/workgroup (compile time only)
; SGPRBlocks: 2
; VGPRBlocks: 11
; NumSGPRsForWavesPerEU: 18
; NumVGPRsForWavesPerEU: 95
; Occupancy: 16
; WaveLimiterHint : 1
; COMPUTE_PGM_RSRC2:SCRATCH_EN: 1
; COMPUTE_PGM_RSRC2:USER_SGPR: 15
; COMPUTE_PGM_RSRC2:TRAP_HANDLER: 0
; COMPUTE_PGM_RSRC2:TGID_X_EN: 1
; COMPUTE_PGM_RSRC2:TGID_Y_EN: 0
; COMPUTE_PGM_RSRC2:TGID_Z_EN: 0
; COMPUTE_PGM_RSRC2:TIDIG_COMP_CNT: 0
	.section	.text._ZN9rocsolver6v33100L18trti2_kernel_smallILi26EdPKPdEEv13rocblas_fill_17rocblas_diagonal_T1_iil,"axG",@progbits,_ZN9rocsolver6v33100L18trti2_kernel_smallILi26EdPKPdEEv13rocblas_fill_17rocblas_diagonal_T1_iil,comdat
	.globl	_ZN9rocsolver6v33100L18trti2_kernel_smallILi26EdPKPdEEv13rocblas_fill_17rocblas_diagonal_T1_iil ; -- Begin function _ZN9rocsolver6v33100L18trti2_kernel_smallILi26EdPKPdEEv13rocblas_fill_17rocblas_diagonal_T1_iil
	.p2align	8
	.type	_ZN9rocsolver6v33100L18trti2_kernel_smallILi26EdPKPdEEv13rocblas_fill_17rocblas_diagonal_T1_iil,@function
_ZN9rocsolver6v33100L18trti2_kernel_smallILi26EdPKPdEEv13rocblas_fill_17rocblas_diagonal_T1_iil: ; @_ZN9rocsolver6v33100L18trti2_kernel_smallILi26EdPKPdEEv13rocblas_fill_17rocblas_diagonal_T1_iil
; %bb.0:
	s_mov_b32 s2, exec_lo
	v_cmpx_gt_u32_e32 26, v0
	s_cbranch_execz .LBB89_496
; %bb.1:
	s_clause 0x1
	s_load_b64 s[4:5], s[0:1], 0x10
	s_load_b128 s[0:3], s[0:1], 0x0
	s_mov_b32 s6, s15
	s_ashr_i32 s7, s15, 31
	v_lshlrev_b32_e32 v55, 3, v0
	s_lshl_b64 s[6:7], s[6:7], 3
	s_waitcnt lgkmcnt(0)
	s_ashr_i32 s9, s4, 31
	s_add_u32 s2, s2, s6
	s_addc_u32 s3, s3, s7
	v_add3_u32 v1, s5, s5, v0
	s_load_b64 s[2:3], s[2:3], 0x0
	s_mov_b32 s8, s4
	s_mov_b32 s6, s5
	s_lshl_b64 s[8:9], s[8:9], 3
	v_add_nc_u32_e32 v3, s5, v1
	v_ashrrev_i32_e32 v2, 31, v1
	s_delay_alu instid0(VALU_DEP_2) | instskip(SKIP_1) | instid1(VALU_DEP_3)
	v_add_nc_u32_e32 v9, s5, v3
	v_ashrrev_i32_e32 v4, 31, v3
	v_lshlrev_b64 v[1:2], 3, v[1:2]
	s_delay_alu instid0(VALU_DEP_3) | instskip(SKIP_1) | instid1(VALU_DEP_4)
	v_add_nc_u32_e32 v13, s5, v9
	v_ashrrev_i32_e32 v10, 31, v9
	v_lshlrev_b64 v[3:4], 3, v[3:4]
	s_delay_alu instid0(VALU_DEP_3)
	v_ashrrev_i32_e32 v14, 31, v13
	s_waitcnt lgkmcnt(0)
	s_add_u32 s2, s2, s8
	s_addc_u32 s3, s3, s9
	v_add_co_u32 v5, s4, s2, v55
	s_ashr_i32 s7, s5, 31
	v_add_co_ci_u32_e64 v6, null, s3, 0, s4
	s_lshl_b64 s[6:7], s[6:7], 3
	v_lshlrev_b64 v[15:16], 3, v[9:10]
	v_add_co_u32 v7, vcc_lo, v5, s6
	s_delay_alu instid0(VALU_DEP_3)
	v_add_co_ci_u32_e32 v8, vcc_lo, s7, v6, vcc_lo
	s_clause 0x1
	global_load_b64 v[37:38], v55, s[2:3]
	global_load_b64 v[39:40], v[7:8], off
	v_lshlrev_b64 v[17:18], 3, v[13:14]
	v_add_co_u32 v9, vcc_lo, s2, v1
	v_add_nc_u32_e32 v13, s5, v13
	v_add_co_ci_u32_e32 v10, vcc_lo, s3, v2, vcc_lo
	v_add_co_u32 v11, vcc_lo, s2, v3
	v_add_co_ci_u32_e32 v12, vcc_lo, s3, v4, vcc_lo
	v_add_co_u32 v1, vcc_lo, s2, v17
	v_add_nc_u32_e32 v17, s5, v13
	v_ashrrev_i32_e32 v14, 31, v13
	v_add_co_ci_u32_e32 v2, vcc_lo, s3, v18, vcc_lo
	v_add_co_u32 v3, vcc_lo, s2, v15
	s_delay_alu instid0(VALU_DEP_4)
	v_ashrrev_i32_e32 v18, 31, v17
	v_add_co_ci_u32_e32 v4, vcc_lo, s3, v16, vcc_lo
	v_lshlrev_b64 v[13:14], 3, v[13:14]
	s_clause 0x3
	global_load_b64 v[47:48], v[1:2], off
	global_load_b64 v[49:50], v[9:10], off
	;; [unrolled: 1-line block ×4, first 2 shown]
	v_lshlrev_b64 v[15:16], 3, v[17:18]
	v_add_nc_u32_e32 v17, s5, v17
	s_cmpk_lg_i32 s1, 0x84
	v_add_co_u32 v13, vcc_lo, s2, v13
	v_add_co_ci_u32_e32 v14, vcc_lo, s3, v14, vcc_lo
	s_delay_alu instid0(VALU_DEP_4)
	v_add_co_u32 v15, vcc_lo, s2, v15
	v_add_co_ci_u32_e32 v16, vcc_lo, s3, v16, vcc_lo
	s_clause 0x1
	global_load_b64 v[56:57], v[13:14], off
	global_load_b64 v[58:59], v[15:16], off
	v_add_nc_u32_e32 v19, s5, v17
	v_ashrrev_i32_e32 v18, 31, v17
	s_delay_alu instid0(VALU_DEP_2) | instskip(SKIP_1) | instid1(VALU_DEP_3)
	v_add_nc_u32_e32 v21, s5, v19
	v_ashrrev_i32_e32 v20, 31, v19
	v_lshlrev_b64 v[17:18], 3, v[17:18]
	s_delay_alu instid0(VALU_DEP_3) | instskip(SKIP_1) | instid1(VALU_DEP_4)
	v_add_nc_u32_e32 v23, s5, v21
	v_ashrrev_i32_e32 v22, 31, v21
	v_lshlrev_b64 v[19:20], 3, v[19:20]
	s_delay_alu instid0(VALU_DEP_4) | instskip(NEXT) | instid1(VALU_DEP_4)
	v_add_co_u32 v17, vcc_lo, s2, v17
	v_add_nc_u32_e32 v25, s5, v23
	v_ashrrev_i32_e32 v24, 31, v23
	v_lshlrev_b64 v[21:22], 3, v[21:22]
	v_add_co_ci_u32_e32 v18, vcc_lo, s3, v18, vcc_lo
	s_delay_alu instid0(VALU_DEP_4) | instskip(SKIP_3) | instid1(VALU_DEP_4)
	v_add_nc_u32_e32 v27, s5, v25
	v_ashrrev_i32_e32 v26, 31, v25
	v_add_co_u32 v19, vcc_lo, s2, v19
	v_lshlrev_b64 v[23:24], 3, v[23:24]
	v_add_nc_u32_e32 v29, s5, v27
	v_ashrrev_i32_e32 v28, 31, v27
	v_add_co_ci_u32_e32 v20, vcc_lo, s3, v20, vcc_lo
	v_add_co_u32 v21, vcc_lo, s2, v21
	s_delay_alu instid0(VALU_DEP_4) | instskip(SKIP_3) | instid1(VALU_DEP_4)
	v_add_nc_u32_e32 v31, s5, v29
	v_lshlrev_b64 v[25:26], 3, v[25:26]
	v_add_co_ci_u32_e32 v22, vcc_lo, s3, v22, vcc_lo
	v_add_co_u32 v23, vcc_lo, s2, v23
	v_add_nc_u32_e32 v33, s5, v31
	v_lshlrev_b64 v[27:28], 3, v[27:28]
	v_ashrrev_i32_e32 v30, 31, v29
	v_add_co_ci_u32_e32 v24, vcc_lo, s3, v24, vcc_lo
	s_delay_alu instid0(VALU_DEP_4) | instskip(SKIP_3) | instid1(VALU_DEP_4)
	v_add_nc_u32_e32 v35, s5, v33
	v_add_co_u32 v25, vcc_lo, s2, v25
	v_ashrrev_i32_e32 v32, 31, v31
	v_add_co_ci_u32_e32 v26, vcc_lo, s3, v26, vcc_lo
	v_add_nc_u32_e32 v41, s5, v35
	v_lshlrev_b64 v[70:71], 3, v[29:30]
	v_add_co_u32 v29, vcc_lo, s2, v27
	v_add_co_ci_u32_e32 v30, vcc_lo, s3, v28, vcc_lo
	s_delay_alu instid0(VALU_DEP_4) | instskip(SKIP_3) | instid1(VALU_DEP_4)
	v_add_nc_u32_e32 v43, s5, v41
	v_lshlrev_b64 v[27:28], 3, v[31:32]
	v_ashrrev_i32_e32 v34, 31, v33
	v_add_co_u32 v31, vcc_lo, s2, v70
	v_add_nc_u32_e32 v53, s5, v43
	v_ashrrev_i32_e32 v36, 31, v35
	v_add_co_ci_u32_e32 v32, vcc_lo, s3, v71, vcc_lo
	v_lshlrev_b64 v[70:71], 3, v[33:34]
	s_delay_alu instid0(VALU_DEP_4) | instskip(SKIP_3) | instid1(VALU_DEP_4)
	v_add_nc_u32_e32 v72, s5, v53
	v_add_co_u32 v33, vcc_lo, s2, v27
	v_ashrrev_i32_e32 v42, 31, v41
	v_add_co_ci_u32_e32 v34, vcc_lo, s3, v28, vcc_lo
	v_add_nc_u32_e32 v82, s5, v72
	v_lshlrev_b64 v[83:84], 3, v[35:36]
	v_ashrrev_i32_e32 v44, 31, v43
	v_lshlrev_b64 v[41:42], 3, v[41:42]
	v_ashrrev_i32_e32 v54, 31, v53
	v_add_nc_u32_e32 v90, s5, v82
	s_clause 0x4
	global_load_b64 v[60:61], v[17:18], off
	global_load_b64 v[62:63], v[19:20], off
	;; [unrolled: 1-line block ×5, first 2 shown]
	v_lshlrev_b64 v[43:44], 3, v[43:44]
	v_lshlrev_b64 v[53:54], 3, v[53:54]
	v_add_nc_u32_e32 v92, s5, v90
	v_ashrrev_i32_e32 v91, 31, v90
	s_delay_alu instid0(VALU_DEP_2) | instskip(SKIP_1) | instid1(VALU_DEP_2)
	v_add_nc_u32_e32 v73, s5, v92
	v_ashrrev_i32_e32 v93, 31, v92
	v_ashrrev_i32_e32 v74, 31, v73
	s_delay_alu instid0(VALU_DEP_1) | instskip(NEXT) | instid1(VALU_DEP_1)
	v_lshlrev_b64 v[73:74], 3, v[73:74]
	v_add_co_u32 v27, vcc_lo, s2, v73
	s_delay_alu instid0(VALU_DEP_2)
	v_add_co_ci_u32_e32 v28, vcc_lo, s3, v74, vcc_lo
	v_add_co_u32 v35, vcc_lo, s2, v70
	v_add_co_ci_u32_e32 v36, vcc_lo, s3, v71, vcc_lo
	v_ashrrev_i32_e32 v73, 31, v72
	global_load_b64 v[74:75], v[27:28], off
	v_lshlrev_b64 v[72:73], 3, v[72:73]
	s_waitcnt vmcnt(12)
	scratch_store_b128 off, v[37:40], off
	v_add_co_u32 v37, vcc_lo, s2, v83
	v_add_co_ci_u32_e32 v38, vcc_lo, s3, v84, vcc_lo
	v_add_co_u32 v39, vcc_lo, s2, v41
	v_add_co_ci_u32_e32 v40, vcc_lo, s3, v42, vcc_lo
	v_add_co_u32 v41, vcc_lo, s2, v43
	v_ashrrev_i32_e32 v83, 31, v82
	v_add_co_ci_u32_e32 v42, vcc_lo, s3, v44, vcc_lo
	v_add_co_u32 v43, vcc_lo, s2, v53
	v_add_co_ci_u32_e32 v44, vcc_lo, s3, v54, vcc_lo
	s_delay_alu instid0(VALU_DEP_4)
	v_lshlrev_b64 v[53:54], 3, v[82:83]
	s_clause 0x3
	global_load_b64 v[70:71], v[29:30], off
	global_load_b64 v[76:77], v[31:32], off
	;; [unrolled: 1-line block ×4, first 2 shown]
	s_waitcnt vmcnt(13)
	scratch_store_b128 off, v[49:52], off offset:16
	s_waitcnt vmcnt(12)
	scratch_store_b128 off, v[45:48], off offset:32
	v_add_co_u32 v47, vcc_lo, s2, v72
	v_add_co_ci_u32_e32 v48, vcc_lo, s3, v73, vcc_lo
	v_lshlrev_b64 v[45:46], 3, v[90:91]
	v_add_co_u32 v49, vcc_lo, s2, v53
	v_add_co_ci_u32_e32 v50, vcc_lo, s3, v54, vcc_lo
	v_lshlrev_b64 v[53:54], 3, v[92:93]
	s_delay_alu instid0(VALU_DEP_4)
	v_add_co_u32 v51, vcc_lo, s2, v45
	v_add_co_ci_u32_e32 v52, vcc_lo, s3, v46, vcc_lo
	s_clause 0x3
	global_load_b64 v[82:83], v[37:38], off
	global_load_b64 v[84:85], v[39:40], off
	;; [unrolled: 1-line block ×4, first 2 shown]
	v_add_co_u32 v45, vcc_lo, s2, v53
	v_add_co_ci_u32_e32 v46, vcc_lo, s3, v54, vcc_lo
	v_mov_b32_e32 v53, 0
	s_waitcnt vmcnt(14)
	scratch_store_b128 off, v[56:59], off offset:48
	s_clause 0x3
	global_load_b64 v[90:91], v[47:48], off
	global_load_b64 v[56:57], v[49:50], off
	;; [unrolled: 1-line block ×4, first 2 shown]
	v_mov_b32_e32 v54, 0xbff00000
	s_cselect_b32 s2, -1, 0
	s_cmpk_eq_i32 s1, 0x84
	s_waitcnt vmcnt(16)
	scratch_store_b128 off, v[60:63], off offset:64
	s_waitcnt vmcnt(14)
	scratch_store_b128 off, v[64:67], off offset:80
	s_waitcnt vmcnt(11)
	scratch_store_b128 off, v[68:71], off offset:96
	s_waitcnt vmcnt(9)
	scratch_store_b128 off, v[76:79], off offset:112
	s_waitcnt vmcnt(7)
	scratch_store_b128 off, v[80:83], off offset:128
	s_waitcnt vmcnt(5)
	scratch_store_b128 off, v[84:87], off offset:144
	s_waitcnt vmcnt(3)
	scratch_store_b128 off, v[88:91], off offset:160
	s_waitcnt vmcnt(1)
	scratch_store_b128 off, v[56:59], off offset:176
	s_waitcnt vmcnt(0)
	scratch_store_b128 off, v[72:75], off offset:192
	s_cbranch_scc1 .LBB89_3
; %bb.2:
	scratch_load_b64 v[53:54], v55, off
	s_waitcnt vmcnt(0)
	v_div_scale_f64 v[56:57], null, v[53:54], v[53:54], 1.0
	v_div_scale_f64 v[62:63], vcc_lo, 1.0, v[53:54], 1.0
	s_delay_alu instid0(VALU_DEP_2) | instskip(SKIP_2) | instid1(VALU_DEP_1)
	v_rcp_f64_e32 v[58:59], v[56:57]
	s_waitcnt_depctr 0xfff
	v_fma_f64 v[60:61], -v[56:57], v[58:59], 1.0
	v_fma_f64 v[58:59], v[58:59], v[60:61], v[58:59]
	s_delay_alu instid0(VALU_DEP_1) | instskip(NEXT) | instid1(VALU_DEP_1)
	v_fma_f64 v[60:61], -v[56:57], v[58:59], 1.0
	v_fma_f64 v[58:59], v[58:59], v[60:61], v[58:59]
	s_delay_alu instid0(VALU_DEP_1) | instskip(NEXT) | instid1(VALU_DEP_1)
	v_mul_f64 v[60:61], v[62:63], v[58:59]
	v_fma_f64 v[56:57], -v[56:57], v[60:61], v[62:63]
	s_delay_alu instid0(VALU_DEP_1) | instskip(NEXT) | instid1(VALU_DEP_1)
	v_div_fmas_f64 v[56:57], v[56:57], v[58:59], v[60:61]
	v_div_fixup_f64 v[53:54], v[56:57], v[53:54], 1.0
	scratch_store_b64 v55, v[53:54], off
	v_xor_b32_e32 v54, 0x80000000, v54
.LBB89_3:
	v_add_nc_u32_e32 v56, 0xd0, v55
	v_add_nc_u32_e32 v57, 0, v55
	s_cmpk_eq_i32 s0, 0x79
	s_mov_b32 s0, -1
	ds_store_b64 v55, v[53:54]
	s_cbranch_scc1 .LBB89_249
; %bb.4:
	scratch_load_b64 v[53:54], off, off offset:192
	v_cmp_eq_u32_e64 s0, 25, v0
	s_movk_i32 s1, 0x50
	s_movk_i32 s3, 0x60
	;; [unrolled: 1-line block ×7, first 2 shown]
	s_waitcnt vmcnt(0)
	ds_store_b64 v56, v[53:54]
	s_waitcnt lgkmcnt(0)
	s_waitcnt_vscnt null, 0x0
	s_barrier
	buffer_gl0_inv
	s_and_saveexec_b32 s9, s0
	s_cbranch_execz .LBB89_10
; %bb.5:
	s_and_b32 vcc_lo, exec_lo, s2
	s_cbranch_vccz .LBB89_7
; %bb.6:
	scratch_load_b64 v[53:54], v57, off
	ds_load_b64 v[58:59], v56
	s_waitcnt vmcnt(0) lgkmcnt(0)
	v_mul_f64 v[53:54], v[53:54], v[58:59]
	s_cbranch_execz .LBB89_8
	s_branch .LBB89_9
.LBB89_7:
                                        ; implicit-def: $vgpr53_vgpr54
.LBB89_8:
	ds_load_b64 v[53:54], v56
.LBB89_9:
	v_mov_b32_e32 v58, 0
	ds_load_b64 v[58:59], v58 offset:192
	s_waitcnt lgkmcnt(0)
	v_mul_f64 v[53:54], v[53:54], v[58:59]
	scratch_store_b64 off, v[53:54], off offset:192
.LBB89_10:
	s_or_b32 exec_lo, exec_lo, s9
	scratch_load_b64 v[53:54], off, off offset:184
	v_add_nc_u32_e64 v58, 0, 16
	v_add_nc_u32_e64 v59, 0, 32
	;; [unrolled: 1-line block ×11, first 2 shown]
	v_cmp_lt_u32_e64 s1, 23, v0
	s_waitcnt vmcnt(0)
	ds_store_b64 v56, v[53:54]
	s_waitcnt lgkmcnt(0)
	s_waitcnt_vscnt null, 0x0
	s_barrier
	buffer_gl0_inv
	s_and_saveexec_b32 s3, s1
	s_cbranch_execz .LBB89_18
; %bb.11:
	s_and_not1_b32 vcc_lo, exec_lo, s2
	s_cbranch_vccnz .LBB89_13
; %bb.12:
	scratch_load_b64 v[53:54], v57, off
	ds_load_b64 v[69:70], v56
	s_waitcnt vmcnt(0) lgkmcnt(0)
	v_mul_f64 v[53:54], v[53:54], v[69:70]
	s_cbranch_execz .LBB89_14
	s_branch .LBB89_15
.LBB89_13:
                                        ; implicit-def: $vgpr53_vgpr54
.LBB89_14:
	ds_load_b64 v[53:54], v56
.LBB89_15:
	s_and_saveexec_b32 s4, s0
	s_cbranch_execz .LBB89_17
; %bb.16:
	scratch_load_b64 v[69:70], off, off offset:192
	v_mov_b32_e32 v71, 0
	ds_load_b64 v[71:72], v71 offset:400
	s_waitcnt vmcnt(0) lgkmcnt(0)
	v_fma_f64 v[53:54], v[69:70], v[71:72], v[53:54]
.LBB89_17:
	s_or_b32 exec_lo, exec_lo, s4
	v_mov_b32_e32 v69, 0
	ds_load_b64 v[69:70], v69 offset:184
	s_waitcnt lgkmcnt(0)
	v_mul_f64 v[53:54], v[53:54], v[69:70]
	scratch_store_b64 off, v[53:54], off offset:184
.LBB89_18:
	s_or_b32 exec_lo, exec_lo, s3
	scratch_load_b64 v[53:54], off, off offset:176
	v_cmp_lt_u32_e64 s0, 22, v0
	s_waitcnt vmcnt(0)
	ds_store_b64 v56, v[53:54]
	s_waitcnt lgkmcnt(0)
	s_waitcnt_vscnt null, 0x0
	s_barrier
	buffer_gl0_inv
	s_and_saveexec_b32 s3, s0
	s_cbranch_execz .LBB89_28
; %bb.19:
	s_and_not1_b32 vcc_lo, exec_lo, s2
	s_cbranch_vccnz .LBB89_21
; %bb.20:
	scratch_load_b64 v[53:54], v57, off
	ds_load_b64 v[69:70], v56
	s_waitcnt vmcnt(0) lgkmcnt(0)
	v_mul_f64 v[53:54], v[53:54], v[69:70]
	s_cbranch_execz .LBB89_22
	s_branch .LBB89_23
.LBB89_21:
                                        ; implicit-def: $vgpr53_vgpr54
.LBB89_22:
	ds_load_b64 v[53:54], v56
.LBB89_23:
	s_and_saveexec_b32 s4, s1
	s_cbranch_execz .LBB89_27
; %bb.24:
	v_mov_b32_e32 v69, 0
	v_subrev_nc_u32_e32 v70, 23, v0
	s_movk_i32 s5, 0x188
	s_mov_b32 s1, 0
	s_delay_alu instid0(VALU_DEP_2)
	v_add_nc_u32_e32 v69, 0xb8, v69
.LBB89_25:                              ; =>This Inner Loop Header: Depth=1
	scratch_load_b64 v[71:72], v69, off
	v_dual_mov_b32 v73, s5 :: v_dual_add_nc_u32 v70, -1, v70
	v_add_nc_u32_e32 v69, 8, v69
	s_add_i32 s5, s5, 8
	ds_load_b64 v[73:74], v73
	v_cmp_eq_u32_e32 vcc_lo, 0, v70
	s_or_b32 s1, vcc_lo, s1
	s_waitcnt vmcnt(0) lgkmcnt(0)
	v_fma_f64 v[53:54], v[71:72], v[73:74], v[53:54]
	s_and_not1_b32 exec_lo, exec_lo, s1
	s_cbranch_execnz .LBB89_25
; %bb.26:
	s_or_b32 exec_lo, exec_lo, s1
.LBB89_27:
	s_delay_alu instid0(SALU_CYCLE_1)
	s_or_b32 exec_lo, exec_lo, s4
	v_mov_b32_e32 v69, 0
	ds_load_b64 v[69:70], v69 offset:176
	s_waitcnt lgkmcnt(0)
	v_mul_f64 v[53:54], v[53:54], v[69:70]
	scratch_store_b64 off, v[53:54], off offset:176
.LBB89_28:
	s_or_b32 exec_lo, exec_lo, s3
	scratch_load_b64 v[53:54], off, off offset:168
	v_cmp_lt_u32_e64 s1, 21, v0
	s_waitcnt vmcnt(0)
	ds_store_b64 v56, v[53:54]
	s_waitcnt lgkmcnt(0)
	s_waitcnt_vscnt null, 0x0
	s_barrier
	buffer_gl0_inv
	s_and_saveexec_b32 s3, s1
	s_cbranch_execz .LBB89_38
; %bb.29:
	s_and_not1_b32 vcc_lo, exec_lo, s2
	s_cbranch_vccnz .LBB89_31
; %bb.30:
	scratch_load_b64 v[53:54], v57, off
	ds_load_b64 v[69:70], v56
	s_waitcnt vmcnt(0) lgkmcnt(0)
	v_mul_f64 v[53:54], v[53:54], v[69:70]
	s_cbranch_execz .LBB89_32
	s_branch .LBB89_33
.LBB89_31:
                                        ; implicit-def: $vgpr53_vgpr54
.LBB89_32:
	ds_load_b64 v[53:54], v56
.LBB89_33:
	s_and_saveexec_b32 s4, s0
	s_cbranch_execz .LBB89_37
; %bb.34:
	v_subrev_nc_u32_e32 v69, 22, v0
	s_movk_i32 s5, 0x180
	s_mov_b32 s0, 0
.LBB89_35:                              ; =>This Inner Loop Header: Depth=1
	scratch_load_b64 v[70:71], v68, off
	v_dual_mov_b32 v72, s5 :: v_dual_add_nc_u32 v69, -1, v69
	v_add_nc_u32_e32 v68, 8, v68
	s_add_i32 s5, s5, 8
	ds_load_b64 v[72:73], v72
	v_cmp_eq_u32_e32 vcc_lo, 0, v69
	s_or_b32 s0, vcc_lo, s0
	s_waitcnt vmcnt(0) lgkmcnt(0)
	v_fma_f64 v[53:54], v[70:71], v[72:73], v[53:54]
	s_and_not1_b32 exec_lo, exec_lo, s0
	s_cbranch_execnz .LBB89_35
; %bb.36:
	s_or_b32 exec_lo, exec_lo, s0
.LBB89_37:
	s_delay_alu instid0(SALU_CYCLE_1)
	s_or_b32 exec_lo, exec_lo, s4
	v_mov_b32_e32 v68, 0
	ds_load_b64 v[68:69], v68 offset:168
	s_waitcnt lgkmcnt(0)
	v_mul_f64 v[53:54], v[53:54], v[68:69]
	scratch_store_b64 off, v[53:54], off offset:168
.LBB89_38:
	s_or_b32 exec_lo, exec_lo, s3
	scratch_load_b64 v[53:54], off, off offset:160
	v_cmp_lt_u32_e64 s0, 20, v0
	s_waitcnt vmcnt(0)
	ds_store_b64 v56, v[53:54]
	s_waitcnt lgkmcnt(0)
	s_waitcnt_vscnt null, 0x0
	s_barrier
	buffer_gl0_inv
	s_and_saveexec_b32 s3, s0
	s_cbranch_execz .LBB89_48
; %bb.39:
	s_and_not1_b32 vcc_lo, exec_lo, s2
	s_cbranch_vccnz .LBB89_41
; %bb.40:
	scratch_load_b64 v[53:54], v57, off
	ds_load_b64 v[68:69], v56
	s_waitcnt vmcnt(0) lgkmcnt(0)
	v_mul_f64 v[53:54], v[53:54], v[68:69]
	s_cbranch_execz .LBB89_42
	s_branch .LBB89_43
.LBB89_41:
                                        ; implicit-def: $vgpr53_vgpr54
.LBB89_42:
	ds_load_b64 v[53:54], v56
.LBB89_43:
	s_and_saveexec_b32 s4, s1
	s_cbranch_execz .LBB89_47
; %bb.44:
	v_mov_b32_e32 v68, 0
	v_subrev_nc_u32_e32 v69, 21, v0
	s_movk_i32 s5, 0x178
	s_mov_b32 s1, 0
	s_delay_alu instid0(VALU_DEP_2)
	v_add_nc_u32_e32 v68, 0xa8, v68
.LBB89_45:                              ; =>This Inner Loop Header: Depth=1
	scratch_load_b64 v[70:71], v68, off
	v_dual_mov_b32 v72, s5 :: v_dual_add_nc_u32 v69, -1, v69
	v_add_nc_u32_e32 v68, 8, v68
	s_add_i32 s5, s5, 8
	ds_load_b64 v[72:73], v72
	v_cmp_eq_u32_e32 vcc_lo, 0, v69
	s_or_b32 s1, vcc_lo, s1
	s_waitcnt vmcnt(0) lgkmcnt(0)
	v_fma_f64 v[53:54], v[70:71], v[72:73], v[53:54]
	s_and_not1_b32 exec_lo, exec_lo, s1
	s_cbranch_execnz .LBB89_45
; %bb.46:
	s_or_b32 exec_lo, exec_lo, s1
.LBB89_47:
	s_delay_alu instid0(SALU_CYCLE_1)
	s_or_b32 exec_lo, exec_lo, s4
	v_mov_b32_e32 v68, 0
	ds_load_b64 v[68:69], v68 offset:160
	s_waitcnt lgkmcnt(0)
	v_mul_f64 v[53:54], v[53:54], v[68:69]
	scratch_store_b64 off, v[53:54], off offset:160
.LBB89_48:
	s_or_b32 exec_lo, exec_lo, s3
	scratch_load_b64 v[53:54], off, off offset:152
	v_cmp_lt_u32_e64 s1, 19, v0
	s_waitcnt vmcnt(0)
	ds_store_b64 v56, v[53:54]
	s_waitcnt lgkmcnt(0)
	s_waitcnt_vscnt null, 0x0
	s_barrier
	buffer_gl0_inv
	s_and_saveexec_b32 s3, s1
	s_cbranch_execz .LBB89_58
; %bb.49:
	s_and_not1_b32 vcc_lo, exec_lo, s2
	s_cbranch_vccnz .LBB89_51
; %bb.50:
	scratch_load_b64 v[53:54], v57, off
	ds_load_b64 v[68:69], v56
	s_waitcnt vmcnt(0) lgkmcnt(0)
	v_mul_f64 v[53:54], v[53:54], v[68:69]
	s_cbranch_execz .LBB89_52
	s_branch .LBB89_53
.LBB89_51:
                                        ; implicit-def: $vgpr53_vgpr54
.LBB89_52:
	ds_load_b64 v[53:54], v56
.LBB89_53:
	s_and_saveexec_b32 s4, s0
	s_cbranch_execz .LBB89_57
; %bb.54:
	v_subrev_nc_u32_e32 v68, 20, v0
	s_movk_i32 s5, 0x170
	s_mov_b32 s0, 0
.LBB89_55:                              ; =>This Inner Loop Header: Depth=1
	scratch_load_b64 v[69:70], v67, off
	v_dual_mov_b32 v71, s5 :: v_dual_add_nc_u32 v68, -1, v68
	v_add_nc_u32_e32 v67, 8, v67
	s_add_i32 s5, s5, 8
	ds_load_b64 v[71:72], v71
	v_cmp_eq_u32_e32 vcc_lo, 0, v68
	s_or_b32 s0, vcc_lo, s0
	s_waitcnt vmcnt(0) lgkmcnt(0)
	v_fma_f64 v[53:54], v[69:70], v[71:72], v[53:54]
	s_and_not1_b32 exec_lo, exec_lo, s0
	s_cbranch_execnz .LBB89_55
; %bb.56:
	s_or_b32 exec_lo, exec_lo, s0
.LBB89_57:
	s_delay_alu instid0(SALU_CYCLE_1)
	s_or_b32 exec_lo, exec_lo, s4
	v_mov_b32_e32 v67, 0
	ds_load_b64 v[67:68], v67 offset:152
	s_waitcnt lgkmcnt(0)
	v_mul_f64 v[53:54], v[53:54], v[67:68]
	scratch_store_b64 off, v[53:54], off offset:152
.LBB89_58:
	s_or_b32 exec_lo, exec_lo, s3
	scratch_load_b64 v[53:54], off, off offset:144
	v_cmp_lt_u32_e64 s0, 18, v0
	s_waitcnt vmcnt(0)
	ds_store_b64 v56, v[53:54]
	s_waitcnt lgkmcnt(0)
	s_waitcnt_vscnt null, 0x0
	s_barrier
	buffer_gl0_inv
	s_and_saveexec_b32 s3, s0
	s_cbranch_execz .LBB89_68
; %bb.59:
	s_and_not1_b32 vcc_lo, exec_lo, s2
	s_cbranch_vccnz .LBB89_61
; %bb.60:
	scratch_load_b64 v[53:54], v57, off
	ds_load_b64 v[67:68], v56
	s_waitcnt vmcnt(0) lgkmcnt(0)
	v_mul_f64 v[53:54], v[53:54], v[67:68]
	s_cbranch_execz .LBB89_62
	s_branch .LBB89_63
.LBB89_61:
                                        ; implicit-def: $vgpr53_vgpr54
.LBB89_62:
	ds_load_b64 v[53:54], v56
.LBB89_63:
	s_and_saveexec_b32 s4, s1
	s_cbranch_execz .LBB89_67
; %bb.64:
	v_mov_b32_e32 v67, 0
	v_subrev_nc_u32_e32 v68, 19, v0
	s_movk_i32 s5, 0x168
	s_mov_b32 s1, 0
	s_delay_alu instid0(VALU_DEP_2)
	v_add_nc_u32_e32 v67, 0x98, v67
.LBB89_65:                              ; =>This Inner Loop Header: Depth=1
	scratch_load_b64 v[69:70], v67, off
	v_dual_mov_b32 v71, s5 :: v_dual_add_nc_u32 v68, -1, v68
	v_add_nc_u32_e32 v67, 8, v67
	s_add_i32 s5, s5, 8
	ds_load_b64 v[71:72], v71
	v_cmp_eq_u32_e32 vcc_lo, 0, v68
	s_or_b32 s1, vcc_lo, s1
	s_waitcnt vmcnt(0) lgkmcnt(0)
	v_fma_f64 v[53:54], v[69:70], v[71:72], v[53:54]
	s_and_not1_b32 exec_lo, exec_lo, s1
	s_cbranch_execnz .LBB89_65
; %bb.66:
	s_or_b32 exec_lo, exec_lo, s1
.LBB89_67:
	s_delay_alu instid0(SALU_CYCLE_1)
	s_or_b32 exec_lo, exec_lo, s4
	v_mov_b32_e32 v67, 0
	ds_load_b64 v[67:68], v67 offset:144
	s_waitcnt lgkmcnt(0)
	v_mul_f64 v[53:54], v[53:54], v[67:68]
	scratch_store_b64 off, v[53:54], off offset:144
.LBB89_68:
	s_or_b32 exec_lo, exec_lo, s3
	scratch_load_b64 v[53:54], off, off offset:136
	v_cmp_lt_u32_e64 s1, 17, v0
	s_waitcnt vmcnt(0)
	ds_store_b64 v56, v[53:54]
	s_waitcnt lgkmcnt(0)
	s_waitcnt_vscnt null, 0x0
	s_barrier
	buffer_gl0_inv
	s_and_saveexec_b32 s3, s1
	s_cbranch_execz .LBB89_78
; %bb.69:
	s_and_not1_b32 vcc_lo, exec_lo, s2
	s_cbranch_vccnz .LBB89_71
; %bb.70:
	scratch_load_b64 v[53:54], v57, off
	ds_load_b64 v[67:68], v56
	s_waitcnt vmcnt(0) lgkmcnt(0)
	v_mul_f64 v[53:54], v[53:54], v[67:68]
	s_cbranch_execz .LBB89_72
	s_branch .LBB89_73
.LBB89_71:
                                        ; implicit-def: $vgpr53_vgpr54
.LBB89_72:
	ds_load_b64 v[53:54], v56
.LBB89_73:
	s_and_saveexec_b32 s4, s0
	s_cbranch_execz .LBB89_77
; %bb.74:
	v_subrev_nc_u32_e32 v67, 18, v0
	s_movk_i32 s5, 0x160
	s_mov_b32 s0, 0
.LBB89_75:                              ; =>This Inner Loop Header: Depth=1
	scratch_load_b64 v[68:69], v66, off
	v_dual_mov_b32 v70, s5 :: v_dual_add_nc_u32 v67, -1, v67
	v_add_nc_u32_e32 v66, 8, v66
	s_add_i32 s5, s5, 8
	ds_load_b64 v[70:71], v70
	v_cmp_eq_u32_e32 vcc_lo, 0, v67
	s_or_b32 s0, vcc_lo, s0
	s_waitcnt vmcnt(0) lgkmcnt(0)
	v_fma_f64 v[53:54], v[68:69], v[70:71], v[53:54]
	s_and_not1_b32 exec_lo, exec_lo, s0
	s_cbranch_execnz .LBB89_75
; %bb.76:
	s_or_b32 exec_lo, exec_lo, s0
.LBB89_77:
	s_delay_alu instid0(SALU_CYCLE_1)
	s_or_b32 exec_lo, exec_lo, s4
	v_mov_b32_e32 v66, 0
	ds_load_b64 v[66:67], v66 offset:136
	s_waitcnt lgkmcnt(0)
	v_mul_f64 v[53:54], v[53:54], v[66:67]
	scratch_store_b64 off, v[53:54], off offset:136
.LBB89_78:
	s_or_b32 exec_lo, exec_lo, s3
	scratch_load_b64 v[53:54], off, off offset:128
	v_cmp_lt_u32_e64 s0, 16, v0
	s_waitcnt vmcnt(0)
	ds_store_b64 v56, v[53:54]
	s_waitcnt lgkmcnt(0)
	s_waitcnt_vscnt null, 0x0
	s_barrier
	buffer_gl0_inv
	s_and_saveexec_b32 s3, s0
	s_cbranch_execz .LBB89_88
; %bb.79:
	s_and_not1_b32 vcc_lo, exec_lo, s2
	s_cbranch_vccnz .LBB89_81
; %bb.80:
	scratch_load_b64 v[53:54], v57, off
	ds_load_b64 v[66:67], v56
	s_waitcnt vmcnt(0) lgkmcnt(0)
	v_mul_f64 v[53:54], v[53:54], v[66:67]
	s_cbranch_execz .LBB89_82
	s_branch .LBB89_83
.LBB89_81:
                                        ; implicit-def: $vgpr53_vgpr54
.LBB89_82:
	ds_load_b64 v[53:54], v56
.LBB89_83:
	s_and_saveexec_b32 s4, s1
	s_cbranch_execz .LBB89_87
; %bb.84:
	v_mov_b32_e32 v66, 0
	v_subrev_nc_u32_e32 v67, 17, v0
	s_movk_i32 s5, 0x158
	s_mov_b32 s1, 0
	s_delay_alu instid0(VALU_DEP_2)
	v_add_nc_u32_e32 v66, 0x88, v66
.LBB89_85:                              ; =>This Inner Loop Header: Depth=1
	scratch_load_b64 v[68:69], v66, off
	v_dual_mov_b32 v70, s5 :: v_dual_add_nc_u32 v67, -1, v67
	v_add_nc_u32_e32 v66, 8, v66
	s_add_i32 s5, s5, 8
	ds_load_b64 v[70:71], v70
	v_cmp_eq_u32_e32 vcc_lo, 0, v67
	s_or_b32 s1, vcc_lo, s1
	s_waitcnt vmcnt(0) lgkmcnt(0)
	v_fma_f64 v[53:54], v[68:69], v[70:71], v[53:54]
	s_and_not1_b32 exec_lo, exec_lo, s1
	s_cbranch_execnz .LBB89_85
; %bb.86:
	s_or_b32 exec_lo, exec_lo, s1
.LBB89_87:
	s_delay_alu instid0(SALU_CYCLE_1)
	s_or_b32 exec_lo, exec_lo, s4
	v_mov_b32_e32 v66, 0
	ds_load_b64 v[66:67], v66 offset:128
	s_waitcnt lgkmcnt(0)
	v_mul_f64 v[53:54], v[53:54], v[66:67]
	scratch_store_b64 off, v[53:54], off offset:128
.LBB89_88:
	s_or_b32 exec_lo, exec_lo, s3
	scratch_load_b64 v[53:54], off, off offset:120
	v_cmp_lt_u32_e64 s1, 15, v0
	s_waitcnt vmcnt(0)
	ds_store_b64 v56, v[53:54]
	s_waitcnt lgkmcnt(0)
	s_waitcnt_vscnt null, 0x0
	s_barrier
	buffer_gl0_inv
	s_and_saveexec_b32 s3, s1
	s_cbranch_execz .LBB89_98
; %bb.89:
	s_and_not1_b32 vcc_lo, exec_lo, s2
	s_cbranch_vccnz .LBB89_91
; %bb.90:
	scratch_load_b64 v[53:54], v57, off
	ds_load_b64 v[66:67], v56
	s_waitcnt vmcnt(0) lgkmcnt(0)
	v_mul_f64 v[53:54], v[53:54], v[66:67]
	s_cbranch_execz .LBB89_92
	s_branch .LBB89_93
.LBB89_91:
                                        ; implicit-def: $vgpr53_vgpr54
.LBB89_92:
	ds_load_b64 v[53:54], v56
.LBB89_93:
	s_and_saveexec_b32 s4, s0
	s_cbranch_execz .LBB89_97
; %bb.94:
	v_add_nc_u32_e32 v66, -16, v0
	s_movk_i32 s5, 0x150
	s_mov_b32 s0, 0
.LBB89_95:                              ; =>This Inner Loop Header: Depth=1
	scratch_load_b64 v[67:68], v65, off
	v_dual_mov_b32 v69, s5 :: v_dual_add_nc_u32 v66, -1, v66
	v_add_nc_u32_e32 v65, 8, v65
	s_add_i32 s5, s5, 8
	ds_load_b64 v[69:70], v69
	v_cmp_eq_u32_e32 vcc_lo, 0, v66
	s_or_b32 s0, vcc_lo, s0
	s_waitcnt vmcnt(0) lgkmcnt(0)
	v_fma_f64 v[53:54], v[67:68], v[69:70], v[53:54]
	s_and_not1_b32 exec_lo, exec_lo, s0
	s_cbranch_execnz .LBB89_95
; %bb.96:
	s_or_b32 exec_lo, exec_lo, s0
.LBB89_97:
	s_delay_alu instid0(SALU_CYCLE_1)
	s_or_b32 exec_lo, exec_lo, s4
	v_mov_b32_e32 v65, 0
	ds_load_b64 v[65:66], v65 offset:120
	s_waitcnt lgkmcnt(0)
	v_mul_f64 v[53:54], v[53:54], v[65:66]
	scratch_store_b64 off, v[53:54], off offset:120
.LBB89_98:
	s_or_b32 exec_lo, exec_lo, s3
	scratch_load_b64 v[53:54], off, off offset:112
	v_cmp_lt_u32_e64 s0, 14, v0
	s_waitcnt vmcnt(0)
	ds_store_b64 v56, v[53:54]
	s_waitcnt lgkmcnt(0)
	s_waitcnt_vscnt null, 0x0
	s_barrier
	buffer_gl0_inv
	s_and_saveexec_b32 s3, s0
	s_cbranch_execz .LBB89_108
; %bb.99:
	s_and_not1_b32 vcc_lo, exec_lo, s2
	s_cbranch_vccnz .LBB89_101
; %bb.100:
	scratch_load_b64 v[53:54], v57, off
	ds_load_b64 v[65:66], v56
	s_waitcnt vmcnt(0) lgkmcnt(0)
	v_mul_f64 v[53:54], v[53:54], v[65:66]
	s_cbranch_execz .LBB89_102
	s_branch .LBB89_103
.LBB89_101:
                                        ; implicit-def: $vgpr53_vgpr54
.LBB89_102:
	ds_load_b64 v[53:54], v56
.LBB89_103:
	s_and_saveexec_b32 s4, s1
	s_cbranch_execz .LBB89_107
; %bb.104:
	v_dual_mov_b32 v65, 0 :: v_dual_add_nc_u32 v66, -15, v0
	s_movk_i32 s5, 0x148
	s_mov_b32 s1, 0
	s_delay_alu instid0(VALU_DEP_1)
	v_add_nc_u32_e32 v65, 0x78, v65
.LBB89_105:                             ; =>This Inner Loop Header: Depth=1
	scratch_load_b64 v[67:68], v65, off
	v_dual_mov_b32 v69, s5 :: v_dual_add_nc_u32 v66, -1, v66
	v_add_nc_u32_e32 v65, 8, v65
	s_add_i32 s5, s5, 8
	ds_load_b64 v[69:70], v69
	v_cmp_eq_u32_e32 vcc_lo, 0, v66
	s_or_b32 s1, vcc_lo, s1
	s_waitcnt vmcnt(0) lgkmcnt(0)
	v_fma_f64 v[53:54], v[67:68], v[69:70], v[53:54]
	s_and_not1_b32 exec_lo, exec_lo, s1
	s_cbranch_execnz .LBB89_105
; %bb.106:
	s_or_b32 exec_lo, exec_lo, s1
.LBB89_107:
	s_delay_alu instid0(SALU_CYCLE_1)
	s_or_b32 exec_lo, exec_lo, s4
	v_mov_b32_e32 v65, 0
	ds_load_b64 v[65:66], v65 offset:112
	s_waitcnt lgkmcnt(0)
	v_mul_f64 v[53:54], v[53:54], v[65:66]
	scratch_store_b64 off, v[53:54], off offset:112
.LBB89_108:
	s_or_b32 exec_lo, exec_lo, s3
	scratch_load_b64 v[53:54], off, off offset:104
	v_cmp_lt_u32_e64 s1, 13, v0
	s_waitcnt vmcnt(0)
	ds_store_b64 v56, v[53:54]
	s_waitcnt lgkmcnt(0)
	s_waitcnt_vscnt null, 0x0
	s_barrier
	buffer_gl0_inv
	s_and_saveexec_b32 s3, s1
	s_cbranch_execz .LBB89_118
; %bb.109:
	s_and_not1_b32 vcc_lo, exec_lo, s2
	s_cbranch_vccnz .LBB89_111
; %bb.110:
	scratch_load_b64 v[53:54], v57, off
	ds_load_b64 v[65:66], v56
	s_waitcnt vmcnt(0) lgkmcnt(0)
	v_mul_f64 v[53:54], v[53:54], v[65:66]
	s_cbranch_execz .LBB89_112
	s_branch .LBB89_113
.LBB89_111:
                                        ; implicit-def: $vgpr53_vgpr54
.LBB89_112:
	ds_load_b64 v[53:54], v56
.LBB89_113:
	s_and_saveexec_b32 s4, s0
	s_cbranch_execz .LBB89_117
; %bb.114:
	v_add_nc_u32_e32 v65, -14, v0
	s_movk_i32 s5, 0x140
	s_mov_b32 s0, 0
.LBB89_115:                             ; =>This Inner Loop Header: Depth=1
	scratch_load_b64 v[66:67], v64, off
	v_dual_mov_b32 v68, s5 :: v_dual_add_nc_u32 v65, -1, v65
	v_add_nc_u32_e32 v64, 8, v64
	s_add_i32 s5, s5, 8
	ds_load_b64 v[68:69], v68
	v_cmp_eq_u32_e32 vcc_lo, 0, v65
	s_or_b32 s0, vcc_lo, s0
	s_waitcnt vmcnt(0) lgkmcnt(0)
	v_fma_f64 v[53:54], v[66:67], v[68:69], v[53:54]
	s_and_not1_b32 exec_lo, exec_lo, s0
	s_cbranch_execnz .LBB89_115
; %bb.116:
	s_or_b32 exec_lo, exec_lo, s0
.LBB89_117:
	s_delay_alu instid0(SALU_CYCLE_1)
	s_or_b32 exec_lo, exec_lo, s4
	v_mov_b32_e32 v64, 0
	ds_load_b64 v[64:65], v64 offset:104
	s_waitcnt lgkmcnt(0)
	v_mul_f64 v[53:54], v[53:54], v[64:65]
	scratch_store_b64 off, v[53:54], off offset:104
.LBB89_118:
	s_or_b32 exec_lo, exec_lo, s3
	scratch_load_b64 v[53:54], off, off offset:96
	v_cmp_lt_u32_e64 s0, 12, v0
	s_waitcnt vmcnt(0)
	ds_store_b64 v56, v[53:54]
	s_waitcnt lgkmcnt(0)
	s_waitcnt_vscnt null, 0x0
	s_barrier
	buffer_gl0_inv
	s_and_saveexec_b32 s3, s0
	s_cbranch_execz .LBB89_128
; %bb.119:
	s_and_not1_b32 vcc_lo, exec_lo, s2
	s_cbranch_vccnz .LBB89_121
; %bb.120:
	scratch_load_b64 v[53:54], v57, off
	ds_load_b64 v[64:65], v56
	s_waitcnt vmcnt(0) lgkmcnt(0)
	v_mul_f64 v[53:54], v[53:54], v[64:65]
	s_cbranch_execz .LBB89_122
	s_branch .LBB89_123
.LBB89_121:
                                        ; implicit-def: $vgpr53_vgpr54
.LBB89_122:
	ds_load_b64 v[53:54], v56
.LBB89_123:
	s_and_saveexec_b32 s4, s1
	s_cbranch_execz .LBB89_127
; %bb.124:
	v_dual_mov_b32 v64, 0 :: v_dual_add_nc_u32 v65, -13, v0
	s_movk_i32 s5, 0x138
	s_mov_b32 s1, 0
	s_delay_alu instid0(VALU_DEP_1)
	v_add_nc_u32_e32 v64, 0x68, v64
.LBB89_125:                             ; =>This Inner Loop Header: Depth=1
	scratch_load_b64 v[66:67], v64, off
	v_dual_mov_b32 v68, s5 :: v_dual_add_nc_u32 v65, -1, v65
	v_add_nc_u32_e32 v64, 8, v64
	s_add_i32 s5, s5, 8
	ds_load_b64 v[68:69], v68
	v_cmp_eq_u32_e32 vcc_lo, 0, v65
	s_or_b32 s1, vcc_lo, s1
	s_waitcnt vmcnt(0) lgkmcnt(0)
	v_fma_f64 v[53:54], v[66:67], v[68:69], v[53:54]
	s_and_not1_b32 exec_lo, exec_lo, s1
	s_cbranch_execnz .LBB89_125
; %bb.126:
	s_or_b32 exec_lo, exec_lo, s1
.LBB89_127:
	s_delay_alu instid0(SALU_CYCLE_1)
	s_or_b32 exec_lo, exec_lo, s4
	v_mov_b32_e32 v64, 0
	ds_load_b64 v[64:65], v64 offset:96
	s_waitcnt lgkmcnt(0)
	v_mul_f64 v[53:54], v[53:54], v[64:65]
	scratch_store_b64 off, v[53:54], off offset:96
.LBB89_128:
	s_or_b32 exec_lo, exec_lo, s3
	scratch_load_b64 v[53:54], off, off offset:88
	v_cmp_lt_u32_e64 s1, 11, v0
	s_waitcnt vmcnt(0)
	ds_store_b64 v56, v[53:54]
	s_waitcnt lgkmcnt(0)
	s_waitcnt_vscnt null, 0x0
	s_barrier
	buffer_gl0_inv
	s_and_saveexec_b32 s3, s1
	s_cbranch_execz .LBB89_138
; %bb.129:
	s_and_not1_b32 vcc_lo, exec_lo, s2
	s_cbranch_vccnz .LBB89_131
; %bb.130:
	scratch_load_b64 v[53:54], v57, off
	ds_load_b64 v[64:65], v56
	s_waitcnt vmcnt(0) lgkmcnt(0)
	v_mul_f64 v[53:54], v[53:54], v[64:65]
	s_cbranch_execz .LBB89_132
	s_branch .LBB89_133
.LBB89_131:
                                        ; implicit-def: $vgpr53_vgpr54
.LBB89_132:
	ds_load_b64 v[53:54], v56
.LBB89_133:
	s_and_saveexec_b32 s4, s0
	s_cbranch_execz .LBB89_137
; %bb.134:
	v_add_nc_u32_e32 v64, -12, v0
	s_movk_i32 s5, 0x130
	s_mov_b32 s0, 0
.LBB89_135:                             ; =>This Inner Loop Header: Depth=1
	scratch_load_b64 v[65:66], v63, off
	v_dual_mov_b32 v67, s5 :: v_dual_add_nc_u32 v64, -1, v64
	v_add_nc_u32_e32 v63, 8, v63
	s_add_i32 s5, s5, 8
	ds_load_b64 v[67:68], v67
	v_cmp_eq_u32_e32 vcc_lo, 0, v64
	s_or_b32 s0, vcc_lo, s0
	s_waitcnt vmcnt(0) lgkmcnt(0)
	v_fma_f64 v[53:54], v[65:66], v[67:68], v[53:54]
	s_and_not1_b32 exec_lo, exec_lo, s0
	s_cbranch_execnz .LBB89_135
; %bb.136:
	s_or_b32 exec_lo, exec_lo, s0
.LBB89_137:
	s_delay_alu instid0(SALU_CYCLE_1)
	s_or_b32 exec_lo, exec_lo, s4
	v_mov_b32_e32 v63, 0
	ds_load_b64 v[63:64], v63 offset:88
	s_waitcnt lgkmcnt(0)
	v_mul_f64 v[53:54], v[53:54], v[63:64]
	scratch_store_b64 off, v[53:54], off offset:88
.LBB89_138:
	s_or_b32 exec_lo, exec_lo, s3
	scratch_load_b64 v[53:54], off, off offset:80
	v_cmp_lt_u32_e64 s0, 10, v0
	s_waitcnt vmcnt(0)
	ds_store_b64 v56, v[53:54]
	s_waitcnt lgkmcnt(0)
	s_waitcnt_vscnt null, 0x0
	s_barrier
	buffer_gl0_inv
	s_and_saveexec_b32 s3, s0
	s_cbranch_execz .LBB89_148
; %bb.139:
	s_and_not1_b32 vcc_lo, exec_lo, s2
	s_cbranch_vccnz .LBB89_141
; %bb.140:
	scratch_load_b64 v[53:54], v57, off
	ds_load_b64 v[63:64], v56
	s_waitcnt vmcnt(0) lgkmcnt(0)
	v_mul_f64 v[53:54], v[53:54], v[63:64]
	s_cbranch_execz .LBB89_142
	s_branch .LBB89_143
.LBB89_141:
                                        ; implicit-def: $vgpr53_vgpr54
.LBB89_142:
	ds_load_b64 v[53:54], v56
.LBB89_143:
	s_and_saveexec_b32 s4, s1
	s_cbranch_execz .LBB89_147
; %bb.144:
	v_dual_mov_b32 v63, 0 :: v_dual_add_nc_u32 v64, -11, v0
	s_movk_i32 s5, 0x128
	s_mov_b32 s1, 0
	s_delay_alu instid0(VALU_DEP_1)
	v_add_nc_u32_e32 v63, 0x58, v63
.LBB89_145:                             ; =>This Inner Loop Header: Depth=1
	scratch_load_b64 v[65:66], v63, off
	v_dual_mov_b32 v67, s5 :: v_dual_add_nc_u32 v64, -1, v64
	v_add_nc_u32_e32 v63, 8, v63
	s_add_i32 s5, s5, 8
	ds_load_b64 v[67:68], v67
	v_cmp_eq_u32_e32 vcc_lo, 0, v64
	s_or_b32 s1, vcc_lo, s1
	s_waitcnt vmcnt(0) lgkmcnt(0)
	v_fma_f64 v[53:54], v[65:66], v[67:68], v[53:54]
	s_and_not1_b32 exec_lo, exec_lo, s1
	s_cbranch_execnz .LBB89_145
; %bb.146:
	s_or_b32 exec_lo, exec_lo, s1
.LBB89_147:
	s_delay_alu instid0(SALU_CYCLE_1)
	s_or_b32 exec_lo, exec_lo, s4
	v_mov_b32_e32 v63, 0
	ds_load_b64 v[63:64], v63 offset:80
	s_waitcnt lgkmcnt(0)
	v_mul_f64 v[53:54], v[53:54], v[63:64]
	scratch_store_b64 off, v[53:54], off offset:80
.LBB89_148:
	s_or_b32 exec_lo, exec_lo, s3
	scratch_load_b64 v[53:54], off, off offset:72
	v_cmp_lt_u32_e64 s1, 9, v0
	s_waitcnt vmcnt(0)
	ds_store_b64 v56, v[53:54]
	s_waitcnt lgkmcnt(0)
	s_waitcnt_vscnt null, 0x0
	s_barrier
	buffer_gl0_inv
	s_and_saveexec_b32 s3, s1
	s_cbranch_execz .LBB89_158
; %bb.149:
	s_and_not1_b32 vcc_lo, exec_lo, s2
	s_cbranch_vccnz .LBB89_151
; %bb.150:
	scratch_load_b64 v[53:54], v57, off
	ds_load_b64 v[63:64], v56
	s_waitcnt vmcnt(0) lgkmcnt(0)
	v_mul_f64 v[53:54], v[53:54], v[63:64]
	s_cbranch_execz .LBB89_152
	s_branch .LBB89_153
.LBB89_151:
                                        ; implicit-def: $vgpr53_vgpr54
.LBB89_152:
	ds_load_b64 v[53:54], v56
.LBB89_153:
	s_and_saveexec_b32 s4, s0
	s_cbranch_execz .LBB89_157
; %bb.154:
	v_add_nc_u32_e32 v63, -10, v0
	s_movk_i32 s5, 0x120
	s_mov_b32 s0, 0
.LBB89_155:                             ; =>This Inner Loop Header: Depth=1
	scratch_load_b64 v[64:65], v62, off
	v_dual_mov_b32 v66, s5 :: v_dual_add_nc_u32 v63, -1, v63
	v_add_nc_u32_e32 v62, 8, v62
	s_add_i32 s5, s5, 8
	ds_load_b64 v[66:67], v66
	v_cmp_eq_u32_e32 vcc_lo, 0, v63
	s_or_b32 s0, vcc_lo, s0
	s_waitcnt vmcnt(0) lgkmcnt(0)
	v_fma_f64 v[53:54], v[64:65], v[66:67], v[53:54]
	s_and_not1_b32 exec_lo, exec_lo, s0
	s_cbranch_execnz .LBB89_155
; %bb.156:
	s_or_b32 exec_lo, exec_lo, s0
.LBB89_157:
	s_delay_alu instid0(SALU_CYCLE_1)
	s_or_b32 exec_lo, exec_lo, s4
	v_mov_b32_e32 v62, 0
	ds_load_b64 v[62:63], v62 offset:72
	s_waitcnt lgkmcnt(0)
	v_mul_f64 v[53:54], v[53:54], v[62:63]
	scratch_store_b64 off, v[53:54], off offset:72
.LBB89_158:
	s_or_b32 exec_lo, exec_lo, s3
	scratch_load_b64 v[53:54], off, off offset:64
	v_cmp_lt_u32_e64 s0, 8, v0
	s_waitcnt vmcnt(0)
	ds_store_b64 v56, v[53:54]
	s_waitcnt lgkmcnt(0)
	s_waitcnt_vscnt null, 0x0
	s_barrier
	buffer_gl0_inv
	s_and_saveexec_b32 s3, s0
	s_cbranch_execz .LBB89_168
; %bb.159:
	s_and_not1_b32 vcc_lo, exec_lo, s2
	s_cbranch_vccnz .LBB89_161
; %bb.160:
	scratch_load_b64 v[53:54], v57, off
	ds_load_b64 v[62:63], v56
	s_waitcnt vmcnt(0) lgkmcnt(0)
	v_mul_f64 v[53:54], v[53:54], v[62:63]
	s_cbranch_execz .LBB89_162
	s_branch .LBB89_163
.LBB89_161:
                                        ; implicit-def: $vgpr53_vgpr54
.LBB89_162:
	ds_load_b64 v[53:54], v56
.LBB89_163:
	s_and_saveexec_b32 s4, s1
	s_cbranch_execz .LBB89_167
; %bb.164:
	v_dual_mov_b32 v62, 0 :: v_dual_add_nc_u32 v63, -9, v0
	s_movk_i32 s5, 0x118
	s_mov_b32 s1, 0
	s_delay_alu instid0(VALU_DEP_1)
	v_add_nc_u32_e32 v62, 0x48, v62
.LBB89_165:                             ; =>This Inner Loop Header: Depth=1
	scratch_load_b64 v[64:65], v62, off
	v_dual_mov_b32 v66, s5 :: v_dual_add_nc_u32 v63, -1, v63
	v_add_nc_u32_e32 v62, 8, v62
	s_add_i32 s5, s5, 8
	ds_load_b64 v[66:67], v66
	v_cmp_eq_u32_e32 vcc_lo, 0, v63
	s_or_b32 s1, vcc_lo, s1
	s_waitcnt vmcnt(0) lgkmcnt(0)
	v_fma_f64 v[53:54], v[64:65], v[66:67], v[53:54]
	s_and_not1_b32 exec_lo, exec_lo, s1
	s_cbranch_execnz .LBB89_165
; %bb.166:
	s_or_b32 exec_lo, exec_lo, s1
.LBB89_167:
	s_delay_alu instid0(SALU_CYCLE_1)
	s_or_b32 exec_lo, exec_lo, s4
	v_mov_b32_e32 v62, 0
	ds_load_b64 v[62:63], v62 offset:64
	s_waitcnt lgkmcnt(0)
	v_mul_f64 v[53:54], v[53:54], v[62:63]
	scratch_store_b64 off, v[53:54], off offset:64
.LBB89_168:
	s_or_b32 exec_lo, exec_lo, s3
	scratch_load_b64 v[53:54], off, off offset:56
	v_cmp_lt_u32_e64 s1, 7, v0
	s_waitcnt vmcnt(0)
	ds_store_b64 v56, v[53:54]
	s_waitcnt lgkmcnt(0)
	s_waitcnt_vscnt null, 0x0
	s_barrier
	buffer_gl0_inv
	s_and_saveexec_b32 s3, s1
	s_cbranch_execz .LBB89_178
; %bb.169:
	s_and_not1_b32 vcc_lo, exec_lo, s2
	s_cbranch_vccnz .LBB89_171
; %bb.170:
	scratch_load_b64 v[53:54], v57, off
	ds_load_b64 v[62:63], v56
	s_waitcnt vmcnt(0) lgkmcnt(0)
	v_mul_f64 v[53:54], v[53:54], v[62:63]
	s_cbranch_execz .LBB89_172
	s_branch .LBB89_173
.LBB89_171:
                                        ; implicit-def: $vgpr53_vgpr54
.LBB89_172:
	ds_load_b64 v[53:54], v56
.LBB89_173:
	s_and_saveexec_b32 s4, s0
	s_cbranch_execz .LBB89_177
; %bb.174:
	v_add_nc_u32_e32 v62, -8, v0
	s_movk_i32 s5, 0x110
	s_mov_b32 s0, 0
.LBB89_175:                             ; =>This Inner Loop Header: Depth=1
	scratch_load_b64 v[63:64], v61, off
	v_dual_mov_b32 v65, s5 :: v_dual_add_nc_u32 v62, -1, v62
	v_add_nc_u32_e32 v61, 8, v61
	s_add_i32 s5, s5, 8
	ds_load_b64 v[65:66], v65
	v_cmp_eq_u32_e32 vcc_lo, 0, v62
	s_or_b32 s0, vcc_lo, s0
	s_waitcnt vmcnt(0) lgkmcnt(0)
	v_fma_f64 v[53:54], v[63:64], v[65:66], v[53:54]
	s_and_not1_b32 exec_lo, exec_lo, s0
	s_cbranch_execnz .LBB89_175
; %bb.176:
	s_or_b32 exec_lo, exec_lo, s0
.LBB89_177:
	s_delay_alu instid0(SALU_CYCLE_1)
	s_or_b32 exec_lo, exec_lo, s4
	v_mov_b32_e32 v61, 0
	ds_load_b64 v[61:62], v61 offset:56
	s_waitcnt lgkmcnt(0)
	v_mul_f64 v[53:54], v[53:54], v[61:62]
	scratch_store_b64 off, v[53:54], off offset:56
.LBB89_178:
	s_or_b32 exec_lo, exec_lo, s3
	scratch_load_b64 v[53:54], off, off offset:48
	v_cmp_lt_u32_e64 s0, 6, v0
	s_waitcnt vmcnt(0)
	ds_store_b64 v56, v[53:54]
	s_waitcnt lgkmcnt(0)
	s_waitcnt_vscnt null, 0x0
	s_barrier
	buffer_gl0_inv
	s_and_saveexec_b32 s3, s0
	s_cbranch_execz .LBB89_188
; %bb.179:
	s_and_not1_b32 vcc_lo, exec_lo, s2
	s_cbranch_vccnz .LBB89_181
; %bb.180:
	scratch_load_b64 v[53:54], v57, off
	ds_load_b64 v[61:62], v56
	s_waitcnt vmcnt(0) lgkmcnt(0)
	v_mul_f64 v[53:54], v[53:54], v[61:62]
	s_cbranch_execz .LBB89_182
	s_branch .LBB89_183
.LBB89_181:
                                        ; implicit-def: $vgpr53_vgpr54
.LBB89_182:
	ds_load_b64 v[53:54], v56
.LBB89_183:
	s_and_saveexec_b32 s4, s1
	s_cbranch_execz .LBB89_187
; %bb.184:
	v_add_nc_u32_e64 v61, 0, 56
	v_add_nc_u32_e32 v62, -7, v0
	s_movk_i32 s5, 0x108
	s_mov_b32 s1, 0
.LBB89_185:                             ; =>This Inner Loop Header: Depth=1
	scratch_load_b64 v[63:64], v61, off
	v_dual_mov_b32 v65, s5 :: v_dual_add_nc_u32 v62, -1, v62
	v_add_nc_u32_e32 v61, 8, v61
	s_add_i32 s5, s5, 8
	ds_load_b64 v[65:66], v65
	v_cmp_eq_u32_e32 vcc_lo, 0, v62
	s_or_b32 s1, vcc_lo, s1
	s_waitcnt vmcnt(0) lgkmcnt(0)
	v_fma_f64 v[53:54], v[63:64], v[65:66], v[53:54]
	s_and_not1_b32 exec_lo, exec_lo, s1
	s_cbranch_execnz .LBB89_185
; %bb.186:
	s_or_b32 exec_lo, exec_lo, s1
.LBB89_187:
	s_delay_alu instid0(SALU_CYCLE_1)
	s_or_b32 exec_lo, exec_lo, s4
	v_mov_b32_e32 v61, 0
	ds_load_b64 v[61:62], v61 offset:48
	s_waitcnt lgkmcnt(0)
	v_mul_f64 v[53:54], v[53:54], v[61:62]
	scratch_store_b64 off, v[53:54], off offset:48
.LBB89_188:
	s_or_b32 exec_lo, exec_lo, s3
	scratch_load_b64 v[53:54], off, off offset:40
	v_cmp_lt_u32_e64 s1, 5, v0
	s_waitcnt vmcnt(0)
	ds_store_b64 v56, v[53:54]
	s_waitcnt lgkmcnt(0)
	s_waitcnt_vscnt null, 0x0
	s_barrier
	buffer_gl0_inv
	s_and_saveexec_b32 s3, s1
	s_cbranch_execz .LBB89_198
; %bb.189:
	s_and_not1_b32 vcc_lo, exec_lo, s2
	s_cbranch_vccnz .LBB89_191
; %bb.190:
	scratch_load_b64 v[53:54], v57, off
	ds_load_b64 v[61:62], v56
	s_waitcnt vmcnt(0) lgkmcnt(0)
	v_mul_f64 v[53:54], v[53:54], v[61:62]
	s_cbranch_execz .LBB89_192
	s_branch .LBB89_193
.LBB89_191:
                                        ; implicit-def: $vgpr53_vgpr54
.LBB89_192:
	ds_load_b64 v[53:54], v56
.LBB89_193:
	s_and_saveexec_b32 s4, s0
	s_cbranch_execz .LBB89_197
; %bb.194:
	v_add_nc_u32_e32 v61, -6, v0
	s_movk_i32 s5, 0x100
	s_mov_b32 s0, 0
.LBB89_195:                             ; =>This Inner Loop Header: Depth=1
	scratch_load_b64 v[62:63], v60, off
	v_dual_mov_b32 v64, s5 :: v_dual_add_nc_u32 v61, -1, v61
	v_add_nc_u32_e32 v60, 8, v60
	s_add_i32 s5, s5, 8
	ds_load_b64 v[64:65], v64
	v_cmp_eq_u32_e32 vcc_lo, 0, v61
	s_or_b32 s0, vcc_lo, s0
	s_waitcnt vmcnt(0) lgkmcnt(0)
	v_fma_f64 v[53:54], v[62:63], v[64:65], v[53:54]
	s_and_not1_b32 exec_lo, exec_lo, s0
	s_cbranch_execnz .LBB89_195
; %bb.196:
	s_or_b32 exec_lo, exec_lo, s0
.LBB89_197:
	s_delay_alu instid0(SALU_CYCLE_1)
	s_or_b32 exec_lo, exec_lo, s4
	v_mov_b32_e32 v60, 0
	ds_load_b64 v[60:61], v60 offset:40
	s_waitcnt lgkmcnt(0)
	v_mul_f64 v[53:54], v[53:54], v[60:61]
	scratch_store_b64 off, v[53:54], off offset:40
.LBB89_198:
	s_or_b32 exec_lo, exec_lo, s3
	scratch_load_b64 v[53:54], off, off offset:32
	v_cmp_lt_u32_e64 s0, 4, v0
	s_waitcnt vmcnt(0)
	ds_store_b64 v56, v[53:54]
	s_waitcnt lgkmcnt(0)
	s_waitcnt_vscnt null, 0x0
	s_barrier
	buffer_gl0_inv
	s_and_saveexec_b32 s3, s0
	s_cbranch_execz .LBB89_208
; %bb.199:
	s_and_not1_b32 vcc_lo, exec_lo, s2
	s_cbranch_vccnz .LBB89_201
; %bb.200:
	scratch_load_b64 v[53:54], v57, off
	ds_load_b64 v[60:61], v56
	s_waitcnt vmcnt(0) lgkmcnt(0)
	v_mul_f64 v[53:54], v[53:54], v[60:61]
	s_cbranch_execz .LBB89_202
	s_branch .LBB89_203
.LBB89_201:
                                        ; implicit-def: $vgpr53_vgpr54
.LBB89_202:
	ds_load_b64 v[53:54], v56
.LBB89_203:
	s_and_saveexec_b32 s4, s1
	s_cbranch_execz .LBB89_207
; %bb.204:
	v_add_nc_u32_e64 v60, 0, 40
	v_add_nc_u32_e32 v61, -5, v0
	s_movk_i32 s5, 0xf8
	s_mov_b32 s1, 0
.LBB89_205:                             ; =>This Inner Loop Header: Depth=1
	scratch_load_b64 v[62:63], v60, off
	v_dual_mov_b32 v64, s5 :: v_dual_add_nc_u32 v61, -1, v61
	v_add_nc_u32_e32 v60, 8, v60
	s_add_i32 s5, s5, 8
	ds_load_b64 v[64:65], v64
	v_cmp_eq_u32_e32 vcc_lo, 0, v61
	s_or_b32 s1, vcc_lo, s1
	s_waitcnt vmcnt(0) lgkmcnt(0)
	v_fma_f64 v[53:54], v[62:63], v[64:65], v[53:54]
	s_and_not1_b32 exec_lo, exec_lo, s1
	s_cbranch_execnz .LBB89_205
; %bb.206:
	s_or_b32 exec_lo, exec_lo, s1
.LBB89_207:
	s_delay_alu instid0(SALU_CYCLE_1)
	s_or_b32 exec_lo, exec_lo, s4
	v_mov_b32_e32 v60, 0
	ds_load_b64 v[60:61], v60 offset:32
	s_waitcnt lgkmcnt(0)
	v_mul_f64 v[53:54], v[53:54], v[60:61]
	scratch_store_b64 off, v[53:54], off offset:32
.LBB89_208:
	s_or_b32 exec_lo, exec_lo, s3
	scratch_load_b64 v[53:54], off, off offset:24
	v_cmp_lt_u32_e64 s1, 3, v0
	s_waitcnt vmcnt(0)
	ds_store_b64 v56, v[53:54]
	s_waitcnt lgkmcnt(0)
	s_waitcnt_vscnt null, 0x0
	s_barrier
	buffer_gl0_inv
	s_and_saveexec_b32 s3, s1
	s_cbranch_execz .LBB89_218
; %bb.209:
	s_and_not1_b32 vcc_lo, exec_lo, s2
	s_cbranch_vccnz .LBB89_211
; %bb.210:
	scratch_load_b64 v[53:54], v57, off
	ds_load_b64 v[60:61], v56
	s_waitcnt vmcnt(0) lgkmcnt(0)
	v_mul_f64 v[53:54], v[53:54], v[60:61]
	s_cbranch_execz .LBB89_212
	s_branch .LBB89_213
.LBB89_211:
                                        ; implicit-def: $vgpr53_vgpr54
.LBB89_212:
	ds_load_b64 v[53:54], v56
.LBB89_213:
	s_and_saveexec_b32 s4, s0
	s_cbranch_execz .LBB89_217
; %bb.214:
	v_add_nc_u32_e32 v60, -4, v0
	s_movk_i32 s5, 0xf0
	s_mov_b32 s0, 0
.LBB89_215:                             ; =>This Inner Loop Header: Depth=1
	scratch_load_b64 v[61:62], v59, off
	v_dual_mov_b32 v63, s5 :: v_dual_add_nc_u32 v60, -1, v60
	v_add_nc_u32_e32 v59, 8, v59
	s_add_i32 s5, s5, 8
	ds_load_b64 v[63:64], v63
	v_cmp_eq_u32_e32 vcc_lo, 0, v60
	s_or_b32 s0, vcc_lo, s0
	s_waitcnt vmcnt(0) lgkmcnt(0)
	v_fma_f64 v[53:54], v[61:62], v[63:64], v[53:54]
	s_and_not1_b32 exec_lo, exec_lo, s0
	s_cbranch_execnz .LBB89_215
; %bb.216:
	s_or_b32 exec_lo, exec_lo, s0
.LBB89_217:
	s_delay_alu instid0(SALU_CYCLE_1)
	s_or_b32 exec_lo, exec_lo, s4
	v_mov_b32_e32 v59, 0
	ds_load_b64 v[59:60], v59 offset:24
	s_waitcnt lgkmcnt(0)
	v_mul_f64 v[53:54], v[53:54], v[59:60]
	scratch_store_b64 off, v[53:54], off offset:24
.LBB89_218:
	s_or_b32 exec_lo, exec_lo, s3
	scratch_load_b64 v[53:54], off, off offset:16
	v_cmp_lt_u32_e64 s0, 2, v0
	s_waitcnt vmcnt(0)
	ds_store_b64 v56, v[53:54]
	s_waitcnt lgkmcnt(0)
	s_waitcnt_vscnt null, 0x0
	s_barrier
	buffer_gl0_inv
	s_and_saveexec_b32 s3, s0
	s_cbranch_execz .LBB89_228
; %bb.219:
	s_and_not1_b32 vcc_lo, exec_lo, s2
	s_cbranch_vccnz .LBB89_221
; %bb.220:
	scratch_load_b64 v[53:54], v57, off
	ds_load_b64 v[59:60], v56
	s_waitcnt vmcnt(0) lgkmcnt(0)
	v_mul_f64 v[53:54], v[53:54], v[59:60]
	s_cbranch_execz .LBB89_222
	s_branch .LBB89_223
.LBB89_221:
                                        ; implicit-def: $vgpr53_vgpr54
.LBB89_222:
	ds_load_b64 v[53:54], v56
.LBB89_223:
	s_and_saveexec_b32 s4, s1
	s_cbranch_execz .LBB89_227
; %bb.224:
	v_add_nc_u32_e64 v59, 0, 24
	v_add_nc_u32_e32 v60, -3, v0
	s_movk_i32 s5, 0xe8
	s_mov_b32 s1, 0
.LBB89_225:                             ; =>This Inner Loop Header: Depth=1
	scratch_load_b64 v[61:62], v59, off
	v_dual_mov_b32 v63, s5 :: v_dual_add_nc_u32 v60, -1, v60
	v_add_nc_u32_e32 v59, 8, v59
	s_add_i32 s5, s5, 8
	ds_load_b64 v[63:64], v63
	v_cmp_eq_u32_e32 vcc_lo, 0, v60
	s_or_b32 s1, vcc_lo, s1
	s_waitcnt vmcnt(0) lgkmcnt(0)
	v_fma_f64 v[53:54], v[61:62], v[63:64], v[53:54]
	s_and_not1_b32 exec_lo, exec_lo, s1
	s_cbranch_execnz .LBB89_225
; %bb.226:
	s_or_b32 exec_lo, exec_lo, s1
.LBB89_227:
	s_delay_alu instid0(SALU_CYCLE_1)
	s_or_b32 exec_lo, exec_lo, s4
	v_mov_b32_e32 v59, 0
	ds_load_b64 v[59:60], v59 offset:16
	s_waitcnt lgkmcnt(0)
	v_mul_f64 v[53:54], v[53:54], v[59:60]
	scratch_store_b64 off, v[53:54], off offset:16
.LBB89_228:
	s_or_b32 exec_lo, exec_lo, s3
	scratch_load_b64 v[53:54], off, off offset:8
	v_cmp_lt_u32_e64 s1, 1, v0
	s_waitcnt vmcnt(0)
	ds_store_b64 v56, v[53:54]
	s_waitcnt lgkmcnt(0)
	s_waitcnt_vscnt null, 0x0
	s_barrier
	buffer_gl0_inv
	s_and_saveexec_b32 s3, s1
	s_cbranch_execz .LBB89_238
; %bb.229:
	s_and_not1_b32 vcc_lo, exec_lo, s2
	s_cbranch_vccnz .LBB89_231
; %bb.230:
	scratch_load_b64 v[53:54], v57, off
	ds_load_b64 v[59:60], v56
	s_waitcnt vmcnt(0) lgkmcnt(0)
	v_mul_f64 v[53:54], v[53:54], v[59:60]
	s_cbranch_execz .LBB89_232
	s_branch .LBB89_233
.LBB89_231:
                                        ; implicit-def: $vgpr53_vgpr54
.LBB89_232:
	ds_load_b64 v[53:54], v56
.LBB89_233:
	s_and_saveexec_b32 s4, s0
	s_cbranch_execz .LBB89_237
; %bb.234:
	v_add_nc_u32_e32 v59, -2, v0
	s_movk_i32 s5, 0xe0
	s_mov_b32 s0, 0
.LBB89_235:                             ; =>This Inner Loop Header: Depth=1
	scratch_load_b64 v[60:61], v58, off
	v_dual_mov_b32 v62, s5 :: v_dual_add_nc_u32 v59, -1, v59
	v_add_nc_u32_e32 v58, 8, v58
	s_add_i32 s5, s5, 8
	ds_load_b64 v[62:63], v62
	v_cmp_eq_u32_e32 vcc_lo, 0, v59
	s_or_b32 s0, vcc_lo, s0
	s_waitcnt vmcnt(0) lgkmcnt(0)
	v_fma_f64 v[53:54], v[60:61], v[62:63], v[53:54]
	s_and_not1_b32 exec_lo, exec_lo, s0
	s_cbranch_execnz .LBB89_235
; %bb.236:
	s_or_b32 exec_lo, exec_lo, s0
.LBB89_237:
	s_delay_alu instid0(SALU_CYCLE_1)
	s_or_b32 exec_lo, exec_lo, s4
	v_mov_b32_e32 v58, 0
	ds_load_b64 v[58:59], v58 offset:8
	s_waitcnt lgkmcnt(0)
	v_mul_f64 v[53:54], v[53:54], v[58:59]
	scratch_store_b64 off, v[53:54], off offset:8
.LBB89_238:
	s_or_b32 exec_lo, exec_lo, s3
	scratch_load_b64 v[53:54], off, off
	s_mov_b32 s0, 0
	s_mov_b32 s3, exec_lo
	s_waitcnt vmcnt(0)
	ds_store_b64 v56, v[53:54]
	s_waitcnt lgkmcnt(0)
	s_waitcnt_vscnt null, 0x0
	s_barrier
	buffer_gl0_inv
	v_cmpx_ne_u32_e32 0, v0
	s_cbranch_execz .LBB89_248
; %bb.239:
	s_and_not1_b32 vcc_lo, exec_lo, s2
	s_cbranch_vccnz .LBB89_241
; %bb.240:
	scratch_load_b64 v[53:54], v57, off
	ds_load_b64 v[58:59], v56
	s_waitcnt vmcnt(0) lgkmcnt(0)
	v_mul_f64 v[53:54], v[53:54], v[58:59]
	s_cbranch_execz .LBB89_242
	s_branch .LBB89_243
.LBB89_241:
                                        ; implicit-def: $vgpr53_vgpr54
.LBB89_242:
	ds_load_b64 v[53:54], v56
.LBB89_243:
	s_and_saveexec_b32 s4, s1
	s_cbranch_execz .LBB89_247
; %bb.244:
	v_or_b32_e64 v58, 0, 8
	v_add_nc_u32_e32 v59, -1, v0
	s_movk_i32 s5, 0xd8
	s_mov_b32 s1, 0
.LBB89_245:                             ; =>This Inner Loop Header: Depth=1
	scratch_load_b64 v[60:61], v58, off
	v_dual_mov_b32 v62, s5 :: v_dual_add_nc_u32 v59, -1, v59
	v_add_nc_u32_e32 v58, 8, v58
	s_add_i32 s5, s5, 8
	ds_load_b64 v[62:63], v62
	v_cmp_eq_u32_e32 vcc_lo, 0, v59
	s_or_b32 s1, vcc_lo, s1
	s_waitcnt vmcnt(0) lgkmcnt(0)
	v_fma_f64 v[53:54], v[60:61], v[62:63], v[53:54]
	s_and_not1_b32 exec_lo, exec_lo, s1
	s_cbranch_execnz .LBB89_245
; %bb.246:
	s_or_b32 exec_lo, exec_lo, s1
.LBB89_247:
	s_delay_alu instid0(SALU_CYCLE_1)
	s_or_b32 exec_lo, exec_lo, s4
	v_mov_b32_e32 v58, 0
	ds_load_b64 v[58:59], v58
	s_waitcnt lgkmcnt(0)
	v_mul_f64 v[53:54], v[53:54], v[58:59]
	scratch_store_b64 off, v[53:54], off
.LBB89_248:
	s_or_b32 exec_lo, exec_lo, s3
.LBB89_249:
	s_delay_alu instid0(SALU_CYCLE_1)
	s_and_b32 vcc_lo, exec_lo, s0
	s_cbranch_vccz .LBB89_495
; %bb.250:
	scratch_load_b64 v[53:54], off, off offset:8
	v_cmp_eq_u32_e64 s0, 0, v0
	s_waitcnt vmcnt(0)
	ds_store_b64 v56, v[53:54]
	s_waitcnt lgkmcnt(0)
	s_waitcnt_vscnt null, 0x0
	s_barrier
	buffer_gl0_inv
	s_and_saveexec_b32 s1, s0
	s_cbranch_execz .LBB89_256
; %bb.251:
	s_and_b32 vcc_lo, exec_lo, s2
	s_cbranch_vccz .LBB89_253
; %bb.252:
	scratch_load_b64 v[53:54], v57, off
	ds_load_b64 v[58:59], v56
	s_waitcnt vmcnt(0) lgkmcnt(0)
	v_mul_f64 v[53:54], v[53:54], v[58:59]
	s_cbranch_execz .LBB89_254
	s_branch .LBB89_255
.LBB89_253:
                                        ; implicit-def: $vgpr53_vgpr54
.LBB89_254:
	ds_load_b64 v[53:54], v56
.LBB89_255:
	v_mov_b32_e32 v58, 0
	ds_load_b64 v[58:59], v58 offset:8
	s_waitcnt lgkmcnt(0)
	v_mul_f64 v[53:54], v[53:54], v[58:59]
	scratch_store_b64 off, v[53:54], off offset:8
.LBB89_256:
	s_or_b32 exec_lo, exec_lo, s1
	scratch_load_b64 v[53:54], off, off offset:16
	v_cndmask_b32_e64 v58, 0, 1, s2
	s_mov_b32 s1, exec_lo
	s_waitcnt vmcnt(0)
	ds_store_b64 v56, v[53:54]
	s_waitcnt lgkmcnt(0)
	s_waitcnt_vscnt null, 0x0
	s_barrier
	buffer_gl0_inv
	v_cmpx_gt_u32_e32 2, v0
	s_cbranch_execz .LBB89_264
; %bb.257:
	s_and_not1_b32 vcc_lo, exec_lo, s2
	s_cbranch_vccnz .LBB89_259
; %bb.258:
	scratch_load_b64 v[53:54], v57, off
	ds_load_b64 v[59:60], v56
	s_waitcnt vmcnt(0) lgkmcnt(0)
	v_mul_f64 v[53:54], v[53:54], v[59:60]
	s_cbranch_execz .LBB89_260
	s_branch .LBB89_261
.LBB89_259:
                                        ; implicit-def: $vgpr53_vgpr54
.LBB89_260:
	ds_load_b64 v[53:54], v56
.LBB89_261:
	s_and_saveexec_b32 s2, s0
	s_cbranch_execz .LBB89_263
; %bb.262:
	scratch_load_b64 v[59:60], v57, off offset:8
	ds_load_b64 v[61:62], v56 offset:8
	s_waitcnt vmcnt(0) lgkmcnt(0)
	v_fma_f64 v[53:54], v[59:60], v[61:62], v[53:54]
.LBB89_263:
	s_or_b32 exec_lo, exec_lo, s2
	v_mov_b32_e32 v59, 0
	ds_load_b64 v[59:60], v59 offset:16
	s_waitcnt lgkmcnt(0)
	v_mul_f64 v[53:54], v[53:54], v[59:60]
	scratch_store_b64 off, v[53:54], off offset:16
.LBB89_264:
	s_or_b32 exec_lo, exec_lo, s1
	scratch_load_b64 v[53:54], off, off offset:24
	s_mov_b32 s1, exec_lo
	s_waitcnt vmcnt(0)
	ds_store_b64 v56, v[53:54]
	s_waitcnt lgkmcnt(0)
	s_waitcnt_vscnt null, 0x0
	s_barrier
	buffer_gl0_inv
	v_cmpx_gt_u32_e32 3, v0
	s_cbranch_execz .LBB89_274
; %bb.265:
	v_cmp_ne_u32_e32 vcc_lo, 1, v58
	s_cbranch_vccnz .LBB89_267
; %bb.266:
	scratch_load_b64 v[53:54], v57, off
	ds_load_b64 v[59:60], v56
	s_waitcnt vmcnt(0) lgkmcnt(0)
	v_mul_f64 v[53:54], v[53:54], v[59:60]
	s_cbranch_execz .LBB89_268
	s_branch .LBB89_269
.LBB89_267:
                                        ; implicit-def: $vgpr53_vgpr54
.LBB89_268:
	ds_load_b64 v[53:54], v56
.LBB89_269:
	s_mov_b32 s2, exec_lo
	v_cmpx_ne_u32_e32 2, v0
	s_cbranch_execz .LBB89_273
; %bb.270:
	scratch_load_b64 v[59:60], v57, off offset:8
	ds_load_b64 v[61:62], v56 offset:8
	s_waitcnt vmcnt(0) lgkmcnt(0)
	v_fma_f64 v[53:54], v[59:60], v[61:62], v[53:54]
	s_and_saveexec_b32 s3, s0
	s_cbranch_execz .LBB89_272
; %bb.271:
	scratch_load_b64 v[59:60], off, off offset:16
	v_mov_b32_e32 v61, 0
	ds_load_b64 v[61:62], v61 offset:224
	s_waitcnt vmcnt(0) lgkmcnt(0)
	v_fma_f64 v[53:54], v[59:60], v[61:62], v[53:54]
.LBB89_272:
	s_or_b32 exec_lo, exec_lo, s3
.LBB89_273:
	s_delay_alu instid0(SALU_CYCLE_1)
	s_or_b32 exec_lo, exec_lo, s2
	v_mov_b32_e32 v59, 0
	ds_load_b64 v[59:60], v59 offset:24
	s_waitcnt lgkmcnt(0)
	v_mul_f64 v[53:54], v[53:54], v[59:60]
	scratch_store_b64 off, v[53:54], off offset:24
.LBB89_274:
	s_or_b32 exec_lo, exec_lo, s1
	scratch_load_b64 v[53:54], off, off offset:32
	s_mov_b32 s0, exec_lo
	s_waitcnt vmcnt(0)
	ds_store_b64 v56, v[53:54]
	s_waitcnt lgkmcnt(0)
	s_waitcnt_vscnt null, 0x0
	s_barrier
	buffer_gl0_inv
	v_cmpx_gt_u32_e32 4, v0
	s_cbranch_execz .LBB89_284
; %bb.275:
	v_cmp_ne_u32_e32 vcc_lo, 1, v58
	s_cbranch_vccnz .LBB89_277
; %bb.276:
	scratch_load_b64 v[53:54], v57, off
	ds_load_b64 v[59:60], v56
	s_waitcnt vmcnt(0) lgkmcnt(0)
	v_mul_f64 v[53:54], v[53:54], v[59:60]
	s_cbranch_execz .LBB89_278
	s_branch .LBB89_279
.LBB89_277:
                                        ; implicit-def: $vgpr53_vgpr54
.LBB89_278:
	ds_load_b64 v[53:54], v56
.LBB89_279:
	s_mov_b32 s1, exec_lo
	v_cmpx_ne_u32_e32 3, v0
	s_cbranch_execz .LBB89_283
; %bb.280:
	v_add_nc_u32_e32 v59, 0xd8, v55
	v_add3_u32 v60, 0, v55, 8
	v_mov_b32_e32 v61, v0
	s_mov_b32 s2, 0
.LBB89_281:                             ; =>This Inner Loop Header: Depth=1
	scratch_load_b64 v[62:63], v60, off
	ds_load_b64 v[64:65], v59
	v_add_nc_u32_e32 v61, 1, v61
	v_add_nc_u32_e32 v59, 8, v59
	v_add_nc_u32_e32 v60, 8, v60
	s_delay_alu instid0(VALU_DEP_3)
	v_cmp_lt_u32_e32 vcc_lo, 2, v61
	s_or_b32 s2, vcc_lo, s2
	s_waitcnt vmcnt(0) lgkmcnt(0)
	v_fma_f64 v[53:54], v[62:63], v[64:65], v[53:54]
	s_and_not1_b32 exec_lo, exec_lo, s2
	s_cbranch_execnz .LBB89_281
; %bb.282:
	s_or_b32 exec_lo, exec_lo, s2
.LBB89_283:
	s_delay_alu instid0(SALU_CYCLE_1)
	s_or_b32 exec_lo, exec_lo, s1
	v_mov_b32_e32 v59, 0
	ds_load_b64 v[59:60], v59 offset:32
	s_waitcnt lgkmcnt(0)
	v_mul_f64 v[53:54], v[53:54], v[59:60]
	scratch_store_b64 off, v[53:54], off offset:32
.LBB89_284:
	s_or_b32 exec_lo, exec_lo, s0
	scratch_load_b64 v[53:54], off, off offset:40
	s_mov_b32 s0, exec_lo
	s_waitcnt vmcnt(0)
	ds_store_b64 v56, v[53:54]
	s_waitcnt lgkmcnt(0)
	s_waitcnt_vscnt null, 0x0
	s_barrier
	buffer_gl0_inv
	v_cmpx_gt_u32_e32 5, v0
	s_cbranch_execz .LBB89_294
; %bb.285:
	v_cmp_ne_u32_e32 vcc_lo, 1, v58
	s_cbranch_vccnz .LBB89_287
; %bb.286:
	scratch_load_b64 v[53:54], v57, off
	ds_load_b64 v[59:60], v56
	s_waitcnt vmcnt(0) lgkmcnt(0)
	v_mul_f64 v[53:54], v[53:54], v[59:60]
	s_cbranch_execz .LBB89_288
	s_branch .LBB89_289
.LBB89_287:
                                        ; implicit-def: $vgpr53_vgpr54
.LBB89_288:
	ds_load_b64 v[53:54], v56
.LBB89_289:
	s_mov_b32 s1, exec_lo
	v_cmpx_ne_u32_e32 4, v0
	s_cbranch_execz .LBB89_293
; %bb.290:
	v_add_nc_u32_e32 v59, 0xd8, v55
	v_add3_u32 v60, 0, v55, 8
	v_mov_b32_e32 v61, v0
	s_mov_b32 s2, 0
.LBB89_291:                             ; =>This Inner Loop Header: Depth=1
	scratch_load_b64 v[62:63], v60, off
	ds_load_b64 v[64:65], v59
	v_add_nc_u32_e32 v61, 1, v61
	v_add_nc_u32_e32 v59, 8, v59
	v_add_nc_u32_e32 v60, 8, v60
	s_delay_alu instid0(VALU_DEP_3)
	v_cmp_lt_u32_e32 vcc_lo, 3, v61
	s_or_b32 s2, vcc_lo, s2
	s_waitcnt vmcnt(0) lgkmcnt(0)
	v_fma_f64 v[53:54], v[62:63], v[64:65], v[53:54]
	s_and_not1_b32 exec_lo, exec_lo, s2
	s_cbranch_execnz .LBB89_291
; %bb.292:
	s_or_b32 exec_lo, exec_lo, s2
.LBB89_293:
	s_delay_alu instid0(SALU_CYCLE_1)
	s_or_b32 exec_lo, exec_lo, s1
	v_mov_b32_e32 v59, 0
	ds_load_b64 v[59:60], v59 offset:40
	s_waitcnt lgkmcnt(0)
	v_mul_f64 v[53:54], v[53:54], v[59:60]
	scratch_store_b64 off, v[53:54], off offset:40
.LBB89_294:
	;; [unrolled: 58-line block ×20, first 2 shown]
	s_or_b32 exec_lo, exec_lo, s0
	scratch_load_b64 v[53:54], off, off offset:192
	v_cmp_gt_u32_e64 s0, 24, v0
	s_waitcnt vmcnt(0)
	ds_store_b64 v56, v[53:54]
	s_waitcnt lgkmcnt(0)
	s_waitcnt_vscnt null, 0x0
	s_barrier
	buffer_gl0_inv
	s_and_saveexec_b32 s1, s0
	s_cbranch_execz .LBB89_484
; %bb.475:
	v_cmp_ne_u32_e32 vcc_lo, 1, v58
	s_cbranch_vccnz .LBB89_477
; %bb.476:
	scratch_load_b64 v[53:54], v57, off
	ds_load_b64 v[59:60], v56
	s_waitcnt vmcnt(0) lgkmcnt(0)
	v_mul_f64 v[53:54], v[53:54], v[59:60]
	s_cbranch_execz .LBB89_478
	s_branch .LBB89_479
.LBB89_477:
                                        ; implicit-def: $vgpr53_vgpr54
.LBB89_478:
	ds_load_b64 v[53:54], v56
.LBB89_479:
	s_mov_b32 s2, exec_lo
	v_cmpx_ne_u32_e32 23, v0
	s_cbranch_execz .LBB89_483
; %bb.480:
	v_add_nc_u32_e32 v59, 0xd8, v55
	v_add3_u32 v60, 0, v55, 8
	v_mov_b32_e32 v61, v0
	s_mov_b32 s3, 0
.LBB89_481:                             ; =>This Inner Loop Header: Depth=1
	scratch_load_b64 v[62:63], v60, off
	ds_load_b64 v[64:65], v59
	v_add_nc_u32_e32 v61, 1, v61
	v_add_nc_u32_e32 v59, 8, v59
	;; [unrolled: 1-line block ×3, first 2 shown]
	s_delay_alu instid0(VALU_DEP_3)
	v_cmp_lt_u32_e32 vcc_lo, 22, v61
	s_or_b32 s3, vcc_lo, s3
	s_waitcnt vmcnt(0) lgkmcnt(0)
	v_fma_f64 v[53:54], v[62:63], v[64:65], v[53:54]
	s_and_not1_b32 exec_lo, exec_lo, s3
	s_cbranch_execnz .LBB89_481
; %bb.482:
	s_or_b32 exec_lo, exec_lo, s3
.LBB89_483:
	s_delay_alu instid0(SALU_CYCLE_1)
	s_or_b32 exec_lo, exec_lo, s2
	v_mov_b32_e32 v59, 0
	ds_load_b64 v[59:60], v59 offset:192
	s_waitcnt lgkmcnt(0)
	v_mul_f64 v[53:54], v[53:54], v[59:60]
	scratch_store_b64 off, v[53:54], off offset:192
.LBB89_484:
	s_or_b32 exec_lo, exec_lo, s1
	scratch_load_b64 v[53:54], off, off offset:200
	s_mov_b32 s1, exec_lo
	s_waitcnt vmcnt(0)
	ds_store_b64 v56, v[53:54]
	s_waitcnt lgkmcnt(0)
	s_waitcnt_vscnt null, 0x0
	s_barrier
	buffer_gl0_inv
	v_cmpx_ne_u32_e32 25, v0
	s_cbranch_execz .LBB89_494
; %bb.485:
	v_cmp_ne_u32_e32 vcc_lo, 1, v58
	s_cbranch_vccnz .LBB89_487
; %bb.486:
	scratch_load_b64 v[53:54], v57, off
	ds_load_b64 v[57:58], v56
	s_waitcnt vmcnt(0) lgkmcnt(0)
	v_mul_f64 v[53:54], v[53:54], v[57:58]
	s_cbranch_execz .LBB89_488
	s_branch .LBB89_489
.LBB89_487:
                                        ; implicit-def: $vgpr53_vgpr54
.LBB89_488:
	ds_load_b64 v[53:54], v56
.LBB89_489:
	s_and_saveexec_b32 s2, s0
	s_cbranch_execz .LBB89_493
; %bb.490:
	v_add_nc_u32_e32 v56, 0xd8, v55
	v_add3_u32 v55, 0, v55, 8
	s_mov_b32 s0, 0
.LBB89_491:                             ; =>This Inner Loop Header: Depth=1
	scratch_load_b64 v[57:58], v55, off
	ds_load_b64 v[59:60], v56
	v_add_nc_u32_e32 v0, 1, v0
	v_add_nc_u32_e32 v56, 8, v56
	;; [unrolled: 1-line block ×3, first 2 shown]
	s_delay_alu instid0(VALU_DEP_3)
	v_cmp_lt_u32_e32 vcc_lo, 23, v0
	s_or_b32 s0, vcc_lo, s0
	s_waitcnt vmcnt(0) lgkmcnt(0)
	v_fma_f64 v[53:54], v[57:58], v[59:60], v[53:54]
	s_and_not1_b32 exec_lo, exec_lo, s0
	s_cbranch_execnz .LBB89_491
; %bb.492:
	s_or_b32 exec_lo, exec_lo, s0
.LBB89_493:
	s_delay_alu instid0(SALU_CYCLE_1)
	s_or_b32 exec_lo, exec_lo, s2
	v_mov_b32_e32 v0, 0
	ds_load_b64 v[55:56], v0 offset:200
	s_waitcnt lgkmcnt(0)
	v_mul_f64 v[53:54], v[53:54], v[55:56]
	scratch_store_b64 off, v[53:54], off offset:200
.LBB89_494:
	s_or_b32 exec_lo, exec_lo, s1
.LBB89_495:
	s_clause 0x9
	scratch_load_b128 v[53:56], off, off
	scratch_load_b128 v[57:60], off, off offset:16
	scratch_load_b128 v[61:64], off, off offset:32
	;; [unrolled: 1-line block ×9, first 2 shown]
	s_waitcnt vmcnt(9)
	s_clause 0x1
	global_store_b64 v[5:6], v[53:54], off
	global_store_b64 v[7:8], v[55:56], off
	s_clause 0x1
	scratch_load_b128 v[5:8], off, off offset:160
	scratch_load_b128 v[53:56], off, off offset:176
	s_waitcnt vmcnt(10)
	s_clause 0x1
	global_store_b64 v[9:10], v[57:58], off
	global_store_b64 v[11:12], v[59:60], off
	scratch_load_b128 v[9:12], off, off offset:192
	s_waitcnt vmcnt(10)
	s_clause 0x1
	global_store_b64 v[3:4], v[61:62], off
	global_store_b64 v[1:2], v[63:64], off
	s_waitcnt vmcnt(9)
	s_clause 0x1
	global_store_b64 v[13:14], v[65:66], off
	global_store_b64 v[15:16], v[67:68], off
	;; [unrolled: 4-line block ×11, first 2 shown]
.LBB89_496:
	s_endpgm
	.section	.rodata,"a",@progbits
	.p2align	6, 0x0
	.amdhsa_kernel _ZN9rocsolver6v33100L18trti2_kernel_smallILi26EdPKPdEEv13rocblas_fill_17rocblas_diagonal_T1_iil
		.amdhsa_group_segment_fixed_size 416
		.amdhsa_private_segment_fixed_size 224
		.amdhsa_kernarg_size 32
		.amdhsa_user_sgpr_count 15
		.amdhsa_user_sgpr_dispatch_ptr 0
		.amdhsa_user_sgpr_queue_ptr 0
		.amdhsa_user_sgpr_kernarg_segment_ptr 1
		.amdhsa_user_sgpr_dispatch_id 0
		.amdhsa_user_sgpr_private_segment_size 0
		.amdhsa_wavefront_size32 1
		.amdhsa_uses_dynamic_stack 0
		.amdhsa_enable_private_segment 1
		.amdhsa_system_sgpr_workgroup_id_x 1
		.amdhsa_system_sgpr_workgroup_id_y 0
		.amdhsa_system_sgpr_workgroup_id_z 0
		.amdhsa_system_sgpr_workgroup_info 0
		.amdhsa_system_vgpr_workitem_id 0
		.amdhsa_next_free_vgpr 94
		.amdhsa_next_free_sgpr 16
		.amdhsa_reserve_vcc 1
		.amdhsa_float_round_mode_32 0
		.amdhsa_float_round_mode_16_64 0
		.amdhsa_float_denorm_mode_32 3
		.amdhsa_float_denorm_mode_16_64 3
		.amdhsa_dx10_clamp 1
		.amdhsa_ieee_mode 1
		.amdhsa_fp16_overflow 0
		.amdhsa_workgroup_processor_mode 1
		.amdhsa_memory_ordered 1
		.amdhsa_forward_progress 0
		.amdhsa_shared_vgpr_count 0
		.amdhsa_exception_fp_ieee_invalid_op 0
		.amdhsa_exception_fp_denorm_src 0
		.amdhsa_exception_fp_ieee_div_zero 0
		.amdhsa_exception_fp_ieee_overflow 0
		.amdhsa_exception_fp_ieee_underflow 0
		.amdhsa_exception_fp_ieee_inexact 0
		.amdhsa_exception_int_div_zero 0
	.end_amdhsa_kernel
	.section	.text._ZN9rocsolver6v33100L18trti2_kernel_smallILi26EdPKPdEEv13rocblas_fill_17rocblas_diagonal_T1_iil,"axG",@progbits,_ZN9rocsolver6v33100L18trti2_kernel_smallILi26EdPKPdEEv13rocblas_fill_17rocblas_diagonal_T1_iil,comdat
.Lfunc_end89:
	.size	_ZN9rocsolver6v33100L18trti2_kernel_smallILi26EdPKPdEEv13rocblas_fill_17rocblas_diagonal_T1_iil, .Lfunc_end89-_ZN9rocsolver6v33100L18trti2_kernel_smallILi26EdPKPdEEv13rocblas_fill_17rocblas_diagonal_T1_iil
                                        ; -- End function
	.section	.AMDGPU.csdata,"",@progbits
; Kernel info:
; codeLenInByte = 13960
; NumSgprs: 18
; NumVgprs: 94
; ScratchSize: 224
; MemoryBound: 0
; FloatMode: 240
; IeeeMode: 1
; LDSByteSize: 416 bytes/workgroup (compile time only)
; SGPRBlocks: 2
; VGPRBlocks: 11
; NumSGPRsForWavesPerEU: 18
; NumVGPRsForWavesPerEU: 94
; Occupancy: 16
; WaveLimiterHint : 1
; COMPUTE_PGM_RSRC2:SCRATCH_EN: 1
; COMPUTE_PGM_RSRC2:USER_SGPR: 15
; COMPUTE_PGM_RSRC2:TRAP_HANDLER: 0
; COMPUTE_PGM_RSRC2:TGID_X_EN: 1
; COMPUTE_PGM_RSRC2:TGID_Y_EN: 0
; COMPUTE_PGM_RSRC2:TGID_Z_EN: 0
; COMPUTE_PGM_RSRC2:TIDIG_COMP_CNT: 0
	.section	.text._ZN9rocsolver6v33100L18trti2_kernel_smallILi27EdPKPdEEv13rocblas_fill_17rocblas_diagonal_T1_iil,"axG",@progbits,_ZN9rocsolver6v33100L18trti2_kernel_smallILi27EdPKPdEEv13rocblas_fill_17rocblas_diagonal_T1_iil,comdat
	.globl	_ZN9rocsolver6v33100L18trti2_kernel_smallILi27EdPKPdEEv13rocblas_fill_17rocblas_diagonal_T1_iil ; -- Begin function _ZN9rocsolver6v33100L18trti2_kernel_smallILi27EdPKPdEEv13rocblas_fill_17rocblas_diagonal_T1_iil
	.p2align	8
	.type	_ZN9rocsolver6v33100L18trti2_kernel_smallILi27EdPKPdEEv13rocblas_fill_17rocblas_diagonal_T1_iil,@function
_ZN9rocsolver6v33100L18trti2_kernel_smallILi27EdPKPdEEv13rocblas_fill_17rocblas_diagonal_T1_iil: ; @_ZN9rocsolver6v33100L18trti2_kernel_smallILi27EdPKPdEEv13rocblas_fill_17rocblas_diagonal_T1_iil
; %bb.0:
	s_mov_b32 s2, exec_lo
	v_cmpx_gt_u32_e32 27, v0
	s_cbranch_execz .LBB90_516
; %bb.1:
	s_clause 0x1
	s_load_b64 s[4:5], s[0:1], 0x10
	s_load_b128 s[0:3], s[0:1], 0x0
	s_mov_b32 s6, s15
	s_ashr_i32 s7, s15, 31
	v_lshlrev_b32_e32 v57, 3, v0
	s_lshl_b64 s[6:7], s[6:7], 3
	s_waitcnt lgkmcnt(0)
	s_ashr_i32 s9, s4, 31
	s_add_u32 s2, s2, s6
	s_addc_u32 s3, s3, s7
	v_add3_u32 v1, s5, s5, v0
	s_load_b64 s[2:3], s[2:3], 0x0
	s_mov_b32 s8, s4
	s_mov_b32 s6, s5
	s_lshl_b64 s[8:9], s[8:9], 3
	v_add_nc_u32_e32 v5, s5, v1
	v_ashrrev_i32_e32 v2, 31, v1
	s_delay_alu instid0(VALU_DEP_2) | instskip(SKIP_1) | instid1(VALU_DEP_3)
	v_add_nc_u32_e32 v9, s5, v5
	v_ashrrev_i32_e32 v6, 31, v5
	v_lshlrev_b64 v[1:2], 3, v[1:2]
	s_delay_alu instid0(VALU_DEP_3) | instskip(NEXT) | instid1(VALU_DEP_3)
	v_add_nc_u32_e32 v11, s5, v9
	v_lshlrev_b64 v[5:6], 3, v[5:6]
	v_ashrrev_i32_e32 v10, 31, v9
	s_delay_alu instid0(VALU_DEP_3)
	v_ashrrev_i32_e32 v12, 31, v11
	s_waitcnt lgkmcnt(0)
	s_add_u32 s2, s2, s8
	s_addc_u32 s3, s3, s9
	v_add_co_u32 v7, s4, s2, v57
	s_ashr_i32 s7, s5, 31
	v_add_co_ci_u32_e64 v8, null, s3, 0, s4
	s_lshl_b64 s[6:7], s[6:7], 3
	v_add_nc_u32_e32 v13, s5, v11
	v_add_co_u32 v3, vcc_lo, v7, s6
	s_delay_alu instid0(VALU_DEP_3)
	v_add_co_ci_u32_e32 v4, vcc_lo, s7, v8, vcc_lo
	v_lshlrev_b64 v[17:18], 3, v[11:12]
	v_add_co_u32 v11, vcc_lo, s2, v1
	s_clause 0x1
	global_load_b64 v[37:38], v57, s[2:3]
	global_load_b64 v[39:40], v[3:4], off
	v_add_co_ci_u32_e32 v12, vcc_lo, s3, v2, vcc_lo
	v_lshlrev_b64 v[15:16], 3, v[9:10]
	v_add_co_u32 v9, vcc_lo, s2, v5
	v_add_co_ci_u32_e32 v10, vcc_lo, s3, v6, vcc_lo
	v_add_co_u32 v1, vcc_lo, s2, v17
	v_add_co_ci_u32_e32 v2, vcc_lo, s3, v18, vcc_lo
	;; [unrolled: 2-line block ×3, first 2 shown]
	v_add_nc_u32_e32 v15, s5, v13
	s_clause 0x3
	global_load_b64 v[47:48], v[1:2], off
	global_load_b64 v[49:50], v[11:12], off
	;; [unrolled: 1-line block ×4, first 2 shown]
	v_ashrrev_i32_e32 v14, 31, v13
	s_cmpk_lg_i32 s1, 0x84
	v_add_nc_u32_e32 v17, s5, v15
	v_ashrrev_i32_e32 v16, 31, v15
	s_delay_alu instid0(VALU_DEP_3) | instskip(NEXT) | instid1(VALU_DEP_3)
	v_lshlrev_b64 v[13:14], 3, v[13:14]
	v_add_nc_u32_e32 v21, s5, v17
	v_ashrrev_i32_e32 v18, 31, v17
	s_delay_alu instid0(VALU_DEP_4) | instskip(NEXT) | instid1(VALU_DEP_4)
	v_lshlrev_b64 v[15:16], 3, v[15:16]
	v_add_co_u32 v13, vcc_lo, s2, v13
	s_delay_alu instid0(VALU_DEP_4) | instskip(NEXT) | instid1(VALU_DEP_4)
	v_ashrrev_i32_e32 v22, 31, v21
	v_lshlrev_b64 v[17:18], 3, v[17:18]
	v_add_co_ci_u32_e32 v14, vcc_lo, s3, v14, vcc_lo
	v_add_co_u32 v15, vcc_lo, s2, v15
	s_delay_alu instid0(VALU_DEP_4) | instskip(SKIP_3) | instid1(VALU_DEP_4)
	v_lshlrev_b64 v[19:20], 3, v[21:22]
	v_add_co_ci_u32_e32 v16, vcc_lo, s3, v16, vcc_lo
	v_add_co_u32 v17, vcc_lo, s2, v17
	v_add_co_ci_u32_e32 v18, vcc_lo, s3, v18, vcc_lo
	v_add_co_u32 v19, vcc_lo, s2, v19
	v_add_co_ci_u32_e32 v20, vcc_lo, s3, v20, vcc_lo
	s_clause 0x3
	global_load_b64 v[58:59], v[13:14], off
	global_load_b64 v[60:61], v[15:16], off
	;; [unrolled: 1-line block ×4, first 2 shown]
	v_add_nc_u32_e32 v21, s5, v21
	s_delay_alu instid0(VALU_DEP_1) | instskip(SKIP_1) | instid1(VALU_DEP_2)
	v_add_nc_u32_e32 v23, s5, v21
	v_ashrrev_i32_e32 v22, 31, v21
	v_add_nc_u32_e32 v25, s5, v23
	v_ashrrev_i32_e32 v24, 31, v23
	s_delay_alu instid0(VALU_DEP_3) | instskip(NEXT) | instid1(VALU_DEP_3)
	v_lshlrev_b64 v[21:22], 3, v[21:22]
	v_add_nc_u32_e32 v27, s5, v25
	v_ashrrev_i32_e32 v26, 31, v25
	s_delay_alu instid0(VALU_DEP_4) | instskip(NEXT) | instid1(VALU_DEP_4)
	v_lshlrev_b64 v[23:24], 3, v[23:24]
	v_add_co_u32 v21, vcc_lo, s2, v21
	s_delay_alu instid0(VALU_DEP_4) | instskip(SKIP_3) | instid1(VALU_DEP_4)
	v_add_nc_u32_e32 v29, s5, v27
	v_ashrrev_i32_e32 v28, 31, v27
	v_lshlrev_b64 v[25:26], 3, v[25:26]
	v_add_co_ci_u32_e32 v22, vcc_lo, s3, v22, vcc_lo
	v_add_nc_u32_e32 v31, s5, v29
	v_ashrrev_i32_e32 v30, 31, v29
	v_add_co_u32 v23, vcc_lo, s2, v23
	v_lshlrev_b64 v[27:28], 3, v[27:28]
	s_delay_alu instid0(VALU_DEP_4) | instskip(SKIP_2) | instid1(VALU_DEP_3)
	v_add_nc_u32_e32 v33, s5, v31
	v_add_co_ci_u32_e32 v24, vcc_lo, s3, v24, vcc_lo
	v_add_co_u32 v25, vcc_lo, s2, v25
	v_add_nc_u32_e32 v35, s5, v33
	v_lshlrev_b64 v[29:30], 3, v[29:30]
	v_ashrrev_i32_e32 v32, 31, v31
	v_add_co_ci_u32_e32 v26, vcc_lo, s3, v26, vcc_lo
	s_delay_alu instid0(VALU_DEP_4) | instskip(SKIP_2) | instid1(VALU_DEP_3)
	v_add_nc_u32_e32 v41, s5, v35
	v_add_co_u32 v27, vcc_lo, s2, v27
	v_add_co_ci_u32_e32 v28, vcc_lo, s3, v28, vcc_lo
	v_add_nc_u32_e32 v43, s5, v41
	v_lshlrev_b64 v[74:75], 3, v[31:32]
	v_ashrrev_i32_e32 v34, 31, v33
	v_add_co_u32 v31, vcc_lo, s2, v29
	s_delay_alu instid0(VALU_DEP_4) | instskip(SKIP_3) | instid1(VALU_DEP_4)
	v_add_nc_u32_e32 v53, s5, v43
	v_add_co_ci_u32_e32 v32, vcc_lo, s3, v30, vcc_lo
	v_ashrrev_i32_e32 v36, 31, v35
	v_lshlrev_b64 v[76:77], 3, v[33:34]
	v_add_nc_u32_e32 v55, s5, v53
	v_add_co_u32 v33, vcc_lo, s2, v74
	v_ashrrev_i32_e32 v42, 31, v41
	v_add_co_ci_u32_e32 v34, vcc_lo, s3, v75, vcc_lo
	s_delay_alu instid0(VALU_DEP_4)
	v_add_nc_u32_e32 v80, s5, v55
	v_lshlrev_b64 v[81:82], 3, v[35:36]
	v_ashrrev_i32_e32 v44, 31, v43
	v_lshlrev_b64 v[41:42], 3, v[41:42]
	v_ashrrev_i32_e32 v54, 31, v53
	v_add_nc_u32_e32 v88, s5, v80
	s_clause 0x2
	global_load_b64 v[66:67], v[21:22], off
	global_load_b64 v[68:69], v[23:24], off
	;; [unrolled: 1-line block ×3, first 2 shown]
	v_lshlrev_b64 v[43:44], 3, v[43:44]
	v_ashrrev_i32_e32 v56, 31, v55
	v_lshlrev_b64 v[53:54], 3, v[53:54]
	v_add_nc_u32_e32 v90, s5, v88
	v_ashrrev_i32_e32 v89, 31, v88
	s_delay_alu instid0(VALU_DEP_4) | instskip(NEXT) | instid1(VALU_DEP_3)
	v_lshlrev_b64 v[55:56], 3, v[55:56]
	v_add_nc_u32_e32 v92, s5, v90
	v_ashrrev_i32_e32 v91, 31, v90
	s_delay_alu instid0(VALU_DEP_2) | instskip(SKIP_1) | instid1(VALU_DEP_2)
	v_add_nc_u32_e32 v72, s5, v92
	v_ashrrev_i32_e32 v93, 31, v92
	v_ashrrev_i32_e32 v73, 31, v72
	s_delay_alu instid0(VALU_DEP_1) | instskip(NEXT) | instid1(VALU_DEP_1)
	v_lshlrev_b64 v[29:30], 3, v[72:73]
	v_add_co_u32 v29, vcc_lo, s2, v29
	s_delay_alu instid0(VALU_DEP_2)
	v_add_co_ci_u32_e32 v30, vcc_lo, s3, v30, vcc_lo
	v_add_co_u32 v35, vcc_lo, s2, v76
	v_add_co_ci_u32_e32 v36, vcc_lo, s3, v77, vcc_lo
	global_load_b64 v[94:95], v[29:30], off
	s_waitcnt vmcnt(12)
	scratch_store_b128 off, v[37:40], off
	v_add_co_u32 v37, vcc_lo, s2, v81
	v_add_co_ci_u32_e32 v38, vcc_lo, s3, v82, vcc_lo
	v_add_co_u32 v39, vcc_lo, s2, v41
	v_add_co_ci_u32_e32 v40, vcc_lo, s3, v42, vcc_lo
	;; [unrolled: 2-line block ×4, first 2 shown]
	s_clause 0x3
	global_load_b64 v[72:73], v[27:28], off
	global_load_b64 v[74:75], v[31:32], off
	;; [unrolled: 1-line block ×4, first 2 shown]
	s_waitcnt vmcnt(13)
	scratch_store_b128 off, v[49:52], off offset:16
	s_waitcnt vmcnt(12)
	scratch_store_b128 off, v[45:48], off offset:32
	v_add_co_u32 v45, vcc_lo, s2, v55
	v_add_co_ci_u32_e32 v46, vcc_lo, s3, v56, vcc_lo
	v_mov_b32_e32 v55, 0
	v_ashrrev_i32_e32 v81, 31, v80
	v_lshlrev_b64 v[49:50], 3, v[88:89]
	v_lshlrev_b64 v[51:52], 3, v[90:91]
	v_mov_b32_e32 v56, 0xbff00000
	s_delay_alu instid0(VALU_DEP_4)
	v_lshlrev_b64 v[53:54], 3, v[80:81]
	s_clause 0x3
	global_load_b64 v[80:81], v[37:38], off
	global_load_b64 v[82:83], v[39:40], off
	;; [unrolled: 1-line block ×4, first 2 shown]
	v_add_co_u32 v47, vcc_lo, s2, v53
	v_add_co_ci_u32_e32 v48, vcc_lo, s3, v54, vcc_lo
	v_add_co_u32 v49, vcc_lo, s2, v49
	v_lshlrev_b64 v[53:54], 3, v[92:93]
	v_add_co_ci_u32_e32 v50, vcc_lo, s3, v50, vcc_lo
	v_add_co_u32 v51, vcc_lo, s2, v51
	v_add_co_ci_u32_e32 v52, vcc_lo, s3, v52, vcc_lo
	s_delay_alu instid0(VALU_DEP_4)
	v_add_co_u32 v53, vcc_lo, s2, v53
	v_add_co_ci_u32_e32 v54, vcc_lo, s3, v54, vcc_lo
	s_waitcnt vmcnt(14)
	scratch_store_b128 off, v[58:61], off offset:48
	s_clause 0x2
	global_load_b64 v[88:89], v[45:46], off
	global_load_b64 v[58:59], v[47:48], off
	;; [unrolled: 1-line block ×3, first 2 shown]
	s_waitcnt vmcnt(15)
	scratch_store_b128 off, v[62:65], off offset:64
	s_clause 0x1
	global_load_b64 v[64:65], v[53:54], off
	global_load_b64 v[62:63], v[51:52], off
	s_cselect_b32 s2, -1, 0
	s_cmpk_eq_i32 s1, 0x84
	s_waitcnt vmcnt(15)
	scratch_store_b128 off, v[66:69], off offset:80
	s_waitcnt vmcnt(12)
	scratch_store_b128 off, v[70:73], off offset:96
	;; [unrolled: 2-line block ×7, first 2 shown]
	s_waitcnt vmcnt(0)
	s_clause 0x1
	scratch_store_b128 off, v[62:65], off offset:192
	scratch_store_b64 off, v[94:95], off offset:208
	s_cbranch_scc1 .LBB90_3
; %bb.2:
	scratch_load_b64 v[55:56], v57, off
	s_waitcnt vmcnt(0)
	v_div_scale_f64 v[58:59], null, v[55:56], v[55:56], 1.0
	v_div_scale_f64 v[64:65], vcc_lo, 1.0, v[55:56], 1.0
	s_delay_alu instid0(VALU_DEP_2) | instskip(SKIP_2) | instid1(VALU_DEP_1)
	v_rcp_f64_e32 v[60:61], v[58:59]
	s_waitcnt_depctr 0xfff
	v_fma_f64 v[62:63], -v[58:59], v[60:61], 1.0
	v_fma_f64 v[60:61], v[60:61], v[62:63], v[60:61]
	s_delay_alu instid0(VALU_DEP_1) | instskip(NEXT) | instid1(VALU_DEP_1)
	v_fma_f64 v[62:63], -v[58:59], v[60:61], 1.0
	v_fma_f64 v[60:61], v[60:61], v[62:63], v[60:61]
	s_delay_alu instid0(VALU_DEP_1) | instskip(NEXT) | instid1(VALU_DEP_1)
	v_mul_f64 v[62:63], v[64:65], v[60:61]
	v_fma_f64 v[58:59], -v[58:59], v[62:63], v[64:65]
	s_delay_alu instid0(VALU_DEP_1) | instskip(NEXT) | instid1(VALU_DEP_1)
	v_div_fmas_f64 v[58:59], v[58:59], v[60:61], v[62:63]
	v_div_fixup_f64 v[55:56], v[58:59], v[55:56], 1.0
	scratch_store_b64 v57, v[55:56], off
	v_xor_b32_e32 v56, 0x80000000, v56
.LBB90_3:
	v_add_nc_u32_e32 v58, 0xe0, v57
	v_add_nc_u32_e32 v59, 0, v57
	s_cmpk_eq_i32 s0, 0x79
	s_mov_b32 s0, -1
	ds_store_b64 v57, v[55:56]
	s_cbranch_scc1 .LBB90_259
; %bb.4:
	scratch_load_b64 v[55:56], off, off offset:200
	v_cmp_eq_u32_e64 s1, 26, v0
	s_movk_i32 s0, 0x50
	s_movk_i32 s3, 0x60
	;; [unrolled: 1-line block ×8, first 2 shown]
	s_waitcnt vmcnt(0)
	ds_store_b64 v58, v[55:56]
	s_waitcnt lgkmcnt(0)
	s_waitcnt_vscnt null, 0x0
	s_barrier
	buffer_gl0_inv
	s_and_saveexec_b32 s10, s1
	s_cbranch_execz .LBB90_10
; %bb.5:
	s_and_b32 vcc_lo, exec_lo, s2
	s_cbranch_vccz .LBB90_7
; %bb.6:
	scratch_load_b64 v[55:56], v59, off
	ds_load_b64 v[60:61], v58
	s_waitcnt vmcnt(0) lgkmcnt(0)
	v_mul_f64 v[55:56], v[55:56], v[60:61]
	s_cbranch_execz .LBB90_8
	s_branch .LBB90_9
.LBB90_7:
                                        ; implicit-def: $vgpr55_vgpr56
.LBB90_8:
	ds_load_b64 v[55:56], v58
.LBB90_9:
	v_mov_b32_e32 v60, 0
	ds_load_b64 v[60:61], v60 offset:200
	s_waitcnt lgkmcnt(0)
	v_mul_f64 v[55:56], v[55:56], v[60:61]
	scratch_store_b64 off, v[55:56], off offset:200
.LBB90_10:
	s_or_b32 exec_lo, exec_lo, s10
	scratch_load_b64 v[55:56], off, off offset:192
	v_add_nc_u32_e64 v60, 0, 16
	v_add_nc_u32_e64 v61, 0, 32
	;; [unrolled: 1-line block ×12, first 2 shown]
	v_cmp_lt_u32_e64 s0, 24, v0
	s_waitcnt vmcnt(0)
	ds_store_b64 v58, v[55:56]
	s_waitcnt lgkmcnt(0)
	s_waitcnt_vscnt null, 0x0
	s_barrier
	buffer_gl0_inv
	s_and_saveexec_b32 s3, s0
	s_cbranch_execz .LBB90_18
; %bb.11:
	s_and_not1_b32 vcc_lo, exec_lo, s2
	s_cbranch_vccnz .LBB90_13
; %bb.12:
	scratch_load_b64 v[55:56], v59, off
	ds_load_b64 v[72:73], v58
	s_waitcnt vmcnt(0) lgkmcnt(0)
	v_mul_f64 v[55:56], v[55:56], v[72:73]
	s_cbranch_execz .LBB90_14
	s_branch .LBB90_15
.LBB90_13:
                                        ; implicit-def: $vgpr55_vgpr56
.LBB90_14:
	ds_load_b64 v[55:56], v58
.LBB90_15:
	s_and_saveexec_b32 s4, s1
	s_cbranch_execz .LBB90_17
; %bb.16:
	scratch_load_b64 v[72:73], off, off offset:200
	v_mov_b32_e32 v74, 0
	ds_load_b64 v[74:75], v74 offset:424
	s_waitcnt vmcnt(0) lgkmcnt(0)
	v_fma_f64 v[55:56], v[72:73], v[74:75], v[55:56]
.LBB90_17:
	s_or_b32 exec_lo, exec_lo, s4
	v_mov_b32_e32 v72, 0
	ds_load_b64 v[72:73], v72 offset:192
	s_waitcnt lgkmcnt(0)
	v_mul_f64 v[55:56], v[55:56], v[72:73]
	scratch_store_b64 off, v[55:56], off offset:192
.LBB90_18:
	s_or_b32 exec_lo, exec_lo, s3
	scratch_load_b64 v[55:56], off, off offset:184
	v_cmp_lt_u32_e64 s1, 23, v0
	s_waitcnt vmcnt(0)
	ds_store_b64 v58, v[55:56]
	s_waitcnt lgkmcnt(0)
	s_waitcnt_vscnt null, 0x0
	s_barrier
	buffer_gl0_inv
	s_and_saveexec_b32 s3, s1
	s_cbranch_execz .LBB90_28
; %bb.19:
	s_and_not1_b32 vcc_lo, exec_lo, s2
	s_cbranch_vccnz .LBB90_21
; %bb.20:
	scratch_load_b64 v[55:56], v59, off
	ds_load_b64 v[72:73], v58
	s_waitcnt vmcnt(0) lgkmcnt(0)
	v_mul_f64 v[55:56], v[55:56], v[72:73]
	s_cbranch_execz .LBB90_22
	s_branch .LBB90_23
.LBB90_21:
                                        ; implicit-def: $vgpr55_vgpr56
.LBB90_22:
	ds_load_b64 v[55:56], v58
.LBB90_23:
	s_and_saveexec_b32 s4, s0
	s_cbranch_execz .LBB90_27
; %bb.24:
	v_subrev_nc_u32_e32 v72, 24, v0
	s_movk_i32 s5, 0x1a0
	s_mov_b32 s0, 0
.LBB90_25:                              ; =>This Inner Loop Header: Depth=1
	scratch_load_b64 v[73:74], v71, off
	v_dual_mov_b32 v75, s5 :: v_dual_add_nc_u32 v72, -1, v72
	v_add_nc_u32_e32 v71, 8, v71
	s_add_i32 s5, s5, 8
	ds_load_b64 v[75:76], v75
	v_cmp_eq_u32_e32 vcc_lo, 0, v72
	s_or_b32 s0, vcc_lo, s0
	s_waitcnt vmcnt(0) lgkmcnt(0)
	v_fma_f64 v[55:56], v[73:74], v[75:76], v[55:56]
	s_and_not1_b32 exec_lo, exec_lo, s0
	s_cbranch_execnz .LBB90_25
; %bb.26:
	s_or_b32 exec_lo, exec_lo, s0
.LBB90_27:
	s_delay_alu instid0(SALU_CYCLE_1)
	s_or_b32 exec_lo, exec_lo, s4
	v_mov_b32_e32 v71, 0
	ds_load_b64 v[71:72], v71 offset:184
	s_waitcnt lgkmcnt(0)
	v_mul_f64 v[55:56], v[55:56], v[71:72]
	scratch_store_b64 off, v[55:56], off offset:184
.LBB90_28:
	s_or_b32 exec_lo, exec_lo, s3
	scratch_load_b64 v[55:56], off, off offset:176
	v_cmp_lt_u32_e64 s0, 22, v0
	s_waitcnt vmcnt(0)
	ds_store_b64 v58, v[55:56]
	s_waitcnt lgkmcnt(0)
	s_waitcnt_vscnt null, 0x0
	s_barrier
	buffer_gl0_inv
	s_and_saveexec_b32 s3, s0
	s_cbranch_execz .LBB90_38
; %bb.29:
	s_and_not1_b32 vcc_lo, exec_lo, s2
	s_cbranch_vccnz .LBB90_31
; %bb.30:
	scratch_load_b64 v[55:56], v59, off
	ds_load_b64 v[71:72], v58
	s_waitcnt vmcnt(0) lgkmcnt(0)
	v_mul_f64 v[55:56], v[55:56], v[71:72]
	s_cbranch_execz .LBB90_32
	s_branch .LBB90_33
.LBB90_31:
                                        ; implicit-def: $vgpr55_vgpr56
.LBB90_32:
	ds_load_b64 v[55:56], v58
.LBB90_33:
	s_and_saveexec_b32 s4, s1
	s_cbranch_execz .LBB90_37
; %bb.34:
	v_mov_b32_e32 v71, 0
	v_subrev_nc_u32_e32 v72, 23, v0
	s_movk_i32 s5, 0x198
	s_mov_b32 s1, 0
	s_delay_alu instid0(VALU_DEP_2)
	v_add_nc_u32_e32 v71, 0xb8, v71
.LBB90_35:                              ; =>This Inner Loop Header: Depth=1
	scratch_load_b64 v[73:74], v71, off
	v_dual_mov_b32 v75, s5 :: v_dual_add_nc_u32 v72, -1, v72
	v_add_nc_u32_e32 v71, 8, v71
	s_add_i32 s5, s5, 8
	ds_load_b64 v[75:76], v75
	v_cmp_eq_u32_e32 vcc_lo, 0, v72
	s_or_b32 s1, vcc_lo, s1
	s_waitcnt vmcnt(0) lgkmcnt(0)
	v_fma_f64 v[55:56], v[73:74], v[75:76], v[55:56]
	s_and_not1_b32 exec_lo, exec_lo, s1
	s_cbranch_execnz .LBB90_35
; %bb.36:
	s_or_b32 exec_lo, exec_lo, s1
.LBB90_37:
	s_delay_alu instid0(SALU_CYCLE_1)
	s_or_b32 exec_lo, exec_lo, s4
	v_mov_b32_e32 v71, 0
	ds_load_b64 v[71:72], v71 offset:176
	s_waitcnt lgkmcnt(0)
	v_mul_f64 v[55:56], v[55:56], v[71:72]
	scratch_store_b64 off, v[55:56], off offset:176
.LBB90_38:
	s_or_b32 exec_lo, exec_lo, s3
	scratch_load_b64 v[55:56], off, off offset:168
	v_cmp_lt_u32_e64 s1, 21, v0
	s_waitcnt vmcnt(0)
	ds_store_b64 v58, v[55:56]
	s_waitcnt lgkmcnt(0)
	s_waitcnt_vscnt null, 0x0
	s_barrier
	buffer_gl0_inv
	s_and_saveexec_b32 s3, s1
	s_cbranch_execz .LBB90_48
; %bb.39:
	s_and_not1_b32 vcc_lo, exec_lo, s2
	s_cbranch_vccnz .LBB90_41
; %bb.40:
	scratch_load_b64 v[55:56], v59, off
	ds_load_b64 v[71:72], v58
	s_waitcnt vmcnt(0) lgkmcnt(0)
	v_mul_f64 v[55:56], v[55:56], v[71:72]
	s_cbranch_execz .LBB90_42
	s_branch .LBB90_43
.LBB90_41:
                                        ; implicit-def: $vgpr55_vgpr56
.LBB90_42:
	ds_load_b64 v[55:56], v58
.LBB90_43:
	s_and_saveexec_b32 s4, s0
	s_cbranch_execz .LBB90_47
; %bb.44:
	v_subrev_nc_u32_e32 v71, 22, v0
	s_movk_i32 s5, 0x190
	s_mov_b32 s0, 0
.LBB90_45:                              ; =>This Inner Loop Header: Depth=1
	scratch_load_b64 v[72:73], v70, off
	v_dual_mov_b32 v74, s5 :: v_dual_add_nc_u32 v71, -1, v71
	v_add_nc_u32_e32 v70, 8, v70
	s_add_i32 s5, s5, 8
	ds_load_b64 v[74:75], v74
	v_cmp_eq_u32_e32 vcc_lo, 0, v71
	s_or_b32 s0, vcc_lo, s0
	s_waitcnt vmcnt(0) lgkmcnt(0)
	v_fma_f64 v[55:56], v[72:73], v[74:75], v[55:56]
	s_and_not1_b32 exec_lo, exec_lo, s0
	s_cbranch_execnz .LBB90_45
; %bb.46:
	s_or_b32 exec_lo, exec_lo, s0
.LBB90_47:
	s_delay_alu instid0(SALU_CYCLE_1)
	s_or_b32 exec_lo, exec_lo, s4
	v_mov_b32_e32 v70, 0
	ds_load_b64 v[70:71], v70 offset:168
	s_waitcnt lgkmcnt(0)
	v_mul_f64 v[55:56], v[55:56], v[70:71]
	scratch_store_b64 off, v[55:56], off offset:168
.LBB90_48:
	s_or_b32 exec_lo, exec_lo, s3
	scratch_load_b64 v[55:56], off, off offset:160
	v_cmp_lt_u32_e64 s0, 20, v0
	s_waitcnt vmcnt(0)
	ds_store_b64 v58, v[55:56]
	s_waitcnt lgkmcnt(0)
	s_waitcnt_vscnt null, 0x0
	s_barrier
	buffer_gl0_inv
	s_and_saveexec_b32 s3, s0
	s_cbranch_execz .LBB90_58
; %bb.49:
	s_and_not1_b32 vcc_lo, exec_lo, s2
	s_cbranch_vccnz .LBB90_51
; %bb.50:
	scratch_load_b64 v[55:56], v59, off
	ds_load_b64 v[70:71], v58
	s_waitcnt vmcnt(0) lgkmcnt(0)
	v_mul_f64 v[55:56], v[55:56], v[70:71]
	s_cbranch_execz .LBB90_52
	s_branch .LBB90_53
.LBB90_51:
                                        ; implicit-def: $vgpr55_vgpr56
.LBB90_52:
	ds_load_b64 v[55:56], v58
.LBB90_53:
	s_and_saveexec_b32 s4, s1
	s_cbranch_execz .LBB90_57
; %bb.54:
	v_mov_b32_e32 v70, 0
	v_subrev_nc_u32_e32 v71, 21, v0
	s_movk_i32 s5, 0x188
	s_mov_b32 s1, 0
	s_delay_alu instid0(VALU_DEP_2)
	v_add_nc_u32_e32 v70, 0xa8, v70
.LBB90_55:                              ; =>This Inner Loop Header: Depth=1
	scratch_load_b64 v[72:73], v70, off
	v_dual_mov_b32 v74, s5 :: v_dual_add_nc_u32 v71, -1, v71
	v_add_nc_u32_e32 v70, 8, v70
	s_add_i32 s5, s5, 8
	ds_load_b64 v[74:75], v74
	v_cmp_eq_u32_e32 vcc_lo, 0, v71
	s_or_b32 s1, vcc_lo, s1
	s_waitcnt vmcnt(0) lgkmcnt(0)
	v_fma_f64 v[55:56], v[72:73], v[74:75], v[55:56]
	s_and_not1_b32 exec_lo, exec_lo, s1
	s_cbranch_execnz .LBB90_55
; %bb.56:
	s_or_b32 exec_lo, exec_lo, s1
.LBB90_57:
	s_delay_alu instid0(SALU_CYCLE_1)
	s_or_b32 exec_lo, exec_lo, s4
	v_mov_b32_e32 v70, 0
	ds_load_b64 v[70:71], v70 offset:160
	s_waitcnt lgkmcnt(0)
	v_mul_f64 v[55:56], v[55:56], v[70:71]
	scratch_store_b64 off, v[55:56], off offset:160
.LBB90_58:
	s_or_b32 exec_lo, exec_lo, s3
	scratch_load_b64 v[55:56], off, off offset:152
	v_cmp_lt_u32_e64 s1, 19, v0
	s_waitcnt vmcnt(0)
	ds_store_b64 v58, v[55:56]
	s_waitcnt lgkmcnt(0)
	s_waitcnt_vscnt null, 0x0
	s_barrier
	buffer_gl0_inv
	s_and_saveexec_b32 s3, s1
	s_cbranch_execz .LBB90_68
; %bb.59:
	s_and_not1_b32 vcc_lo, exec_lo, s2
	s_cbranch_vccnz .LBB90_61
; %bb.60:
	scratch_load_b64 v[55:56], v59, off
	ds_load_b64 v[70:71], v58
	s_waitcnt vmcnt(0) lgkmcnt(0)
	v_mul_f64 v[55:56], v[55:56], v[70:71]
	s_cbranch_execz .LBB90_62
	s_branch .LBB90_63
.LBB90_61:
                                        ; implicit-def: $vgpr55_vgpr56
.LBB90_62:
	ds_load_b64 v[55:56], v58
.LBB90_63:
	s_and_saveexec_b32 s4, s0
	s_cbranch_execz .LBB90_67
; %bb.64:
	v_subrev_nc_u32_e32 v70, 20, v0
	s_movk_i32 s5, 0x180
	s_mov_b32 s0, 0
.LBB90_65:                              ; =>This Inner Loop Header: Depth=1
	scratch_load_b64 v[71:72], v69, off
	v_dual_mov_b32 v73, s5 :: v_dual_add_nc_u32 v70, -1, v70
	v_add_nc_u32_e32 v69, 8, v69
	s_add_i32 s5, s5, 8
	ds_load_b64 v[73:74], v73
	v_cmp_eq_u32_e32 vcc_lo, 0, v70
	s_or_b32 s0, vcc_lo, s0
	s_waitcnt vmcnt(0) lgkmcnt(0)
	v_fma_f64 v[55:56], v[71:72], v[73:74], v[55:56]
	s_and_not1_b32 exec_lo, exec_lo, s0
	s_cbranch_execnz .LBB90_65
; %bb.66:
	s_or_b32 exec_lo, exec_lo, s0
.LBB90_67:
	s_delay_alu instid0(SALU_CYCLE_1)
	s_or_b32 exec_lo, exec_lo, s4
	v_mov_b32_e32 v69, 0
	ds_load_b64 v[69:70], v69 offset:152
	s_waitcnt lgkmcnt(0)
	v_mul_f64 v[55:56], v[55:56], v[69:70]
	scratch_store_b64 off, v[55:56], off offset:152
.LBB90_68:
	s_or_b32 exec_lo, exec_lo, s3
	scratch_load_b64 v[55:56], off, off offset:144
	v_cmp_lt_u32_e64 s0, 18, v0
	s_waitcnt vmcnt(0)
	ds_store_b64 v58, v[55:56]
	s_waitcnt lgkmcnt(0)
	s_waitcnt_vscnt null, 0x0
	s_barrier
	buffer_gl0_inv
	s_and_saveexec_b32 s3, s0
	s_cbranch_execz .LBB90_78
; %bb.69:
	s_and_not1_b32 vcc_lo, exec_lo, s2
	s_cbranch_vccnz .LBB90_71
; %bb.70:
	scratch_load_b64 v[55:56], v59, off
	ds_load_b64 v[69:70], v58
	s_waitcnt vmcnt(0) lgkmcnt(0)
	v_mul_f64 v[55:56], v[55:56], v[69:70]
	s_cbranch_execz .LBB90_72
	s_branch .LBB90_73
.LBB90_71:
                                        ; implicit-def: $vgpr55_vgpr56
.LBB90_72:
	ds_load_b64 v[55:56], v58
.LBB90_73:
	s_and_saveexec_b32 s4, s1
	s_cbranch_execz .LBB90_77
; %bb.74:
	v_mov_b32_e32 v69, 0
	v_subrev_nc_u32_e32 v70, 19, v0
	s_movk_i32 s5, 0x178
	s_mov_b32 s1, 0
	s_delay_alu instid0(VALU_DEP_2)
	v_add_nc_u32_e32 v69, 0x98, v69
.LBB90_75:                              ; =>This Inner Loop Header: Depth=1
	scratch_load_b64 v[71:72], v69, off
	v_dual_mov_b32 v73, s5 :: v_dual_add_nc_u32 v70, -1, v70
	v_add_nc_u32_e32 v69, 8, v69
	s_add_i32 s5, s5, 8
	ds_load_b64 v[73:74], v73
	v_cmp_eq_u32_e32 vcc_lo, 0, v70
	s_or_b32 s1, vcc_lo, s1
	s_waitcnt vmcnt(0) lgkmcnt(0)
	v_fma_f64 v[55:56], v[71:72], v[73:74], v[55:56]
	s_and_not1_b32 exec_lo, exec_lo, s1
	s_cbranch_execnz .LBB90_75
; %bb.76:
	s_or_b32 exec_lo, exec_lo, s1
.LBB90_77:
	s_delay_alu instid0(SALU_CYCLE_1)
	s_or_b32 exec_lo, exec_lo, s4
	v_mov_b32_e32 v69, 0
	ds_load_b64 v[69:70], v69 offset:144
	s_waitcnt lgkmcnt(0)
	v_mul_f64 v[55:56], v[55:56], v[69:70]
	scratch_store_b64 off, v[55:56], off offset:144
.LBB90_78:
	s_or_b32 exec_lo, exec_lo, s3
	scratch_load_b64 v[55:56], off, off offset:136
	v_cmp_lt_u32_e64 s1, 17, v0
	s_waitcnt vmcnt(0)
	ds_store_b64 v58, v[55:56]
	s_waitcnt lgkmcnt(0)
	s_waitcnt_vscnt null, 0x0
	s_barrier
	buffer_gl0_inv
	s_and_saveexec_b32 s3, s1
	s_cbranch_execz .LBB90_88
; %bb.79:
	s_and_not1_b32 vcc_lo, exec_lo, s2
	s_cbranch_vccnz .LBB90_81
; %bb.80:
	scratch_load_b64 v[55:56], v59, off
	ds_load_b64 v[69:70], v58
	s_waitcnt vmcnt(0) lgkmcnt(0)
	v_mul_f64 v[55:56], v[55:56], v[69:70]
	s_cbranch_execz .LBB90_82
	s_branch .LBB90_83
.LBB90_81:
                                        ; implicit-def: $vgpr55_vgpr56
.LBB90_82:
	ds_load_b64 v[55:56], v58
.LBB90_83:
	s_and_saveexec_b32 s4, s0
	s_cbranch_execz .LBB90_87
; %bb.84:
	v_subrev_nc_u32_e32 v69, 18, v0
	s_movk_i32 s5, 0x170
	s_mov_b32 s0, 0
.LBB90_85:                              ; =>This Inner Loop Header: Depth=1
	scratch_load_b64 v[70:71], v68, off
	v_dual_mov_b32 v72, s5 :: v_dual_add_nc_u32 v69, -1, v69
	v_add_nc_u32_e32 v68, 8, v68
	s_add_i32 s5, s5, 8
	ds_load_b64 v[72:73], v72
	v_cmp_eq_u32_e32 vcc_lo, 0, v69
	s_or_b32 s0, vcc_lo, s0
	s_waitcnt vmcnt(0) lgkmcnt(0)
	v_fma_f64 v[55:56], v[70:71], v[72:73], v[55:56]
	s_and_not1_b32 exec_lo, exec_lo, s0
	s_cbranch_execnz .LBB90_85
; %bb.86:
	s_or_b32 exec_lo, exec_lo, s0
.LBB90_87:
	s_delay_alu instid0(SALU_CYCLE_1)
	s_or_b32 exec_lo, exec_lo, s4
	v_mov_b32_e32 v68, 0
	ds_load_b64 v[68:69], v68 offset:136
	s_waitcnt lgkmcnt(0)
	v_mul_f64 v[55:56], v[55:56], v[68:69]
	scratch_store_b64 off, v[55:56], off offset:136
.LBB90_88:
	s_or_b32 exec_lo, exec_lo, s3
	scratch_load_b64 v[55:56], off, off offset:128
	v_cmp_lt_u32_e64 s0, 16, v0
	s_waitcnt vmcnt(0)
	ds_store_b64 v58, v[55:56]
	s_waitcnt lgkmcnt(0)
	s_waitcnt_vscnt null, 0x0
	s_barrier
	buffer_gl0_inv
	s_and_saveexec_b32 s3, s0
	s_cbranch_execz .LBB90_98
; %bb.89:
	s_and_not1_b32 vcc_lo, exec_lo, s2
	s_cbranch_vccnz .LBB90_91
; %bb.90:
	scratch_load_b64 v[55:56], v59, off
	ds_load_b64 v[68:69], v58
	s_waitcnt vmcnt(0) lgkmcnt(0)
	v_mul_f64 v[55:56], v[55:56], v[68:69]
	s_cbranch_execz .LBB90_92
	s_branch .LBB90_93
.LBB90_91:
                                        ; implicit-def: $vgpr55_vgpr56
.LBB90_92:
	ds_load_b64 v[55:56], v58
.LBB90_93:
	s_and_saveexec_b32 s4, s1
	s_cbranch_execz .LBB90_97
; %bb.94:
	v_mov_b32_e32 v68, 0
	v_subrev_nc_u32_e32 v69, 17, v0
	s_movk_i32 s5, 0x168
	s_mov_b32 s1, 0
	s_delay_alu instid0(VALU_DEP_2)
	v_add_nc_u32_e32 v68, 0x88, v68
.LBB90_95:                              ; =>This Inner Loop Header: Depth=1
	scratch_load_b64 v[70:71], v68, off
	v_dual_mov_b32 v72, s5 :: v_dual_add_nc_u32 v69, -1, v69
	v_add_nc_u32_e32 v68, 8, v68
	s_add_i32 s5, s5, 8
	ds_load_b64 v[72:73], v72
	v_cmp_eq_u32_e32 vcc_lo, 0, v69
	s_or_b32 s1, vcc_lo, s1
	s_waitcnt vmcnt(0) lgkmcnt(0)
	v_fma_f64 v[55:56], v[70:71], v[72:73], v[55:56]
	s_and_not1_b32 exec_lo, exec_lo, s1
	s_cbranch_execnz .LBB90_95
; %bb.96:
	s_or_b32 exec_lo, exec_lo, s1
.LBB90_97:
	s_delay_alu instid0(SALU_CYCLE_1)
	s_or_b32 exec_lo, exec_lo, s4
	v_mov_b32_e32 v68, 0
	ds_load_b64 v[68:69], v68 offset:128
	s_waitcnt lgkmcnt(0)
	v_mul_f64 v[55:56], v[55:56], v[68:69]
	scratch_store_b64 off, v[55:56], off offset:128
.LBB90_98:
	s_or_b32 exec_lo, exec_lo, s3
	scratch_load_b64 v[55:56], off, off offset:120
	v_cmp_lt_u32_e64 s1, 15, v0
	s_waitcnt vmcnt(0)
	ds_store_b64 v58, v[55:56]
	s_waitcnt lgkmcnt(0)
	s_waitcnt_vscnt null, 0x0
	s_barrier
	buffer_gl0_inv
	s_and_saveexec_b32 s3, s1
	s_cbranch_execz .LBB90_108
; %bb.99:
	s_and_not1_b32 vcc_lo, exec_lo, s2
	s_cbranch_vccnz .LBB90_101
; %bb.100:
	scratch_load_b64 v[55:56], v59, off
	ds_load_b64 v[68:69], v58
	s_waitcnt vmcnt(0) lgkmcnt(0)
	v_mul_f64 v[55:56], v[55:56], v[68:69]
	s_cbranch_execz .LBB90_102
	s_branch .LBB90_103
.LBB90_101:
                                        ; implicit-def: $vgpr55_vgpr56
.LBB90_102:
	ds_load_b64 v[55:56], v58
.LBB90_103:
	s_and_saveexec_b32 s4, s0
	s_cbranch_execz .LBB90_107
; %bb.104:
	v_add_nc_u32_e32 v68, -16, v0
	s_movk_i32 s5, 0x160
	s_mov_b32 s0, 0
.LBB90_105:                             ; =>This Inner Loop Header: Depth=1
	scratch_load_b64 v[69:70], v67, off
	v_dual_mov_b32 v71, s5 :: v_dual_add_nc_u32 v68, -1, v68
	v_add_nc_u32_e32 v67, 8, v67
	s_add_i32 s5, s5, 8
	ds_load_b64 v[71:72], v71
	v_cmp_eq_u32_e32 vcc_lo, 0, v68
	s_or_b32 s0, vcc_lo, s0
	s_waitcnt vmcnt(0) lgkmcnt(0)
	v_fma_f64 v[55:56], v[69:70], v[71:72], v[55:56]
	s_and_not1_b32 exec_lo, exec_lo, s0
	s_cbranch_execnz .LBB90_105
; %bb.106:
	s_or_b32 exec_lo, exec_lo, s0
.LBB90_107:
	s_delay_alu instid0(SALU_CYCLE_1)
	s_or_b32 exec_lo, exec_lo, s4
	v_mov_b32_e32 v67, 0
	ds_load_b64 v[67:68], v67 offset:120
	s_waitcnt lgkmcnt(0)
	v_mul_f64 v[55:56], v[55:56], v[67:68]
	scratch_store_b64 off, v[55:56], off offset:120
.LBB90_108:
	s_or_b32 exec_lo, exec_lo, s3
	scratch_load_b64 v[55:56], off, off offset:112
	v_cmp_lt_u32_e64 s0, 14, v0
	s_waitcnt vmcnt(0)
	ds_store_b64 v58, v[55:56]
	s_waitcnt lgkmcnt(0)
	s_waitcnt_vscnt null, 0x0
	s_barrier
	buffer_gl0_inv
	s_and_saveexec_b32 s3, s0
	s_cbranch_execz .LBB90_118
; %bb.109:
	s_and_not1_b32 vcc_lo, exec_lo, s2
	s_cbranch_vccnz .LBB90_111
; %bb.110:
	scratch_load_b64 v[55:56], v59, off
	ds_load_b64 v[67:68], v58
	s_waitcnt vmcnt(0) lgkmcnt(0)
	v_mul_f64 v[55:56], v[55:56], v[67:68]
	s_cbranch_execz .LBB90_112
	s_branch .LBB90_113
.LBB90_111:
                                        ; implicit-def: $vgpr55_vgpr56
.LBB90_112:
	ds_load_b64 v[55:56], v58
.LBB90_113:
	s_and_saveexec_b32 s4, s1
	s_cbranch_execz .LBB90_117
; %bb.114:
	v_dual_mov_b32 v67, 0 :: v_dual_add_nc_u32 v68, -15, v0
	s_movk_i32 s5, 0x158
	s_mov_b32 s1, 0
	s_delay_alu instid0(VALU_DEP_1)
	v_add_nc_u32_e32 v67, 0x78, v67
.LBB90_115:                             ; =>This Inner Loop Header: Depth=1
	scratch_load_b64 v[69:70], v67, off
	v_dual_mov_b32 v71, s5 :: v_dual_add_nc_u32 v68, -1, v68
	v_add_nc_u32_e32 v67, 8, v67
	s_add_i32 s5, s5, 8
	ds_load_b64 v[71:72], v71
	v_cmp_eq_u32_e32 vcc_lo, 0, v68
	s_or_b32 s1, vcc_lo, s1
	s_waitcnt vmcnt(0) lgkmcnt(0)
	v_fma_f64 v[55:56], v[69:70], v[71:72], v[55:56]
	s_and_not1_b32 exec_lo, exec_lo, s1
	s_cbranch_execnz .LBB90_115
; %bb.116:
	s_or_b32 exec_lo, exec_lo, s1
.LBB90_117:
	s_delay_alu instid0(SALU_CYCLE_1)
	s_or_b32 exec_lo, exec_lo, s4
	v_mov_b32_e32 v67, 0
	ds_load_b64 v[67:68], v67 offset:112
	s_waitcnt lgkmcnt(0)
	v_mul_f64 v[55:56], v[55:56], v[67:68]
	scratch_store_b64 off, v[55:56], off offset:112
.LBB90_118:
	s_or_b32 exec_lo, exec_lo, s3
	scratch_load_b64 v[55:56], off, off offset:104
	v_cmp_lt_u32_e64 s1, 13, v0
	s_waitcnt vmcnt(0)
	ds_store_b64 v58, v[55:56]
	s_waitcnt lgkmcnt(0)
	s_waitcnt_vscnt null, 0x0
	s_barrier
	buffer_gl0_inv
	s_and_saveexec_b32 s3, s1
	s_cbranch_execz .LBB90_128
; %bb.119:
	s_and_not1_b32 vcc_lo, exec_lo, s2
	s_cbranch_vccnz .LBB90_121
; %bb.120:
	scratch_load_b64 v[55:56], v59, off
	ds_load_b64 v[67:68], v58
	s_waitcnt vmcnt(0) lgkmcnt(0)
	v_mul_f64 v[55:56], v[55:56], v[67:68]
	s_cbranch_execz .LBB90_122
	s_branch .LBB90_123
.LBB90_121:
                                        ; implicit-def: $vgpr55_vgpr56
.LBB90_122:
	ds_load_b64 v[55:56], v58
.LBB90_123:
	s_and_saveexec_b32 s4, s0
	s_cbranch_execz .LBB90_127
; %bb.124:
	v_add_nc_u32_e32 v67, -14, v0
	s_movk_i32 s5, 0x150
	s_mov_b32 s0, 0
.LBB90_125:                             ; =>This Inner Loop Header: Depth=1
	scratch_load_b64 v[68:69], v66, off
	v_dual_mov_b32 v70, s5 :: v_dual_add_nc_u32 v67, -1, v67
	v_add_nc_u32_e32 v66, 8, v66
	s_add_i32 s5, s5, 8
	ds_load_b64 v[70:71], v70
	v_cmp_eq_u32_e32 vcc_lo, 0, v67
	s_or_b32 s0, vcc_lo, s0
	s_waitcnt vmcnt(0) lgkmcnt(0)
	v_fma_f64 v[55:56], v[68:69], v[70:71], v[55:56]
	s_and_not1_b32 exec_lo, exec_lo, s0
	s_cbranch_execnz .LBB90_125
; %bb.126:
	s_or_b32 exec_lo, exec_lo, s0
.LBB90_127:
	s_delay_alu instid0(SALU_CYCLE_1)
	s_or_b32 exec_lo, exec_lo, s4
	v_mov_b32_e32 v66, 0
	ds_load_b64 v[66:67], v66 offset:104
	s_waitcnt lgkmcnt(0)
	v_mul_f64 v[55:56], v[55:56], v[66:67]
	scratch_store_b64 off, v[55:56], off offset:104
.LBB90_128:
	s_or_b32 exec_lo, exec_lo, s3
	scratch_load_b64 v[55:56], off, off offset:96
	v_cmp_lt_u32_e64 s0, 12, v0
	s_waitcnt vmcnt(0)
	ds_store_b64 v58, v[55:56]
	s_waitcnt lgkmcnt(0)
	s_waitcnt_vscnt null, 0x0
	s_barrier
	buffer_gl0_inv
	s_and_saveexec_b32 s3, s0
	s_cbranch_execz .LBB90_138
; %bb.129:
	s_and_not1_b32 vcc_lo, exec_lo, s2
	s_cbranch_vccnz .LBB90_131
; %bb.130:
	scratch_load_b64 v[55:56], v59, off
	ds_load_b64 v[66:67], v58
	s_waitcnt vmcnt(0) lgkmcnt(0)
	v_mul_f64 v[55:56], v[55:56], v[66:67]
	s_cbranch_execz .LBB90_132
	s_branch .LBB90_133
.LBB90_131:
                                        ; implicit-def: $vgpr55_vgpr56
.LBB90_132:
	ds_load_b64 v[55:56], v58
.LBB90_133:
	s_and_saveexec_b32 s4, s1
	s_cbranch_execz .LBB90_137
; %bb.134:
	v_dual_mov_b32 v66, 0 :: v_dual_add_nc_u32 v67, -13, v0
	s_movk_i32 s5, 0x148
	s_mov_b32 s1, 0
	s_delay_alu instid0(VALU_DEP_1)
	v_add_nc_u32_e32 v66, 0x68, v66
.LBB90_135:                             ; =>This Inner Loop Header: Depth=1
	scratch_load_b64 v[68:69], v66, off
	v_dual_mov_b32 v70, s5 :: v_dual_add_nc_u32 v67, -1, v67
	v_add_nc_u32_e32 v66, 8, v66
	s_add_i32 s5, s5, 8
	ds_load_b64 v[70:71], v70
	v_cmp_eq_u32_e32 vcc_lo, 0, v67
	s_or_b32 s1, vcc_lo, s1
	s_waitcnt vmcnt(0) lgkmcnt(0)
	v_fma_f64 v[55:56], v[68:69], v[70:71], v[55:56]
	s_and_not1_b32 exec_lo, exec_lo, s1
	s_cbranch_execnz .LBB90_135
; %bb.136:
	s_or_b32 exec_lo, exec_lo, s1
.LBB90_137:
	s_delay_alu instid0(SALU_CYCLE_1)
	s_or_b32 exec_lo, exec_lo, s4
	v_mov_b32_e32 v66, 0
	ds_load_b64 v[66:67], v66 offset:96
	s_waitcnt lgkmcnt(0)
	v_mul_f64 v[55:56], v[55:56], v[66:67]
	scratch_store_b64 off, v[55:56], off offset:96
.LBB90_138:
	s_or_b32 exec_lo, exec_lo, s3
	scratch_load_b64 v[55:56], off, off offset:88
	v_cmp_lt_u32_e64 s1, 11, v0
	s_waitcnt vmcnt(0)
	ds_store_b64 v58, v[55:56]
	s_waitcnt lgkmcnt(0)
	s_waitcnt_vscnt null, 0x0
	s_barrier
	buffer_gl0_inv
	s_and_saveexec_b32 s3, s1
	s_cbranch_execz .LBB90_148
; %bb.139:
	s_and_not1_b32 vcc_lo, exec_lo, s2
	s_cbranch_vccnz .LBB90_141
; %bb.140:
	scratch_load_b64 v[55:56], v59, off
	ds_load_b64 v[66:67], v58
	s_waitcnt vmcnt(0) lgkmcnt(0)
	v_mul_f64 v[55:56], v[55:56], v[66:67]
	s_cbranch_execz .LBB90_142
	s_branch .LBB90_143
.LBB90_141:
                                        ; implicit-def: $vgpr55_vgpr56
.LBB90_142:
	ds_load_b64 v[55:56], v58
.LBB90_143:
	s_and_saveexec_b32 s4, s0
	s_cbranch_execz .LBB90_147
; %bb.144:
	v_add_nc_u32_e32 v66, -12, v0
	s_movk_i32 s5, 0x140
	s_mov_b32 s0, 0
.LBB90_145:                             ; =>This Inner Loop Header: Depth=1
	scratch_load_b64 v[67:68], v65, off
	v_dual_mov_b32 v69, s5 :: v_dual_add_nc_u32 v66, -1, v66
	v_add_nc_u32_e32 v65, 8, v65
	s_add_i32 s5, s5, 8
	ds_load_b64 v[69:70], v69
	v_cmp_eq_u32_e32 vcc_lo, 0, v66
	s_or_b32 s0, vcc_lo, s0
	s_waitcnt vmcnt(0) lgkmcnt(0)
	v_fma_f64 v[55:56], v[67:68], v[69:70], v[55:56]
	s_and_not1_b32 exec_lo, exec_lo, s0
	s_cbranch_execnz .LBB90_145
; %bb.146:
	s_or_b32 exec_lo, exec_lo, s0
.LBB90_147:
	s_delay_alu instid0(SALU_CYCLE_1)
	s_or_b32 exec_lo, exec_lo, s4
	v_mov_b32_e32 v65, 0
	ds_load_b64 v[65:66], v65 offset:88
	s_waitcnt lgkmcnt(0)
	v_mul_f64 v[55:56], v[55:56], v[65:66]
	scratch_store_b64 off, v[55:56], off offset:88
.LBB90_148:
	s_or_b32 exec_lo, exec_lo, s3
	scratch_load_b64 v[55:56], off, off offset:80
	v_cmp_lt_u32_e64 s0, 10, v0
	s_waitcnt vmcnt(0)
	ds_store_b64 v58, v[55:56]
	s_waitcnt lgkmcnt(0)
	s_waitcnt_vscnt null, 0x0
	s_barrier
	buffer_gl0_inv
	s_and_saveexec_b32 s3, s0
	s_cbranch_execz .LBB90_158
; %bb.149:
	s_and_not1_b32 vcc_lo, exec_lo, s2
	s_cbranch_vccnz .LBB90_151
; %bb.150:
	scratch_load_b64 v[55:56], v59, off
	ds_load_b64 v[65:66], v58
	s_waitcnt vmcnt(0) lgkmcnt(0)
	v_mul_f64 v[55:56], v[55:56], v[65:66]
	s_cbranch_execz .LBB90_152
	s_branch .LBB90_153
.LBB90_151:
                                        ; implicit-def: $vgpr55_vgpr56
.LBB90_152:
	ds_load_b64 v[55:56], v58
.LBB90_153:
	s_and_saveexec_b32 s4, s1
	s_cbranch_execz .LBB90_157
; %bb.154:
	v_dual_mov_b32 v65, 0 :: v_dual_add_nc_u32 v66, -11, v0
	s_movk_i32 s5, 0x138
	s_mov_b32 s1, 0
	s_delay_alu instid0(VALU_DEP_1)
	v_add_nc_u32_e32 v65, 0x58, v65
.LBB90_155:                             ; =>This Inner Loop Header: Depth=1
	scratch_load_b64 v[67:68], v65, off
	v_dual_mov_b32 v69, s5 :: v_dual_add_nc_u32 v66, -1, v66
	v_add_nc_u32_e32 v65, 8, v65
	s_add_i32 s5, s5, 8
	ds_load_b64 v[69:70], v69
	v_cmp_eq_u32_e32 vcc_lo, 0, v66
	s_or_b32 s1, vcc_lo, s1
	s_waitcnt vmcnt(0) lgkmcnt(0)
	v_fma_f64 v[55:56], v[67:68], v[69:70], v[55:56]
	s_and_not1_b32 exec_lo, exec_lo, s1
	s_cbranch_execnz .LBB90_155
; %bb.156:
	s_or_b32 exec_lo, exec_lo, s1
.LBB90_157:
	s_delay_alu instid0(SALU_CYCLE_1)
	s_or_b32 exec_lo, exec_lo, s4
	v_mov_b32_e32 v65, 0
	ds_load_b64 v[65:66], v65 offset:80
	s_waitcnt lgkmcnt(0)
	v_mul_f64 v[55:56], v[55:56], v[65:66]
	scratch_store_b64 off, v[55:56], off offset:80
.LBB90_158:
	s_or_b32 exec_lo, exec_lo, s3
	scratch_load_b64 v[55:56], off, off offset:72
	v_cmp_lt_u32_e64 s1, 9, v0
	s_waitcnt vmcnt(0)
	ds_store_b64 v58, v[55:56]
	s_waitcnt lgkmcnt(0)
	s_waitcnt_vscnt null, 0x0
	s_barrier
	buffer_gl0_inv
	s_and_saveexec_b32 s3, s1
	s_cbranch_execz .LBB90_168
; %bb.159:
	s_and_not1_b32 vcc_lo, exec_lo, s2
	s_cbranch_vccnz .LBB90_161
; %bb.160:
	scratch_load_b64 v[55:56], v59, off
	ds_load_b64 v[65:66], v58
	s_waitcnt vmcnt(0) lgkmcnt(0)
	v_mul_f64 v[55:56], v[55:56], v[65:66]
	s_cbranch_execz .LBB90_162
	s_branch .LBB90_163
.LBB90_161:
                                        ; implicit-def: $vgpr55_vgpr56
.LBB90_162:
	ds_load_b64 v[55:56], v58
.LBB90_163:
	s_and_saveexec_b32 s4, s0
	s_cbranch_execz .LBB90_167
; %bb.164:
	v_add_nc_u32_e32 v65, -10, v0
	s_movk_i32 s5, 0x130
	s_mov_b32 s0, 0
.LBB90_165:                             ; =>This Inner Loop Header: Depth=1
	scratch_load_b64 v[66:67], v64, off
	v_dual_mov_b32 v68, s5 :: v_dual_add_nc_u32 v65, -1, v65
	v_add_nc_u32_e32 v64, 8, v64
	s_add_i32 s5, s5, 8
	ds_load_b64 v[68:69], v68
	v_cmp_eq_u32_e32 vcc_lo, 0, v65
	s_or_b32 s0, vcc_lo, s0
	s_waitcnt vmcnt(0) lgkmcnt(0)
	v_fma_f64 v[55:56], v[66:67], v[68:69], v[55:56]
	s_and_not1_b32 exec_lo, exec_lo, s0
	s_cbranch_execnz .LBB90_165
; %bb.166:
	s_or_b32 exec_lo, exec_lo, s0
.LBB90_167:
	s_delay_alu instid0(SALU_CYCLE_1)
	s_or_b32 exec_lo, exec_lo, s4
	v_mov_b32_e32 v64, 0
	ds_load_b64 v[64:65], v64 offset:72
	s_waitcnt lgkmcnt(0)
	v_mul_f64 v[55:56], v[55:56], v[64:65]
	scratch_store_b64 off, v[55:56], off offset:72
.LBB90_168:
	s_or_b32 exec_lo, exec_lo, s3
	scratch_load_b64 v[55:56], off, off offset:64
	v_cmp_lt_u32_e64 s0, 8, v0
	s_waitcnt vmcnt(0)
	ds_store_b64 v58, v[55:56]
	s_waitcnt lgkmcnt(0)
	s_waitcnt_vscnt null, 0x0
	s_barrier
	buffer_gl0_inv
	s_and_saveexec_b32 s3, s0
	s_cbranch_execz .LBB90_178
; %bb.169:
	s_and_not1_b32 vcc_lo, exec_lo, s2
	s_cbranch_vccnz .LBB90_171
; %bb.170:
	scratch_load_b64 v[55:56], v59, off
	ds_load_b64 v[64:65], v58
	s_waitcnt vmcnt(0) lgkmcnt(0)
	v_mul_f64 v[55:56], v[55:56], v[64:65]
	s_cbranch_execz .LBB90_172
	s_branch .LBB90_173
.LBB90_171:
                                        ; implicit-def: $vgpr55_vgpr56
.LBB90_172:
	ds_load_b64 v[55:56], v58
.LBB90_173:
	s_and_saveexec_b32 s4, s1
	s_cbranch_execz .LBB90_177
; %bb.174:
	v_dual_mov_b32 v64, 0 :: v_dual_add_nc_u32 v65, -9, v0
	s_movk_i32 s5, 0x128
	s_mov_b32 s1, 0
	s_delay_alu instid0(VALU_DEP_1)
	v_add_nc_u32_e32 v64, 0x48, v64
.LBB90_175:                             ; =>This Inner Loop Header: Depth=1
	scratch_load_b64 v[66:67], v64, off
	v_dual_mov_b32 v68, s5 :: v_dual_add_nc_u32 v65, -1, v65
	v_add_nc_u32_e32 v64, 8, v64
	s_add_i32 s5, s5, 8
	ds_load_b64 v[68:69], v68
	v_cmp_eq_u32_e32 vcc_lo, 0, v65
	s_or_b32 s1, vcc_lo, s1
	s_waitcnt vmcnt(0) lgkmcnt(0)
	v_fma_f64 v[55:56], v[66:67], v[68:69], v[55:56]
	s_and_not1_b32 exec_lo, exec_lo, s1
	s_cbranch_execnz .LBB90_175
; %bb.176:
	s_or_b32 exec_lo, exec_lo, s1
.LBB90_177:
	s_delay_alu instid0(SALU_CYCLE_1)
	s_or_b32 exec_lo, exec_lo, s4
	v_mov_b32_e32 v64, 0
	ds_load_b64 v[64:65], v64 offset:64
	s_waitcnt lgkmcnt(0)
	v_mul_f64 v[55:56], v[55:56], v[64:65]
	scratch_store_b64 off, v[55:56], off offset:64
.LBB90_178:
	s_or_b32 exec_lo, exec_lo, s3
	scratch_load_b64 v[55:56], off, off offset:56
	v_cmp_lt_u32_e64 s1, 7, v0
	s_waitcnt vmcnt(0)
	ds_store_b64 v58, v[55:56]
	s_waitcnt lgkmcnt(0)
	s_waitcnt_vscnt null, 0x0
	s_barrier
	buffer_gl0_inv
	s_and_saveexec_b32 s3, s1
	s_cbranch_execz .LBB90_188
; %bb.179:
	s_and_not1_b32 vcc_lo, exec_lo, s2
	s_cbranch_vccnz .LBB90_181
; %bb.180:
	scratch_load_b64 v[55:56], v59, off
	ds_load_b64 v[64:65], v58
	s_waitcnt vmcnt(0) lgkmcnt(0)
	v_mul_f64 v[55:56], v[55:56], v[64:65]
	s_cbranch_execz .LBB90_182
	s_branch .LBB90_183
.LBB90_181:
                                        ; implicit-def: $vgpr55_vgpr56
.LBB90_182:
	ds_load_b64 v[55:56], v58
.LBB90_183:
	s_and_saveexec_b32 s4, s0
	s_cbranch_execz .LBB90_187
; %bb.184:
	v_add_nc_u32_e32 v64, -8, v0
	s_movk_i32 s5, 0x120
	s_mov_b32 s0, 0
.LBB90_185:                             ; =>This Inner Loop Header: Depth=1
	scratch_load_b64 v[65:66], v63, off
	v_dual_mov_b32 v67, s5 :: v_dual_add_nc_u32 v64, -1, v64
	v_add_nc_u32_e32 v63, 8, v63
	s_add_i32 s5, s5, 8
	ds_load_b64 v[67:68], v67
	v_cmp_eq_u32_e32 vcc_lo, 0, v64
	s_or_b32 s0, vcc_lo, s0
	s_waitcnt vmcnt(0) lgkmcnt(0)
	v_fma_f64 v[55:56], v[65:66], v[67:68], v[55:56]
	s_and_not1_b32 exec_lo, exec_lo, s0
	s_cbranch_execnz .LBB90_185
; %bb.186:
	s_or_b32 exec_lo, exec_lo, s0
.LBB90_187:
	s_delay_alu instid0(SALU_CYCLE_1)
	s_or_b32 exec_lo, exec_lo, s4
	v_mov_b32_e32 v63, 0
	ds_load_b64 v[63:64], v63 offset:56
	s_waitcnt lgkmcnt(0)
	v_mul_f64 v[55:56], v[55:56], v[63:64]
	scratch_store_b64 off, v[55:56], off offset:56
.LBB90_188:
	s_or_b32 exec_lo, exec_lo, s3
	scratch_load_b64 v[55:56], off, off offset:48
	v_cmp_lt_u32_e64 s0, 6, v0
	s_waitcnt vmcnt(0)
	ds_store_b64 v58, v[55:56]
	s_waitcnt lgkmcnt(0)
	s_waitcnt_vscnt null, 0x0
	s_barrier
	buffer_gl0_inv
	s_and_saveexec_b32 s3, s0
	s_cbranch_execz .LBB90_198
; %bb.189:
	s_and_not1_b32 vcc_lo, exec_lo, s2
	s_cbranch_vccnz .LBB90_191
; %bb.190:
	scratch_load_b64 v[55:56], v59, off
	ds_load_b64 v[63:64], v58
	s_waitcnt vmcnt(0) lgkmcnt(0)
	v_mul_f64 v[55:56], v[55:56], v[63:64]
	s_cbranch_execz .LBB90_192
	s_branch .LBB90_193
.LBB90_191:
                                        ; implicit-def: $vgpr55_vgpr56
.LBB90_192:
	ds_load_b64 v[55:56], v58
.LBB90_193:
	s_and_saveexec_b32 s4, s1
	s_cbranch_execz .LBB90_197
; %bb.194:
	v_add_nc_u32_e64 v63, 0, 56
	v_add_nc_u32_e32 v64, -7, v0
	s_movk_i32 s5, 0x118
	s_mov_b32 s1, 0
.LBB90_195:                             ; =>This Inner Loop Header: Depth=1
	scratch_load_b64 v[65:66], v63, off
	v_dual_mov_b32 v67, s5 :: v_dual_add_nc_u32 v64, -1, v64
	v_add_nc_u32_e32 v63, 8, v63
	s_add_i32 s5, s5, 8
	ds_load_b64 v[67:68], v67
	v_cmp_eq_u32_e32 vcc_lo, 0, v64
	s_or_b32 s1, vcc_lo, s1
	s_waitcnt vmcnt(0) lgkmcnt(0)
	v_fma_f64 v[55:56], v[65:66], v[67:68], v[55:56]
	s_and_not1_b32 exec_lo, exec_lo, s1
	s_cbranch_execnz .LBB90_195
; %bb.196:
	s_or_b32 exec_lo, exec_lo, s1
.LBB90_197:
	s_delay_alu instid0(SALU_CYCLE_1)
	s_or_b32 exec_lo, exec_lo, s4
	v_mov_b32_e32 v63, 0
	ds_load_b64 v[63:64], v63 offset:48
	s_waitcnt lgkmcnt(0)
	v_mul_f64 v[55:56], v[55:56], v[63:64]
	scratch_store_b64 off, v[55:56], off offset:48
.LBB90_198:
	s_or_b32 exec_lo, exec_lo, s3
	scratch_load_b64 v[55:56], off, off offset:40
	v_cmp_lt_u32_e64 s1, 5, v0
	s_waitcnt vmcnt(0)
	ds_store_b64 v58, v[55:56]
	s_waitcnt lgkmcnt(0)
	s_waitcnt_vscnt null, 0x0
	s_barrier
	buffer_gl0_inv
	s_and_saveexec_b32 s3, s1
	s_cbranch_execz .LBB90_208
; %bb.199:
	s_and_not1_b32 vcc_lo, exec_lo, s2
	s_cbranch_vccnz .LBB90_201
; %bb.200:
	scratch_load_b64 v[55:56], v59, off
	ds_load_b64 v[63:64], v58
	s_waitcnt vmcnt(0) lgkmcnt(0)
	v_mul_f64 v[55:56], v[55:56], v[63:64]
	s_cbranch_execz .LBB90_202
	s_branch .LBB90_203
.LBB90_201:
                                        ; implicit-def: $vgpr55_vgpr56
.LBB90_202:
	ds_load_b64 v[55:56], v58
.LBB90_203:
	s_and_saveexec_b32 s4, s0
	s_cbranch_execz .LBB90_207
; %bb.204:
	v_add_nc_u32_e32 v63, -6, v0
	s_movk_i32 s5, 0x110
	s_mov_b32 s0, 0
.LBB90_205:                             ; =>This Inner Loop Header: Depth=1
	scratch_load_b64 v[64:65], v62, off
	v_dual_mov_b32 v66, s5 :: v_dual_add_nc_u32 v63, -1, v63
	v_add_nc_u32_e32 v62, 8, v62
	s_add_i32 s5, s5, 8
	ds_load_b64 v[66:67], v66
	v_cmp_eq_u32_e32 vcc_lo, 0, v63
	s_or_b32 s0, vcc_lo, s0
	s_waitcnt vmcnt(0) lgkmcnt(0)
	v_fma_f64 v[55:56], v[64:65], v[66:67], v[55:56]
	s_and_not1_b32 exec_lo, exec_lo, s0
	s_cbranch_execnz .LBB90_205
; %bb.206:
	s_or_b32 exec_lo, exec_lo, s0
.LBB90_207:
	s_delay_alu instid0(SALU_CYCLE_1)
	s_or_b32 exec_lo, exec_lo, s4
	v_mov_b32_e32 v62, 0
	ds_load_b64 v[62:63], v62 offset:40
	s_waitcnt lgkmcnt(0)
	v_mul_f64 v[55:56], v[55:56], v[62:63]
	scratch_store_b64 off, v[55:56], off offset:40
.LBB90_208:
	s_or_b32 exec_lo, exec_lo, s3
	scratch_load_b64 v[55:56], off, off offset:32
	v_cmp_lt_u32_e64 s0, 4, v0
	s_waitcnt vmcnt(0)
	ds_store_b64 v58, v[55:56]
	s_waitcnt lgkmcnt(0)
	s_waitcnt_vscnt null, 0x0
	s_barrier
	buffer_gl0_inv
	s_and_saveexec_b32 s3, s0
	s_cbranch_execz .LBB90_218
; %bb.209:
	s_and_not1_b32 vcc_lo, exec_lo, s2
	s_cbranch_vccnz .LBB90_211
; %bb.210:
	scratch_load_b64 v[55:56], v59, off
	ds_load_b64 v[62:63], v58
	s_waitcnt vmcnt(0) lgkmcnt(0)
	v_mul_f64 v[55:56], v[55:56], v[62:63]
	s_cbranch_execz .LBB90_212
	s_branch .LBB90_213
.LBB90_211:
                                        ; implicit-def: $vgpr55_vgpr56
.LBB90_212:
	ds_load_b64 v[55:56], v58
.LBB90_213:
	s_and_saveexec_b32 s4, s1
	s_cbranch_execz .LBB90_217
; %bb.214:
	v_add_nc_u32_e64 v62, 0, 40
	v_add_nc_u32_e32 v63, -5, v0
	s_movk_i32 s5, 0x108
	s_mov_b32 s1, 0
.LBB90_215:                             ; =>This Inner Loop Header: Depth=1
	scratch_load_b64 v[64:65], v62, off
	v_dual_mov_b32 v66, s5 :: v_dual_add_nc_u32 v63, -1, v63
	v_add_nc_u32_e32 v62, 8, v62
	s_add_i32 s5, s5, 8
	ds_load_b64 v[66:67], v66
	v_cmp_eq_u32_e32 vcc_lo, 0, v63
	s_or_b32 s1, vcc_lo, s1
	s_waitcnt vmcnt(0) lgkmcnt(0)
	v_fma_f64 v[55:56], v[64:65], v[66:67], v[55:56]
	s_and_not1_b32 exec_lo, exec_lo, s1
	s_cbranch_execnz .LBB90_215
; %bb.216:
	s_or_b32 exec_lo, exec_lo, s1
.LBB90_217:
	s_delay_alu instid0(SALU_CYCLE_1)
	s_or_b32 exec_lo, exec_lo, s4
	v_mov_b32_e32 v62, 0
	ds_load_b64 v[62:63], v62 offset:32
	s_waitcnt lgkmcnt(0)
	v_mul_f64 v[55:56], v[55:56], v[62:63]
	scratch_store_b64 off, v[55:56], off offset:32
.LBB90_218:
	s_or_b32 exec_lo, exec_lo, s3
	scratch_load_b64 v[55:56], off, off offset:24
	v_cmp_lt_u32_e64 s1, 3, v0
	s_waitcnt vmcnt(0)
	ds_store_b64 v58, v[55:56]
	s_waitcnt lgkmcnt(0)
	s_waitcnt_vscnt null, 0x0
	s_barrier
	buffer_gl0_inv
	s_and_saveexec_b32 s3, s1
	s_cbranch_execz .LBB90_228
; %bb.219:
	s_and_not1_b32 vcc_lo, exec_lo, s2
	s_cbranch_vccnz .LBB90_221
; %bb.220:
	scratch_load_b64 v[55:56], v59, off
	ds_load_b64 v[62:63], v58
	s_waitcnt vmcnt(0) lgkmcnt(0)
	v_mul_f64 v[55:56], v[55:56], v[62:63]
	s_cbranch_execz .LBB90_222
	s_branch .LBB90_223
.LBB90_221:
                                        ; implicit-def: $vgpr55_vgpr56
.LBB90_222:
	ds_load_b64 v[55:56], v58
.LBB90_223:
	s_and_saveexec_b32 s4, s0
	s_cbranch_execz .LBB90_227
; %bb.224:
	v_add_nc_u32_e32 v62, -4, v0
	s_movk_i32 s5, 0x100
	s_mov_b32 s0, 0
.LBB90_225:                             ; =>This Inner Loop Header: Depth=1
	scratch_load_b64 v[63:64], v61, off
	v_dual_mov_b32 v65, s5 :: v_dual_add_nc_u32 v62, -1, v62
	v_add_nc_u32_e32 v61, 8, v61
	s_add_i32 s5, s5, 8
	ds_load_b64 v[65:66], v65
	v_cmp_eq_u32_e32 vcc_lo, 0, v62
	s_or_b32 s0, vcc_lo, s0
	s_waitcnt vmcnt(0) lgkmcnt(0)
	v_fma_f64 v[55:56], v[63:64], v[65:66], v[55:56]
	s_and_not1_b32 exec_lo, exec_lo, s0
	s_cbranch_execnz .LBB90_225
; %bb.226:
	s_or_b32 exec_lo, exec_lo, s0
.LBB90_227:
	s_delay_alu instid0(SALU_CYCLE_1)
	s_or_b32 exec_lo, exec_lo, s4
	v_mov_b32_e32 v61, 0
	ds_load_b64 v[61:62], v61 offset:24
	s_waitcnt lgkmcnt(0)
	v_mul_f64 v[55:56], v[55:56], v[61:62]
	scratch_store_b64 off, v[55:56], off offset:24
.LBB90_228:
	s_or_b32 exec_lo, exec_lo, s3
	scratch_load_b64 v[55:56], off, off offset:16
	v_cmp_lt_u32_e64 s0, 2, v0
	s_waitcnt vmcnt(0)
	ds_store_b64 v58, v[55:56]
	s_waitcnt lgkmcnt(0)
	s_waitcnt_vscnt null, 0x0
	s_barrier
	buffer_gl0_inv
	s_and_saveexec_b32 s3, s0
	s_cbranch_execz .LBB90_238
; %bb.229:
	s_and_not1_b32 vcc_lo, exec_lo, s2
	s_cbranch_vccnz .LBB90_231
; %bb.230:
	scratch_load_b64 v[55:56], v59, off
	ds_load_b64 v[61:62], v58
	s_waitcnt vmcnt(0) lgkmcnt(0)
	v_mul_f64 v[55:56], v[55:56], v[61:62]
	s_cbranch_execz .LBB90_232
	s_branch .LBB90_233
.LBB90_231:
                                        ; implicit-def: $vgpr55_vgpr56
.LBB90_232:
	ds_load_b64 v[55:56], v58
.LBB90_233:
	s_and_saveexec_b32 s4, s1
	s_cbranch_execz .LBB90_237
; %bb.234:
	v_add_nc_u32_e64 v61, 0, 24
	v_add_nc_u32_e32 v62, -3, v0
	s_movk_i32 s5, 0xf8
	s_mov_b32 s1, 0
.LBB90_235:                             ; =>This Inner Loop Header: Depth=1
	scratch_load_b64 v[63:64], v61, off
	v_dual_mov_b32 v65, s5 :: v_dual_add_nc_u32 v62, -1, v62
	v_add_nc_u32_e32 v61, 8, v61
	s_add_i32 s5, s5, 8
	ds_load_b64 v[65:66], v65
	v_cmp_eq_u32_e32 vcc_lo, 0, v62
	s_or_b32 s1, vcc_lo, s1
	s_waitcnt vmcnt(0) lgkmcnt(0)
	v_fma_f64 v[55:56], v[63:64], v[65:66], v[55:56]
	s_and_not1_b32 exec_lo, exec_lo, s1
	s_cbranch_execnz .LBB90_235
; %bb.236:
	s_or_b32 exec_lo, exec_lo, s1
.LBB90_237:
	s_delay_alu instid0(SALU_CYCLE_1)
	s_or_b32 exec_lo, exec_lo, s4
	v_mov_b32_e32 v61, 0
	ds_load_b64 v[61:62], v61 offset:16
	s_waitcnt lgkmcnt(0)
	v_mul_f64 v[55:56], v[55:56], v[61:62]
	scratch_store_b64 off, v[55:56], off offset:16
.LBB90_238:
	s_or_b32 exec_lo, exec_lo, s3
	scratch_load_b64 v[55:56], off, off offset:8
	v_cmp_lt_u32_e64 s1, 1, v0
	s_waitcnt vmcnt(0)
	ds_store_b64 v58, v[55:56]
	s_waitcnt lgkmcnt(0)
	s_waitcnt_vscnt null, 0x0
	s_barrier
	buffer_gl0_inv
	s_and_saveexec_b32 s3, s1
	s_cbranch_execz .LBB90_248
; %bb.239:
	s_and_not1_b32 vcc_lo, exec_lo, s2
	s_cbranch_vccnz .LBB90_241
; %bb.240:
	scratch_load_b64 v[55:56], v59, off
	ds_load_b64 v[61:62], v58
	s_waitcnt vmcnt(0) lgkmcnt(0)
	v_mul_f64 v[55:56], v[55:56], v[61:62]
	s_cbranch_execz .LBB90_242
	s_branch .LBB90_243
.LBB90_241:
                                        ; implicit-def: $vgpr55_vgpr56
.LBB90_242:
	ds_load_b64 v[55:56], v58
.LBB90_243:
	s_and_saveexec_b32 s4, s0
	s_cbranch_execz .LBB90_247
; %bb.244:
	v_add_nc_u32_e32 v61, -2, v0
	s_movk_i32 s5, 0xf0
	s_mov_b32 s0, 0
.LBB90_245:                             ; =>This Inner Loop Header: Depth=1
	scratch_load_b64 v[62:63], v60, off
	v_dual_mov_b32 v64, s5 :: v_dual_add_nc_u32 v61, -1, v61
	v_add_nc_u32_e32 v60, 8, v60
	s_add_i32 s5, s5, 8
	ds_load_b64 v[64:65], v64
	v_cmp_eq_u32_e32 vcc_lo, 0, v61
	s_or_b32 s0, vcc_lo, s0
	s_waitcnt vmcnt(0) lgkmcnt(0)
	v_fma_f64 v[55:56], v[62:63], v[64:65], v[55:56]
	s_and_not1_b32 exec_lo, exec_lo, s0
	s_cbranch_execnz .LBB90_245
; %bb.246:
	s_or_b32 exec_lo, exec_lo, s0
.LBB90_247:
	s_delay_alu instid0(SALU_CYCLE_1)
	s_or_b32 exec_lo, exec_lo, s4
	v_mov_b32_e32 v60, 0
	ds_load_b64 v[60:61], v60 offset:8
	s_waitcnt lgkmcnt(0)
	v_mul_f64 v[55:56], v[55:56], v[60:61]
	scratch_store_b64 off, v[55:56], off offset:8
.LBB90_248:
	s_or_b32 exec_lo, exec_lo, s3
	scratch_load_b64 v[55:56], off, off
	s_mov_b32 s0, 0
	s_mov_b32 s3, exec_lo
	s_waitcnt vmcnt(0)
	ds_store_b64 v58, v[55:56]
	s_waitcnt lgkmcnt(0)
	s_waitcnt_vscnt null, 0x0
	s_barrier
	buffer_gl0_inv
	v_cmpx_ne_u32_e32 0, v0
	s_cbranch_execz .LBB90_258
; %bb.249:
	s_and_not1_b32 vcc_lo, exec_lo, s2
	s_cbranch_vccnz .LBB90_251
; %bb.250:
	scratch_load_b64 v[55:56], v59, off
	ds_load_b64 v[60:61], v58
	s_waitcnt vmcnt(0) lgkmcnt(0)
	v_mul_f64 v[55:56], v[55:56], v[60:61]
	s_cbranch_execz .LBB90_252
	s_branch .LBB90_253
.LBB90_251:
                                        ; implicit-def: $vgpr55_vgpr56
.LBB90_252:
	ds_load_b64 v[55:56], v58
.LBB90_253:
	s_and_saveexec_b32 s4, s1
	s_cbranch_execz .LBB90_257
; %bb.254:
	v_or_b32_e64 v60, 0, 8
	v_add_nc_u32_e32 v61, -1, v0
	s_movk_i32 s5, 0xe8
	s_mov_b32 s1, 0
.LBB90_255:                             ; =>This Inner Loop Header: Depth=1
	scratch_load_b64 v[62:63], v60, off
	v_dual_mov_b32 v64, s5 :: v_dual_add_nc_u32 v61, -1, v61
	v_add_nc_u32_e32 v60, 8, v60
	s_add_i32 s5, s5, 8
	ds_load_b64 v[64:65], v64
	v_cmp_eq_u32_e32 vcc_lo, 0, v61
	s_or_b32 s1, vcc_lo, s1
	s_waitcnt vmcnt(0) lgkmcnt(0)
	v_fma_f64 v[55:56], v[62:63], v[64:65], v[55:56]
	s_and_not1_b32 exec_lo, exec_lo, s1
	s_cbranch_execnz .LBB90_255
; %bb.256:
	s_or_b32 exec_lo, exec_lo, s1
.LBB90_257:
	s_delay_alu instid0(SALU_CYCLE_1)
	s_or_b32 exec_lo, exec_lo, s4
	v_mov_b32_e32 v60, 0
	ds_load_b64 v[60:61], v60
	s_waitcnt lgkmcnt(0)
	v_mul_f64 v[55:56], v[55:56], v[60:61]
	scratch_store_b64 off, v[55:56], off
.LBB90_258:
	s_or_b32 exec_lo, exec_lo, s3
.LBB90_259:
	s_delay_alu instid0(SALU_CYCLE_1)
	s_and_b32 vcc_lo, exec_lo, s0
	s_cbranch_vccz .LBB90_515
; %bb.260:
	scratch_load_b64 v[55:56], off, off offset:8
	v_cmp_eq_u32_e64 s0, 0, v0
	s_waitcnt vmcnt(0)
	ds_store_b64 v58, v[55:56]
	s_waitcnt lgkmcnt(0)
	s_waitcnt_vscnt null, 0x0
	s_barrier
	buffer_gl0_inv
	s_and_saveexec_b32 s1, s0
	s_cbranch_execz .LBB90_266
; %bb.261:
	s_and_b32 vcc_lo, exec_lo, s2
	s_cbranch_vccz .LBB90_263
; %bb.262:
	scratch_load_b64 v[55:56], v59, off
	ds_load_b64 v[60:61], v58
	s_waitcnt vmcnt(0) lgkmcnt(0)
	v_mul_f64 v[55:56], v[55:56], v[60:61]
	s_cbranch_execz .LBB90_264
	s_branch .LBB90_265
.LBB90_263:
                                        ; implicit-def: $vgpr55_vgpr56
.LBB90_264:
	ds_load_b64 v[55:56], v58
.LBB90_265:
	v_mov_b32_e32 v60, 0
	ds_load_b64 v[60:61], v60 offset:8
	s_waitcnt lgkmcnt(0)
	v_mul_f64 v[55:56], v[55:56], v[60:61]
	scratch_store_b64 off, v[55:56], off offset:8
.LBB90_266:
	s_or_b32 exec_lo, exec_lo, s1
	scratch_load_b64 v[55:56], off, off offset:16
	v_cndmask_b32_e64 v60, 0, 1, s2
	s_mov_b32 s1, exec_lo
	s_waitcnt vmcnt(0)
	ds_store_b64 v58, v[55:56]
	s_waitcnt lgkmcnt(0)
	s_waitcnt_vscnt null, 0x0
	s_barrier
	buffer_gl0_inv
	v_cmpx_gt_u32_e32 2, v0
	s_cbranch_execz .LBB90_274
; %bb.267:
	s_and_not1_b32 vcc_lo, exec_lo, s2
	s_cbranch_vccnz .LBB90_269
; %bb.268:
	scratch_load_b64 v[55:56], v59, off
	ds_load_b64 v[61:62], v58
	s_waitcnt vmcnt(0) lgkmcnt(0)
	v_mul_f64 v[55:56], v[55:56], v[61:62]
	s_cbranch_execz .LBB90_270
	s_branch .LBB90_271
.LBB90_269:
                                        ; implicit-def: $vgpr55_vgpr56
.LBB90_270:
	ds_load_b64 v[55:56], v58
.LBB90_271:
	s_and_saveexec_b32 s2, s0
	s_cbranch_execz .LBB90_273
; %bb.272:
	scratch_load_b64 v[61:62], v59, off offset:8
	ds_load_b64 v[63:64], v58 offset:8
	s_waitcnt vmcnt(0) lgkmcnt(0)
	v_fma_f64 v[55:56], v[61:62], v[63:64], v[55:56]
.LBB90_273:
	s_or_b32 exec_lo, exec_lo, s2
	v_mov_b32_e32 v61, 0
	ds_load_b64 v[61:62], v61 offset:16
	s_waitcnt lgkmcnt(0)
	v_mul_f64 v[55:56], v[55:56], v[61:62]
	scratch_store_b64 off, v[55:56], off offset:16
.LBB90_274:
	s_or_b32 exec_lo, exec_lo, s1
	scratch_load_b64 v[55:56], off, off offset:24
	s_mov_b32 s1, exec_lo
	s_waitcnt vmcnt(0)
	ds_store_b64 v58, v[55:56]
	s_waitcnt lgkmcnt(0)
	s_waitcnt_vscnt null, 0x0
	s_barrier
	buffer_gl0_inv
	v_cmpx_gt_u32_e32 3, v0
	s_cbranch_execz .LBB90_284
; %bb.275:
	v_cmp_ne_u32_e32 vcc_lo, 1, v60
	s_cbranch_vccnz .LBB90_277
; %bb.276:
	scratch_load_b64 v[55:56], v59, off
	ds_load_b64 v[61:62], v58
	s_waitcnt vmcnt(0) lgkmcnt(0)
	v_mul_f64 v[55:56], v[55:56], v[61:62]
	s_cbranch_execz .LBB90_278
	s_branch .LBB90_279
.LBB90_277:
                                        ; implicit-def: $vgpr55_vgpr56
.LBB90_278:
	ds_load_b64 v[55:56], v58
.LBB90_279:
	s_mov_b32 s2, exec_lo
	v_cmpx_ne_u32_e32 2, v0
	s_cbranch_execz .LBB90_283
; %bb.280:
	scratch_load_b64 v[61:62], v59, off offset:8
	ds_load_b64 v[63:64], v58 offset:8
	s_waitcnt vmcnt(0) lgkmcnt(0)
	v_fma_f64 v[55:56], v[61:62], v[63:64], v[55:56]
	s_and_saveexec_b32 s3, s0
	s_cbranch_execz .LBB90_282
; %bb.281:
	scratch_load_b64 v[61:62], off, off offset:16
	v_mov_b32_e32 v63, 0
	ds_load_b64 v[63:64], v63 offset:240
	s_waitcnt vmcnt(0) lgkmcnt(0)
	v_fma_f64 v[55:56], v[61:62], v[63:64], v[55:56]
.LBB90_282:
	s_or_b32 exec_lo, exec_lo, s3
.LBB90_283:
	s_delay_alu instid0(SALU_CYCLE_1)
	s_or_b32 exec_lo, exec_lo, s2
	v_mov_b32_e32 v61, 0
	ds_load_b64 v[61:62], v61 offset:24
	s_waitcnt lgkmcnt(0)
	v_mul_f64 v[55:56], v[55:56], v[61:62]
	scratch_store_b64 off, v[55:56], off offset:24
.LBB90_284:
	s_or_b32 exec_lo, exec_lo, s1
	scratch_load_b64 v[55:56], off, off offset:32
	s_mov_b32 s0, exec_lo
	s_waitcnt vmcnt(0)
	ds_store_b64 v58, v[55:56]
	s_waitcnt lgkmcnt(0)
	s_waitcnt_vscnt null, 0x0
	s_barrier
	buffer_gl0_inv
	v_cmpx_gt_u32_e32 4, v0
	s_cbranch_execz .LBB90_294
; %bb.285:
	v_cmp_ne_u32_e32 vcc_lo, 1, v60
	s_cbranch_vccnz .LBB90_287
; %bb.286:
	scratch_load_b64 v[55:56], v59, off
	ds_load_b64 v[61:62], v58
	s_waitcnt vmcnt(0) lgkmcnt(0)
	v_mul_f64 v[55:56], v[55:56], v[61:62]
	s_cbranch_execz .LBB90_288
	s_branch .LBB90_289
.LBB90_287:
                                        ; implicit-def: $vgpr55_vgpr56
.LBB90_288:
	ds_load_b64 v[55:56], v58
.LBB90_289:
	s_mov_b32 s1, exec_lo
	v_cmpx_ne_u32_e32 3, v0
	s_cbranch_execz .LBB90_293
; %bb.290:
	v_add_nc_u32_e32 v61, 0xe8, v57
	v_add3_u32 v62, 0, v57, 8
	v_mov_b32_e32 v63, v0
	s_mov_b32 s2, 0
.LBB90_291:                             ; =>This Inner Loop Header: Depth=1
	scratch_load_b64 v[64:65], v62, off
	ds_load_b64 v[66:67], v61
	v_add_nc_u32_e32 v63, 1, v63
	v_add_nc_u32_e32 v61, 8, v61
	v_add_nc_u32_e32 v62, 8, v62
	s_delay_alu instid0(VALU_DEP_3)
	v_cmp_lt_u32_e32 vcc_lo, 2, v63
	s_or_b32 s2, vcc_lo, s2
	s_waitcnt vmcnt(0) lgkmcnt(0)
	v_fma_f64 v[55:56], v[64:65], v[66:67], v[55:56]
	s_and_not1_b32 exec_lo, exec_lo, s2
	s_cbranch_execnz .LBB90_291
; %bb.292:
	s_or_b32 exec_lo, exec_lo, s2
.LBB90_293:
	s_delay_alu instid0(SALU_CYCLE_1)
	s_or_b32 exec_lo, exec_lo, s1
	v_mov_b32_e32 v61, 0
	ds_load_b64 v[61:62], v61 offset:32
	s_waitcnt lgkmcnt(0)
	v_mul_f64 v[55:56], v[55:56], v[61:62]
	scratch_store_b64 off, v[55:56], off offset:32
.LBB90_294:
	s_or_b32 exec_lo, exec_lo, s0
	scratch_load_b64 v[55:56], off, off offset:40
	s_mov_b32 s0, exec_lo
	s_waitcnt vmcnt(0)
	ds_store_b64 v58, v[55:56]
	s_waitcnt lgkmcnt(0)
	s_waitcnt_vscnt null, 0x0
	s_barrier
	buffer_gl0_inv
	v_cmpx_gt_u32_e32 5, v0
	s_cbranch_execz .LBB90_304
; %bb.295:
	v_cmp_ne_u32_e32 vcc_lo, 1, v60
	s_cbranch_vccnz .LBB90_297
; %bb.296:
	scratch_load_b64 v[55:56], v59, off
	ds_load_b64 v[61:62], v58
	s_waitcnt vmcnt(0) lgkmcnt(0)
	v_mul_f64 v[55:56], v[55:56], v[61:62]
	s_cbranch_execz .LBB90_298
	s_branch .LBB90_299
.LBB90_297:
                                        ; implicit-def: $vgpr55_vgpr56
.LBB90_298:
	ds_load_b64 v[55:56], v58
.LBB90_299:
	s_mov_b32 s1, exec_lo
	v_cmpx_ne_u32_e32 4, v0
	s_cbranch_execz .LBB90_303
; %bb.300:
	v_add_nc_u32_e32 v61, 0xe8, v57
	v_add3_u32 v62, 0, v57, 8
	v_mov_b32_e32 v63, v0
	s_mov_b32 s2, 0
.LBB90_301:                             ; =>This Inner Loop Header: Depth=1
	scratch_load_b64 v[64:65], v62, off
	ds_load_b64 v[66:67], v61
	v_add_nc_u32_e32 v63, 1, v63
	v_add_nc_u32_e32 v61, 8, v61
	v_add_nc_u32_e32 v62, 8, v62
	s_delay_alu instid0(VALU_DEP_3)
	v_cmp_lt_u32_e32 vcc_lo, 3, v63
	s_or_b32 s2, vcc_lo, s2
	s_waitcnt vmcnt(0) lgkmcnt(0)
	v_fma_f64 v[55:56], v[64:65], v[66:67], v[55:56]
	s_and_not1_b32 exec_lo, exec_lo, s2
	s_cbranch_execnz .LBB90_301
; %bb.302:
	s_or_b32 exec_lo, exec_lo, s2
.LBB90_303:
	s_delay_alu instid0(SALU_CYCLE_1)
	s_or_b32 exec_lo, exec_lo, s1
	v_mov_b32_e32 v61, 0
	ds_load_b64 v[61:62], v61 offset:40
	s_waitcnt lgkmcnt(0)
	v_mul_f64 v[55:56], v[55:56], v[61:62]
	scratch_store_b64 off, v[55:56], off offset:40
.LBB90_304:
	;; [unrolled: 58-line block ×21, first 2 shown]
	s_or_b32 exec_lo, exec_lo, s0
	scratch_load_b64 v[55:56], off, off offset:200
	v_cmp_gt_u32_e64 s0, 25, v0
	s_waitcnt vmcnt(0)
	ds_store_b64 v58, v[55:56]
	s_waitcnt lgkmcnt(0)
	s_waitcnt_vscnt null, 0x0
	s_barrier
	buffer_gl0_inv
	s_and_saveexec_b32 s1, s0
	s_cbranch_execz .LBB90_504
; %bb.495:
	v_cmp_ne_u32_e32 vcc_lo, 1, v60
	s_cbranch_vccnz .LBB90_497
; %bb.496:
	scratch_load_b64 v[55:56], v59, off
	ds_load_b64 v[61:62], v58
	s_waitcnt vmcnt(0) lgkmcnt(0)
	v_mul_f64 v[55:56], v[55:56], v[61:62]
	s_cbranch_execz .LBB90_498
	s_branch .LBB90_499
.LBB90_497:
                                        ; implicit-def: $vgpr55_vgpr56
.LBB90_498:
	ds_load_b64 v[55:56], v58
.LBB90_499:
	s_mov_b32 s2, exec_lo
	v_cmpx_ne_u32_e32 24, v0
	s_cbranch_execz .LBB90_503
; %bb.500:
	v_add_nc_u32_e32 v61, 0xe8, v57
	v_add3_u32 v62, 0, v57, 8
	v_mov_b32_e32 v63, v0
	s_mov_b32 s3, 0
.LBB90_501:                             ; =>This Inner Loop Header: Depth=1
	scratch_load_b64 v[64:65], v62, off
	ds_load_b64 v[66:67], v61
	v_add_nc_u32_e32 v63, 1, v63
	v_add_nc_u32_e32 v61, 8, v61
	;; [unrolled: 1-line block ×3, first 2 shown]
	s_delay_alu instid0(VALU_DEP_3)
	v_cmp_lt_u32_e32 vcc_lo, 23, v63
	s_or_b32 s3, vcc_lo, s3
	s_waitcnt vmcnt(0) lgkmcnt(0)
	v_fma_f64 v[55:56], v[64:65], v[66:67], v[55:56]
	s_and_not1_b32 exec_lo, exec_lo, s3
	s_cbranch_execnz .LBB90_501
; %bb.502:
	s_or_b32 exec_lo, exec_lo, s3
.LBB90_503:
	s_delay_alu instid0(SALU_CYCLE_1)
	s_or_b32 exec_lo, exec_lo, s2
	v_mov_b32_e32 v61, 0
	ds_load_b64 v[61:62], v61 offset:200
	s_waitcnt lgkmcnt(0)
	v_mul_f64 v[55:56], v[55:56], v[61:62]
	scratch_store_b64 off, v[55:56], off offset:200
.LBB90_504:
	s_or_b32 exec_lo, exec_lo, s1
	scratch_load_b64 v[55:56], off, off offset:208
	s_mov_b32 s1, exec_lo
	s_waitcnt vmcnt(0)
	ds_store_b64 v58, v[55:56]
	s_waitcnt lgkmcnt(0)
	s_waitcnt_vscnt null, 0x0
	s_barrier
	buffer_gl0_inv
	v_cmpx_ne_u32_e32 26, v0
	s_cbranch_execz .LBB90_514
; %bb.505:
	v_cmp_ne_u32_e32 vcc_lo, 1, v60
	s_cbranch_vccnz .LBB90_507
; %bb.506:
	scratch_load_b64 v[55:56], v59, off
	ds_load_b64 v[59:60], v58
	s_waitcnt vmcnt(0) lgkmcnt(0)
	v_mul_f64 v[55:56], v[55:56], v[59:60]
	s_cbranch_execz .LBB90_508
	s_branch .LBB90_509
.LBB90_507:
                                        ; implicit-def: $vgpr55_vgpr56
.LBB90_508:
	ds_load_b64 v[55:56], v58
.LBB90_509:
	s_and_saveexec_b32 s2, s0
	s_cbranch_execz .LBB90_513
; %bb.510:
	v_add_nc_u32_e32 v58, 0xe8, v57
	v_add3_u32 v57, 0, v57, 8
	s_mov_b32 s0, 0
.LBB90_511:                             ; =>This Inner Loop Header: Depth=1
	scratch_load_b64 v[59:60], v57, off
	ds_load_b64 v[61:62], v58
	v_add_nc_u32_e32 v0, 1, v0
	v_add_nc_u32_e32 v58, 8, v58
	;; [unrolled: 1-line block ×3, first 2 shown]
	s_delay_alu instid0(VALU_DEP_3)
	v_cmp_lt_u32_e32 vcc_lo, 24, v0
	s_or_b32 s0, vcc_lo, s0
	s_waitcnt vmcnt(0) lgkmcnt(0)
	v_fma_f64 v[55:56], v[59:60], v[61:62], v[55:56]
	s_and_not1_b32 exec_lo, exec_lo, s0
	s_cbranch_execnz .LBB90_511
; %bb.512:
	s_or_b32 exec_lo, exec_lo, s0
.LBB90_513:
	s_delay_alu instid0(SALU_CYCLE_1)
	s_or_b32 exec_lo, exec_lo, s2
	v_mov_b32_e32 v0, 0
	ds_load_b64 v[57:58], v0 offset:208
	s_waitcnt lgkmcnt(0)
	v_mul_f64 v[55:56], v[55:56], v[57:58]
	scratch_store_b64 off, v[55:56], off offset:208
.LBB90_514:
	s_or_b32 exec_lo, exec_lo, s1
.LBB90_515:
	s_clause 0xa
	scratch_load_b128 v[55:58], off, off
	scratch_load_b128 v[59:62], off, off offset:16
	scratch_load_b128 v[63:66], off, off offset:32
	;; [unrolled: 1-line block ×10, first 2 shown]
	s_waitcnt vmcnt(10)
	s_clause 0x1
	global_store_b64 v[7:8], v[55:56], off
	global_store_b64 v[3:4], v[57:58], off
	scratch_load_b128 v[55:58], off, off offset:160
	s_waitcnt vmcnt(10)
	s_clause 0x1
	global_store_b64 v[11:12], v[59:60], off
	global_store_b64 v[9:10], v[61:62], off
	s_clause 0x1
	scratch_load_b128 v[7:10], off, off offset:192
	scratch_load_b64 v[3:4], off, off offset:208
	s_waitcnt vmcnt(11)
	s_clause 0x1
	global_store_b64 v[5:6], v[63:64], off
	global_store_b64 v[1:2], v[65:66], off
	s_waitcnt vmcnt(10)
	s_clause 0x1
	global_store_b64 v[13:14], v[67:68], off
	global_store_b64 v[15:16], v[69:70], off
	;; [unrolled: 4-line block ×9, first 2 shown]
	global_store_b64 v[47:48], v[95:96], off
	global_store_b64 v[49:50], v[97:98], off
	s_waitcnt vmcnt(1)
	s_clause 0x1
	global_store_b64 v[51:52], v[7:8], off
	global_store_b64 v[53:54], v[9:10], off
	s_waitcnt vmcnt(0)
	global_store_b64 v[29:30], v[3:4], off
.LBB90_516:
	s_endpgm
	.section	.rodata,"a",@progbits
	.p2align	6, 0x0
	.amdhsa_kernel _ZN9rocsolver6v33100L18trti2_kernel_smallILi27EdPKPdEEv13rocblas_fill_17rocblas_diagonal_T1_iil
		.amdhsa_group_segment_fixed_size 440
		.amdhsa_private_segment_fixed_size 224
		.amdhsa_kernarg_size 32
		.amdhsa_user_sgpr_count 15
		.amdhsa_user_sgpr_dispatch_ptr 0
		.amdhsa_user_sgpr_queue_ptr 0
		.amdhsa_user_sgpr_kernarg_segment_ptr 1
		.amdhsa_user_sgpr_dispatch_id 0
		.amdhsa_user_sgpr_private_segment_size 0
		.amdhsa_wavefront_size32 1
		.amdhsa_uses_dynamic_stack 0
		.amdhsa_enable_private_segment 1
		.amdhsa_system_sgpr_workgroup_id_x 1
		.amdhsa_system_sgpr_workgroup_id_y 0
		.amdhsa_system_sgpr_workgroup_id_z 0
		.amdhsa_system_sgpr_workgroup_info 0
		.amdhsa_system_vgpr_workitem_id 0
		.amdhsa_next_free_vgpr 99
		.amdhsa_next_free_sgpr 16
		.amdhsa_reserve_vcc 1
		.amdhsa_float_round_mode_32 0
		.amdhsa_float_round_mode_16_64 0
		.amdhsa_float_denorm_mode_32 3
		.amdhsa_float_denorm_mode_16_64 3
		.amdhsa_dx10_clamp 1
		.amdhsa_ieee_mode 1
		.amdhsa_fp16_overflow 0
		.amdhsa_workgroup_processor_mode 1
		.amdhsa_memory_ordered 1
		.amdhsa_forward_progress 0
		.amdhsa_shared_vgpr_count 0
		.amdhsa_exception_fp_ieee_invalid_op 0
		.amdhsa_exception_fp_denorm_src 0
		.amdhsa_exception_fp_ieee_div_zero 0
		.amdhsa_exception_fp_ieee_overflow 0
		.amdhsa_exception_fp_ieee_underflow 0
		.amdhsa_exception_fp_ieee_inexact 0
		.amdhsa_exception_int_div_zero 0
	.end_amdhsa_kernel
	.section	.text._ZN9rocsolver6v33100L18trti2_kernel_smallILi27EdPKPdEEv13rocblas_fill_17rocblas_diagonal_T1_iil,"axG",@progbits,_ZN9rocsolver6v33100L18trti2_kernel_smallILi27EdPKPdEEv13rocblas_fill_17rocblas_diagonal_T1_iil,comdat
.Lfunc_end90:
	.size	_ZN9rocsolver6v33100L18trti2_kernel_smallILi27EdPKPdEEv13rocblas_fill_17rocblas_diagonal_T1_iil, .Lfunc_end90-_ZN9rocsolver6v33100L18trti2_kernel_smallILi27EdPKPdEEv13rocblas_fill_17rocblas_diagonal_T1_iil
                                        ; -- End function
	.section	.AMDGPU.csdata,"",@progbits
; Kernel info:
; codeLenInByte = 14532
; NumSgprs: 18
; NumVgprs: 99
; ScratchSize: 224
; MemoryBound: 0
; FloatMode: 240
; IeeeMode: 1
; LDSByteSize: 440 bytes/workgroup (compile time only)
; SGPRBlocks: 2
; VGPRBlocks: 12
; NumSGPRsForWavesPerEU: 18
; NumVGPRsForWavesPerEU: 99
; Occupancy: 12
; WaveLimiterHint : 1
; COMPUTE_PGM_RSRC2:SCRATCH_EN: 1
; COMPUTE_PGM_RSRC2:USER_SGPR: 15
; COMPUTE_PGM_RSRC2:TRAP_HANDLER: 0
; COMPUTE_PGM_RSRC2:TGID_X_EN: 1
; COMPUTE_PGM_RSRC2:TGID_Y_EN: 0
; COMPUTE_PGM_RSRC2:TGID_Z_EN: 0
; COMPUTE_PGM_RSRC2:TIDIG_COMP_CNT: 0
	.section	.text._ZN9rocsolver6v33100L18trti2_kernel_smallILi28EdPKPdEEv13rocblas_fill_17rocblas_diagonal_T1_iil,"axG",@progbits,_ZN9rocsolver6v33100L18trti2_kernel_smallILi28EdPKPdEEv13rocblas_fill_17rocblas_diagonal_T1_iil,comdat
	.globl	_ZN9rocsolver6v33100L18trti2_kernel_smallILi28EdPKPdEEv13rocblas_fill_17rocblas_diagonal_T1_iil ; -- Begin function _ZN9rocsolver6v33100L18trti2_kernel_smallILi28EdPKPdEEv13rocblas_fill_17rocblas_diagonal_T1_iil
	.p2align	8
	.type	_ZN9rocsolver6v33100L18trti2_kernel_smallILi28EdPKPdEEv13rocblas_fill_17rocblas_diagonal_T1_iil,@function
_ZN9rocsolver6v33100L18trti2_kernel_smallILi28EdPKPdEEv13rocblas_fill_17rocblas_diagonal_T1_iil: ; @_ZN9rocsolver6v33100L18trti2_kernel_smallILi28EdPKPdEEv13rocblas_fill_17rocblas_diagonal_T1_iil
; %bb.0:
	s_mov_b32 s2, exec_lo
	v_cmpx_gt_u32_e32 28, v0
	s_cbranch_execz .LBB91_536
; %bb.1:
	s_clause 0x1
	s_load_b64 s[4:5], s[0:1], 0x10
	s_load_b128 s[0:3], s[0:1], 0x0
	s_mov_b32 s6, s15
	s_ashr_i32 s7, s15, 31
	v_lshlrev_b32_e32 v59, 3, v0
	s_lshl_b64 s[6:7], s[6:7], 3
	s_waitcnt lgkmcnt(0)
	s_ashr_i32 s9, s4, 31
	s_add_u32 s2, s2, s6
	s_addc_u32 s3, s3, s7
	v_add3_u32 v1, s5, s5, v0
	s_load_b64 s[2:3], s[2:3], 0x0
	s_mov_b32 s8, s4
	s_mov_b32 s6, s5
	s_lshl_b64 s[8:9], s[8:9], 3
	v_ashrrev_i32_e32 v2, 31, v1
	v_add_nc_u32_e32 v3, s5, v1
	s_delay_alu instid0(VALU_DEP_2) | instskip(NEXT) | instid1(VALU_DEP_2)
	v_lshlrev_b64 v[1:2], 3, v[1:2]
	v_ashrrev_i32_e32 v4, 31, v3
	v_add_nc_u32_e32 v5, s5, v3
	s_delay_alu instid0(VALU_DEP_2) | instskip(NEXT) | instid1(VALU_DEP_2)
	v_lshlrev_b64 v[9:10], 3, v[3:4]
	v_add_nc_u32_e32 v7, s5, v5
	v_ashrrev_i32_e32 v6, 31, v5
	s_waitcnt lgkmcnt(0)
	s_add_u32 s2, s2, s8
	s_addc_u32 s3, s3, s9
	v_add_co_u32 v15, s4, s2, v59
	s_ashr_i32 s7, s5, 31
	v_add_co_ci_u32_e64 v16, null, s3, 0, s4
	v_add_co_u32 v3, vcc_lo, s2, v1
	s_lshl_b64 s[6:7], s[6:7], 3
	v_add_co_ci_u32_e32 v4, vcc_lo, s3, v2, vcc_lo
	v_add_co_u32 v11, vcc_lo, v15, s6
	v_add_co_ci_u32_e32 v12, vcc_lo, s7, v16, vcc_lo
	v_add_co_u32 v1, vcc_lo, s2, v9
	v_add_nc_u32_e32 v9, s5, v7
	v_ashrrev_i32_e32 v8, 31, v7
	v_lshlrev_b64 v[5:6], 3, v[5:6]
	v_add_co_ci_u32_e32 v2, vcc_lo, s3, v10, vcc_lo
	s_delay_alu instid0(VALU_DEP_4) | instskip(NEXT) | instid1(VALU_DEP_4)
	v_add_nc_u32_e32 v17, s5, v9
	v_lshlrev_b64 v[7:8], 3, v[7:8]
	v_ashrrev_i32_e32 v10, 31, v9
	v_add_co_u32 v13, vcc_lo, s2, v5
	s_delay_alu instid0(VALU_DEP_4) | instskip(SKIP_1) | instid1(VALU_DEP_4)
	v_ashrrev_i32_e32 v18, 31, v17
	v_add_co_ci_u32_e32 v14, vcc_lo, s3, v6, vcc_lo
	v_lshlrev_b64 v[5:6], 3, v[9:10]
	v_add_co_u32 v9, vcc_lo, s2, v7
	v_add_co_ci_u32_e32 v10, vcc_lo, s3, v8, vcc_lo
	v_lshlrev_b64 v[7:8], 3, v[17:18]
	v_add_nc_u32_e32 v17, s5, v17
	s_clause 0x3
	global_load_b64 v[37:38], v59, s[2:3]
	global_load_b64 v[39:40], v[11:12], off
	global_load_b64 v[41:42], v[3:4], off
	global_load_b64 v[43:44], v[1:2], off
	v_add_co_u32 v5, vcc_lo, s2, v5
	v_add_co_ci_u32_e32 v6, vcc_lo, s3, v6, vcc_lo
	v_add_nc_u32_e32 v19, s5, v17
	v_add_co_u32 v7, vcc_lo, s2, v7
	v_ashrrev_i32_e32 v18, 31, v17
	v_add_co_ci_u32_e32 v8, vcc_lo, s3, v8, vcc_lo
	s_delay_alu instid0(VALU_DEP_4)
	v_add_nc_u32_e32 v21, s5, v19
	v_ashrrev_i32_e32 v20, 31, v19
	s_clause 0x3
	global_load_b64 v[45:46], v[13:14], off
	global_load_b64 v[47:48], v[9:10], off
	global_load_b64 v[49:50], v[5:6], off
	global_load_b64 v[51:52], v[7:8], off
	v_lshlrev_b64 v[17:18], 3, v[17:18]
	s_cmpk_lg_i32 s1, 0x84
	v_add_nc_u32_e32 v25, s5, v21
	v_ashrrev_i32_e32 v22, 31, v21
	v_lshlrev_b64 v[19:20], 3, v[19:20]
	s_delay_alu instid0(VALU_DEP_4) | instskip(NEXT) | instid1(VALU_DEP_4)
	v_add_co_u32 v17, vcc_lo, s2, v17
	v_ashrrev_i32_e32 v26, 31, v25
	s_delay_alu instid0(VALU_DEP_4) | instskip(SKIP_2) | instid1(VALU_DEP_4)
	v_lshlrev_b64 v[21:22], 3, v[21:22]
	v_add_co_ci_u32_e32 v18, vcc_lo, s3, v18, vcc_lo
	v_add_co_u32 v19, vcc_lo, s2, v19
	v_lshlrev_b64 v[23:24], 3, v[25:26]
	v_add_co_ci_u32_e32 v20, vcc_lo, s3, v20, vcc_lo
	v_add_co_u32 v21, vcc_lo, s2, v21
	v_add_co_ci_u32_e32 v22, vcc_lo, s3, v22, vcc_lo
	s_delay_alu instid0(VALU_DEP_4)
	v_add_co_u32 v23, vcc_lo, s2, v23
	v_add_co_ci_u32_e32 v24, vcc_lo, s3, v24, vcc_lo
	s_clause 0x3
	global_load_b64 v[60:61], v[17:18], off
	global_load_b64 v[62:63], v[19:20], off
	;; [unrolled: 1-line block ×4, first 2 shown]
	v_add_nc_u32_e32 v25, s5, v25
	s_delay_alu instid0(VALU_DEP_1) | instskip(SKIP_1) | instid1(VALU_DEP_2)
	v_add_nc_u32_e32 v27, s5, v25
	v_ashrrev_i32_e32 v26, 31, v25
	v_add_nc_u32_e32 v29, s5, v27
	v_ashrrev_i32_e32 v28, 31, v27
	s_delay_alu instid0(VALU_DEP_3) | instskip(NEXT) | instid1(VALU_DEP_3)
	v_lshlrev_b64 v[25:26], 3, v[25:26]
	v_add_nc_u32_e32 v31, s5, v29
	v_ashrrev_i32_e32 v30, 31, v29
	s_delay_alu instid0(VALU_DEP_4) | instskip(NEXT) | instid1(VALU_DEP_4)
	v_lshlrev_b64 v[27:28], 3, v[27:28]
	v_add_co_u32 v25, vcc_lo, s2, v25
	s_delay_alu instid0(VALU_DEP_4) | instskip(SKIP_3) | instid1(VALU_DEP_4)
	v_add_nc_u32_e32 v33, s5, v31
	v_ashrrev_i32_e32 v32, 31, v31
	v_add_co_ci_u32_e32 v26, vcc_lo, s3, v26, vcc_lo
	v_lshlrev_b64 v[70:71], 3, v[29:30]
	v_add_nc_u32_e32 v35, s5, v33
	v_add_co_u32 v29, vcc_lo, s2, v27
	v_add_co_ci_u32_e32 v30, vcc_lo, s3, v28, vcc_lo
	s_delay_alu instid0(VALU_DEP_3) | instskip(SKIP_3) | instid1(VALU_DEP_4)
	v_add_nc_u32_e32 v53, s5, v35
	v_lshlrev_b64 v[27:28], 3, v[31:32]
	v_ashrrev_i32_e32 v34, 31, v33
	v_add_co_u32 v31, vcc_lo, s2, v70
	v_add_nc_u32_e32 v55, s5, v53
	v_add_co_ci_u32_e32 v32, vcc_lo, s3, v71, vcc_lo
	v_ashrrev_i32_e32 v36, 31, v35
	v_lshlrev_b64 v[70:71], 3, v[33:34]
	s_delay_alu instid0(VALU_DEP_4) | instskip(SKIP_2) | instid1(VALU_DEP_3)
	v_add_nc_u32_e32 v57, s5, v55
	v_add_co_u32 v33, vcc_lo, s2, v27
	v_add_co_ci_u32_e32 v34, vcc_lo, s3, v28, vcc_lo
	v_add_nc_u32_e32 v72, s5, v57
	v_ashrrev_i32_e32 v54, 31, v53
	v_lshlrev_b64 v[83:84], 3, v[35:36]
	v_ashrrev_i32_e32 v56, 31, v55
	v_ashrrev_i32_e32 v58, 31, v57
	v_add_nc_u32_e32 v82, s5, v72
	v_lshlrev_b64 v[53:54], 3, v[53:54]
	global_load_b64 v[68:69], v[25:26], off
	v_add_nc_u32_e32 v90, s5, v82
	s_delay_alu instid0(VALU_DEP_1) | instskip(SKIP_1) | instid1(VALU_DEP_2)
	v_add_nc_u32_e32 v92, s5, v90
	v_ashrrev_i32_e32 v91, 31, v90
	v_add_nc_u32_e32 v94, s5, v92
	v_ashrrev_i32_e32 v93, 31, v92
	s_delay_alu instid0(VALU_DEP_2) | instskip(SKIP_1) | instid1(VALU_DEP_2)
	v_add_nc_u32_e32 v96, s5, v94
	v_ashrrev_i32_e32 v95, 31, v94
	v_add_nc_u32_e32 v73, s5, v96
	v_ashrrev_i32_e32 v97, 31, v96
	s_delay_alu instid0(VALU_DEP_2) | instskip(NEXT) | instid1(VALU_DEP_1)
	v_ashrrev_i32_e32 v74, 31, v73
	v_lshlrev_b64 v[73:74], 3, v[73:74]
	s_delay_alu instid0(VALU_DEP_1) | instskip(NEXT) | instid1(VALU_DEP_2)
	v_add_co_u32 v27, vcc_lo, s2, v73
	v_add_co_ci_u32_e32 v28, vcc_lo, s3, v74, vcc_lo
	v_add_co_u32 v35, vcc_lo, s2, v70
	v_add_co_ci_u32_e32 v36, vcc_lo, s3, v71, vcc_lo
	global_load_b64 v[74:75], v[27:28], off
	v_ashrrev_i32_e32 v73, 31, v72
	s_waitcnt vmcnt(12)
	scratch_store_b128 off, v[37:40], off
	s_waitcnt vmcnt(10)
	scratch_store_b128 off, v[41:44], off offset:16
	v_add_co_u32 v37, vcc_lo, s2, v83
	v_lshlrev_b64 v[41:42], 3, v[55:56]
	v_add_co_ci_u32_e32 v38, vcc_lo, s3, v84, vcc_lo
	v_add_co_u32 v39, vcc_lo, s2, v53
	v_lshlrev_b64 v[43:44], 3, v[57:58]
	v_ashrrev_i32_e32 v83, 31, v82
	v_add_co_ci_u32_e32 v40, vcc_lo, s3, v54, vcc_lo
	v_add_co_u32 v41, vcc_lo, s2, v41
	v_lshlrev_b64 v[53:54], 3, v[72:73]
	v_add_co_ci_u32_e32 v42, vcc_lo, s3, v42, vcc_lo
	v_add_co_u32 v43, vcc_lo, s2, v43
	v_lshlrev_b64 v[55:56], 3, v[82:83]
	v_add_co_ci_u32_e32 v44, vcc_lo, s3, v44, vcc_lo
	s_clause 0x3
	global_load_b64 v[70:71], v[29:30], off
	global_load_b64 v[76:77], v[31:32], off
	;; [unrolled: 1-line block ×4, first 2 shown]
	s_waitcnt vmcnt(12)
	scratch_store_b128 off, v[45:48], off offset:32
	s_waitcnt vmcnt(10)
	scratch_store_b128 off, v[49:52], off offset:48
	v_add_co_u32 v45, vcc_lo, s2, v53
	v_lshlrev_b64 v[49:50], 3, v[90:91]
	v_add_co_ci_u32_e32 v46, vcc_lo, s3, v54, vcc_lo
	v_add_co_u32 v47, vcc_lo, s2, v55
	v_add_co_ci_u32_e32 v48, vcc_lo, s3, v56, vcc_lo
	v_lshlrev_b64 v[53:54], 3, v[92:93]
	v_add_co_u32 v51, vcc_lo, s2, v49
	v_add_co_ci_u32_e32 v52, vcc_lo, s3, v50, vcc_lo
	v_lshlrev_b64 v[49:50], 3, v[94:95]
	s_delay_alu instid0(VALU_DEP_4) | instskip(SKIP_2) | instid1(VALU_DEP_4)
	v_add_co_u32 v53, vcc_lo, s2, v53
	v_lshlrev_b64 v[57:58], 3, v[96:97]
	v_add_co_ci_u32_e32 v54, vcc_lo, s3, v54, vcc_lo
	v_add_co_u32 v55, vcc_lo, s2, v49
	v_add_co_ci_u32_e32 v56, vcc_lo, s3, v50, vcc_lo
	s_delay_alu instid0(VALU_DEP_4)
	v_add_co_u32 v49, vcc_lo, s2, v57
	v_add_co_ci_u32_e32 v50, vcc_lo, s3, v58, vcc_lo
	s_clause 0x3
	global_load_b64 v[82:83], v[37:38], off
	global_load_b64 v[84:85], v[39:40], off
	;; [unrolled: 1-line block ×4, first 2 shown]
	s_waitcnt vmcnt(12)
	scratch_store_b128 off, v[60:63], off offset:64
	s_clause 0x2
	global_load_b64 v[90:91], v[45:46], off
	global_load_b64 v[60:61], v[47:48], off
	;; [unrolled: 1-line block ×3, first 2 shown]
	s_waitcnt vmcnt(13)
	scratch_store_b128 off, v[64:67], off offset:80
	s_clause 0x2
	global_load_b64 v[64:65], v[53:54], off
	global_load_b64 v[66:67], v[55:56], off
	;; [unrolled: 1-line block ×3, first 2 shown]
	v_mov_b32_e32 v57, 0
	v_mov_b32_e32 v58, 0xbff00000
	s_cselect_b32 s2, -1, 0
	s_cmpk_eq_i32 s1, 0x84
	s_waitcnt vmcnt(13)
	scratch_store_b128 off, v[68:71], off offset:96
	s_waitcnt vmcnt(11)
	scratch_store_b128 off, v[76:79], off offset:112
	;; [unrolled: 2-line block ×8, first 2 shown]
	s_cbranch_scc1 .LBB91_3
; %bb.2:
	scratch_load_b64 v[57:58], v59, off
	s_waitcnt vmcnt(0)
	v_div_scale_f64 v[60:61], null, v[57:58], v[57:58], 1.0
	v_div_scale_f64 v[66:67], vcc_lo, 1.0, v[57:58], 1.0
	s_delay_alu instid0(VALU_DEP_2) | instskip(SKIP_2) | instid1(VALU_DEP_1)
	v_rcp_f64_e32 v[62:63], v[60:61]
	s_waitcnt_depctr 0xfff
	v_fma_f64 v[64:65], -v[60:61], v[62:63], 1.0
	v_fma_f64 v[62:63], v[62:63], v[64:65], v[62:63]
	s_delay_alu instid0(VALU_DEP_1) | instskip(NEXT) | instid1(VALU_DEP_1)
	v_fma_f64 v[64:65], -v[60:61], v[62:63], 1.0
	v_fma_f64 v[62:63], v[62:63], v[64:65], v[62:63]
	s_delay_alu instid0(VALU_DEP_1) | instskip(NEXT) | instid1(VALU_DEP_1)
	v_mul_f64 v[64:65], v[66:67], v[62:63]
	v_fma_f64 v[60:61], -v[60:61], v[64:65], v[66:67]
	s_delay_alu instid0(VALU_DEP_1) | instskip(NEXT) | instid1(VALU_DEP_1)
	v_div_fmas_f64 v[60:61], v[60:61], v[62:63], v[64:65]
	v_div_fixup_f64 v[57:58], v[60:61], v[57:58], 1.0
	scratch_store_b64 v59, v[57:58], off
	v_xor_b32_e32 v58, 0x80000000, v58
.LBB91_3:
	v_add_nc_u32_e32 v60, 0xe0, v59
	v_add_nc_u32_e32 v61, 0, v59
	s_cmpk_eq_i32 s0, 0x79
	s_mov_b32 s0, -1
	ds_store_b64 v59, v[57:58]
	s_cbranch_scc1 .LBB91_269
; %bb.4:
	scratch_load_b64 v[57:58], off, off offset:208
	v_cmp_eq_u32_e64 s0, 27, v0
	s_movk_i32 s1, 0x50
	s_movk_i32 s3, 0x60
	;; [unrolled: 1-line block ×8, first 2 shown]
	s_waitcnt vmcnt(0)
	ds_store_b64 v60, v[57:58]
	s_waitcnt lgkmcnt(0)
	s_waitcnt_vscnt null, 0x0
	s_barrier
	buffer_gl0_inv
	s_and_saveexec_b32 s10, s0
	s_cbranch_execz .LBB91_10
; %bb.5:
	s_and_b32 vcc_lo, exec_lo, s2
	s_cbranch_vccz .LBB91_7
; %bb.6:
	scratch_load_b64 v[57:58], v61, off
	ds_load_b64 v[62:63], v60
	s_waitcnt vmcnt(0) lgkmcnt(0)
	v_mul_f64 v[57:58], v[57:58], v[62:63]
	s_cbranch_execz .LBB91_8
	s_branch .LBB91_9
.LBB91_7:
                                        ; implicit-def: $vgpr57_vgpr58
.LBB91_8:
	ds_load_b64 v[57:58], v60
.LBB91_9:
	v_mov_b32_e32 v62, 0
	ds_load_b64 v[62:63], v62 offset:208
	s_waitcnt lgkmcnt(0)
	v_mul_f64 v[57:58], v[57:58], v[62:63]
	scratch_store_b64 off, v[57:58], off offset:208
.LBB91_10:
	s_or_b32 exec_lo, exec_lo, s10
	scratch_load_b64 v[57:58], off, off offset:200
	v_add_nc_u32_e64 v62, 0, 16
	v_add_nc_u32_e64 v63, 0, 32
	;; [unrolled: 1-line block ×12, first 2 shown]
	v_cmp_lt_u32_e64 s1, 25, v0
	s_waitcnt vmcnt(0)
	ds_store_b64 v60, v[57:58]
	s_waitcnt lgkmcnt(0)
	s_waitcnt_vscnt null, 0x0
	s_barrier
	buffer_gl0_inv
	s_and_saveexec_b32 s3, s1
	s_cbranch_execz .LBB91_18
; %bb.11:
	s_and_not1_b32 vcc_lo, exec_lo, s2
	s_cbranch_vccnz .LBB91_13
; %bb.12:
	scratch_load_b64 v[57:58], v61, off
	ds_load_b64 v[74:75], v60
	s_waitcnt vmcnt(0) lgkmcnt(0)
	v_mul_f64 v[57:58], v[57:58], v[74:75]
	s_cbranch_execz .LBB91_14
	s_branch .LBB91_15
.LBB91_13:
                                        ; implicit-def: $vgpr57_vgpr58
.LBB91_14:
	ds_load_b64 v[57:58], v60
.LBB91_15:
	s_and_saveexec_b32 s4, s0
	s_cbranch_execz .LBB91_17
; %bb.16:
	scratch_load_b64 v[74:75], off, off offset:208
	v_mov_b32_e32 v76, 0
	ds_load_b64 v[76:77], v76 offset:432
	s_waitcnt vmcnt(0) lgkmcnt(0)
	v_fma_f64 v[57:58], v[74:75], v[76:77], v[57:58]
.LBB91_17:
	s_or_b32 exec_lo, exec_lo, s4
	v_mov_b32_e32 v74, 0
	ds_load_b64 v[74:75], v74 offset:200
	s_waitcnt lgkmcnt(0)
	v_mul_f64 v[57:58], v[57:58], v[74:75]
	scratch_store_b64 off, v[57:58], off offset:200
.LBB91_18:
	s_or_b32 exec_lo, exec_lo, s3
	scratch_load_b64 v[57:58], off, off offset:192
	v_cmp_lt_u32_e64 s0, 24, v0
	s_waitcnt vmcnt(0)
	ds_store_b64 v60, v[57:58]
	s_waitcnt lgkmcnt(0)
	s_waitcnt_vscnt null, 0x0
	s_barrier
	buffer_gl0_inv
	s_and_saveexec_b32 s3, s0
	s_cbranch_execz .LBB91_28
; %bb.19:
	s_and_not1_b32 vcc_lo, exec_lo, s2
	s_cbranch_vccnz .LBB91_21
; %bb.20:
	scratch_load_b64 v[57:58], v61, off
	ds_load_b64 v[74:75], v60
	s_waitcnt vmcnt(0) lgkmcnt(0)
	v_mul_f64 v[57:58], v[57:58], v[74:75]
	s_cbranch_execz .LBB91_22
	s_branch .LBB91_23
.LBB91_21:
                                        ; implicit-def: $vgpr57_vgpr58
.LBB91_22:
	ds_load_b64 v[57:58], v60
.LBB91_23:
	s_and_saveexec_b32 s4, s1
	s_cbranch_execz .LBB91_27
; %bb.24:
	v_mov_b32_e32 v74, 0
	v_subrev_nc_u32_e32 v75, 25, v0
	s_movk_i32 s5, 0x1a8
	s_mov_b32 s1, 0
	s_delay_alu instid0(VALU_DEP_2)
	v_add_nc_u32_e32 v74, 0xc8, v74
.LBB91_25:                              ; =>This Inner Loop Header: Depth=1
	scratch_load_b64 v[76:77], v74, off
	v_dual_mov_b32 v78, s5 :: v_dual_add_nc_u32 v75, -1, v75
	v_add_nc_u32_e32 v74, 8, v74
	s_add_i32 s5, s5, 8
	ds_load_b64 v[78:79], v78
	v_cmp_eq_u32_e32 vcc_lo, 0, v75
	s_or_b32 s1, vcc_lo, s1
	s_waitcnt vmcnt(0) lgkmcnt(0)
	v_fma_f64 v[57:58], v[76:77], v[78:79], v[57:58]
	s_and_not1_b32 exec_lo, exec_lo, s1
	s_cbranch_execnz .LBB91_25
; %bb.26:
	s_or_b32 exec_lo, exec_lo, s1
.LBB91_27:
	s_delay_alu instid0(SALU_CYCLE_1)
	s_or_b32 exec_lo, exec_lo, s4
	v_mov_b32_e32 v74, 0
	ds_load_b64 v[74:75], v74 offset:192
	s_waitcnt lgkmcnt(0)
	v_mul_f64 v[57:58], v[57:58], v[74:75]
	scratch_store_b64 off, v[57:58], off offset:192
.LBB91_28:
	s_or_b32 exec_lo, exec_lo, s3
	scratch_load_b64 v[57:58], off, off offset:184
	v_cmp_lt_u32_e64 s1, 23, v0
	s_waitcnt vmcnt(0)
	ds_store_b64 v60, v[57:58]
	s_waitcnt lgkmcnt(0)
	s_waitcnt_vscnt null, 0x0
	s_barrier
	buffer_gl0_inv
	s_and_saveexec_b32 s3, s1
	s_cbranch_execz .LBB91_38
; %bb.29:
	s_and_not1_b32 vcc_lo, exec_lo, s2
	s_cbranch_vccnz .LBB91_31
; %bb.30:
	scratch_load_b64 v[57:58], v61, off
	ds_load_b64 v[74:75], v60
	s_waitcnt vmcnt(0) lgkmcnt(0)
	v_mul_f64 v[57:58], v[57:58], v[74:75]
	s_cbranch_execz .LBB91_32
	s_branch .LBB91_33
.LBB91_31:
                                        ; implicit-def: $vgpr57_vgpr58
.LBB91_32:
	ds_load_b64 v[57:58], v60
.LBB91_33:
	s_and_saveexec_b32 s4, s0
	s_cbranch_execz .LBB91_37
; %bb.34:
	v_subrev_nc_u32_e32 v74, 24, v0
	s_movk_i32 s5, 0x1a0
	s_mov_b32 s0, 0
.LBB91_35:                              ; =>This Inner Loop Header: Depth=1
	scratch_load_b64 v[75:76], v73, off
	v_dual_mov_b32 v77, s5 :: v_dual_add_nc_u32 v74, -1, v74
	v_add_nc_u32_e32 v73, 8, v73
	s_add_i32 s5, s5, 8
	ds_load_b64 v[77:78], v77
	v_cmp_eq_u32_e32 vcc_lo, 0, v74
	s_or_b32 s0, vcc_lo, s0
	s_waitcnt vmcnt(0) lgkmcnt(0)
	v_fma_f64 v[57:58], v[75:76], v[77:78], v[57:58]
	s_and_not1_b32 exec_lo, exec_lo, s0
	s_cbranch_execnz .LBB91_35
; %bb.36:
	s_or_b32 exec_lo, exec_lo, s0
.LBB91_37:
	s_delay_alu instid0(SALU_CYCLE_1)
	s_or_b32 exec_lo, exec_lo, s4
	v_mov_b32_e32 v73, 0
	ds_load_b64 v[73:74], v73 offset:184
	s_waitcnt lgkmcnt(0)
	v_mul_f64 v[57:58], v[57:58], v[73:74]
	scratch_store_b64 off, v[57:58], off offset:184
.LBB91_38:
	s_or_b32 exec_lo, exec_lo, s3
	scratch_load_b64 v[57:58], off, off offset:176
	v_cmp_lt_u32_e64 s0, 22, v0
	s_waitcnt vmcnt(0)
	ds_store_b64 v60, v[57:58]
	s_waitcnt lgkmcnt(0)
	s_waitcnt_vscnt null, 0x0
	s_barrier
	buffer_gl0_inv
	s_and_saveexec_b32 s3, s0
	s_cbranch_execz .LBB91_48
; %bb.39:
	s_and_not1_b32 vcc_lo, exec_lo, s2
	s_cbranch_vccnz .LBB91_41
; %bb.40:
	scratch_load_b64 v[57:58], v61, off
	ds_load_b64 v[73:74], v60
	s_waitcnt vmcnt(0) lgkmcnt(0)
	v_mul_f64 v[57:58], v[57:58], v[73:74]
	s_cbranch_execz .LBB91_42
	s_branch .LBB91_43
.LBB91_41:
                                        ; implicit-def: $vgpr57_vgpr58
.LBB91_42:
	ds_load_b64 v[57:58], v60
.LBB91_43:
	s_and_saveexec_b32 s4, s1
	s_cbranch_execz .LBB91_47
; %bb.44:
	v_mov_b32_e32 v73, 0
	v_subrev_nc_u32_e32 v74, 23, v0
	s_movk_i32 s5, 0x198
	s_mov_b32 s1, 0
	s_delay_alu instid0(VALU_DEP_2)
	v_add_nc_u32_e32 v73, 0xb8, v73
.LBB91_45:                              ; =>This Inner Loop Header: Depth=1
	scratch_load_b64 v[75:76], v73, off
	v_dual_mov_b32 v77, s5 :: v_dual_add_nc_u32 v74, -1, v74
	v_add_nc_u32_e32 v73, 8, v73
	s_add_i32 s5, s5, 8
	ds_load_b64 v[77:78], v77
	v_cmp_eq_u32_e32 vcc_lo, 0, v74
	s_or_b32 s1, vcc_lo, s1
	s_waitcnt vmcnt(0) lgkmcnt(0)
	v_fma_f64 v[57:58], v[75:76], v[77:78], v[57:58]
	s_and_not1_b32 exec_lo, exec_lo, s1
	s_cbranch_execnz .LBB91_45
; %bb.46:
	s_or_b32 exec_lo, exec_lo, s1
.LBB91_47:
	s_delay_alu instid0(SALU_CYCLE_1)
	s_or_b32 exec_lo, exec_lo, s4
	v_mov_b32_e32 v73, 0
	ds_load_b64 v[73:74], v73 offset:176
	s_waitcnt lgkmcnt(0)
	v_mul_f64 v[57:58], v[57:58], v[73:74]
	scratch_store_b64 off, v[57:58], off offset:176
.LBB91_48:
	s_or_b32 exec_lo, exec_lo, s3
	scratch_load_b64 v[57:58], off, off offset:168
	v_cmp_lt_u32_e64 s1, 21, v0
	s_waitcnt vmcnt(0)
	ds_store_b64 v60, v[57:58]
	s_waitcnt lgkmcnt(0)
	s_waitcnt_vscnt null, 0x0
	s_barrier
	buffer_gl0_inv
	s_and_saveexec_b32 s3, s1
	s_cbranch_execz .LBB91_58
; %bb.49:
	s_and_not1_b32 vcc_lo, exec_lo, s2
	s_cbranch_vccnz .LBB91_51
; %bb.50:
	scratch_load_b64 v[57:58], v61, off
	ds_load_b64 v[73:74], v60
	s_waitcnt vmcnt(0) lgkmcnt(0)
	v_mul_f64 v[57:58], v[57:58], v[73:74]
	s_cbranch_execz .LBB91_52
	s_branch .LBB91_53
.LBB91_51:
                                        ; implicit-def: $vgpr57_vgpr58
.LBB91_52:
	ds_load_b64 v[57:58], v60
.LBB91_53:
	s_and_saveexec_b32 s4, s0
	s_cbranch_execz .LBB91_57
; %bb.54:
	v_subrev_nc_u32_e32 v73, 22, v0
	s_movk_i32 s5, 0x190
	s_mov_b32 s0, 0
.LBB91_55:                              ; =>This Inner Loop Header: Depth=1
	scratch_load_b64 v[74:75], v72, off
	v_dual_mov_b32 v76, s5 :: v_dual_add_nc_u32 v73, -1, v73
	v_add_nc_u32_e32 v72, 8, v72
	s_add_i32 s5, s5, 8
	ds_load_b64 v[76:77], v76
	v_cmp_eq_u32_e32 vcc_lo, 0, v73
	s_or_b32 s0, vcc_lo, s0
	s_waitcnt vmcnt(0) lgkmcnt(0)
	v_fma_f64 v[57:58], v[74:75], v[76:77], v[57:58]
	s_and_not1_b32 exec_lo, exec_lo, s0
	s_cbranch_execnz .LBB91_55
; %bb.56:
	s_or_b32 exec_lo, exec_lo, s0
.LBB91_57:
	s_delay_alu instid0(SALU_CYCLE_1)
	s_or_b32 exec_lo, exec_lo, s4
	v_mov_b32_e32 v72, 0
	ds_load_b64 v[72:73], v72 offset:168
	s_waitcnt lgkmcnt(0)
	v_mul_f64 v[57:58], v[57:58], v[72:73]
	scratch_store_b64 off, v[57:58], off offset:168
.LBB91_58:
	s_or_b32 exec_lo, exec_lo, s3
	scratch_load_b64 v[57:58], off, off offset:160
	v_cmp_lt_u32_e64 s0, 20, v0
	s_waitcnt vmcnt(0)
	ds_store_b64 v60, v[57:58]
	s_waitcnt lgkmcnt(0)
	s_waitcnt_vscnt null, 0x0
	s_barrier
	buffer_gl0_inv
	s_and_saveexec_b32 s3, s0
	s_cbranch_execz .LBB91_68
; %bb.59:
	s_and_not1_b32 vcc_lo, exec_lo, s2
	s_cbranch_vccnz .LBB91_61
; %bb.60:
	scratch_load_b64 v[57:58], v61, off
	ds_load_b64 v[72:73], v60
	s_waitcnt vmcnt(0) lgkmcnt(0)
	v_mul_f64 v[57:58], v[57:58], v[72:73]
	s_cbranch_execz .LBB91_62
	s_branch .LBB91_63
.LBB91_61:
                                        ; implicit-def: $vgpr57_vgpr58
.LBB91_62:
	ds_load_b64 v[57:58], v60
.LBB91_63:
	s_and_saveexec_b32 s4, s1
	s_cbranch_execz .LBB91_67
; %bb.64:
	v_mov_b32_e32 v72, 0
	v_subrev_nc_u32_e32 v73, 21, v0
	s_movk_i32 s5, 0x188
	s_mov_b32 s1, 0
	s_delay_alu instid0(VALU_DEP_2)
	v_add_nc_u32_e32 v72, 0xa8, v72
.LBB91_65:                              ; =>This Inner Loop Header: Depth=1
	scratch_load_b64 v[74:75], v72, off
	v_dual_mov_b32 v76, s5 :: v_dual_add_nc_u32 v73, -1, v73
	v_add_nc_u32_e32 v72, 8, v72
	s_add_i32 s5, s5, 8
	ds_load_b64 v[76:77], v76
	v_cmp_eq_u32_e32 vcc_lo, 0, v73
	s_or_b32 s1, vcc_lo, s1
	s_waitcnt vmcnt(0) lgkmcnt(0)
	v_fma_f64 v[57:58], v[74:75], v[76:77], v[57:58]
	s_and_not1_b32 exec_lo, exec_lo, s1
	s_cbranch_execnz .LBB91_65
; %bb.66:
	s_or_b32 exec_lo, exec_lo, s1
.LBB91_67:
	s_delay_alu instid0(SALU_CYCLE_1)
	s_or_b32 exec_lo, exec_lo, s4
	v_mov_b32_e32 v72, 0
	ds_load_b64 v[72:73], v72 offset:160
	s_waitcnt lgkmcnt(0)
	v_mul_f64 v[57:58], v[57:58], v[72:73]
	scratch_store_b64 off, v[57:58], off offset:160
.LBB91_68:
	s_or_b32 exec_lo, exec_lo, s3
	scratch_load_b64 v[57:58], off, off offset:152
	v_cmp_lt_u32_e64 s1, 19, v0
	s_waitcnt vmcnt(0)
	ds_store_b64 v60, v[57:58]
	s_waitcnt lgkmcnt(0)
	s_waitcnt_vscnt null, 0x0
	s_barrier
	buffer_gl0_inv
	s_and_saveexec_b32 s3, s1
	s_cbranch_execz .LBB91_78
; %bb.69:
	s_and_not1_b32 vcc_lo, exec_lo, s2
	s_cbranch_vccnz .LBB91_71
; %bb.70:
	scratch_load_b64 v[57:58], v61, off
	ds_load_b64 v[72:73], v60
	s_waitcnt vmcnt(0) lgkmcnt(0)
	v_mul_f64 v[57:58], v[57:58], v[72:73]
	s_cbranch_execz .LBB91_72
	s_branch .LBB91_73
.LBB91_71:
                                        ; implicit-def: $vgpr57_vgpr58
.LBB91_72:
	ds_load_b64 v[57:58], v60
.LBB91_73:
	s_and_saveexec_b32 s4, s0
	s_cbranch_execz .LBB91_77
; %bb.74:
	v_subrev_nc_u32_e32 v72, 20, v0
	s_movk_i32 s5, 0x180
	s_mov_b32 s0, 0
.LBB91_75:                              ; =>This Inner Loop Header: Depth=1
	scratch_load_b64 v[73:74], v71, off
	v_dual_mov_b32 v75, s5 :: v_dual_add_nc_u32 v72, -1, v72
	v_add_nc_u32_e32 v71, 8, v71
	s_add_i32 s5, s5, 8
	ds_load_b64 v[75:76], v75
	v_cmp_eq_u32_e32 vcc_lo, 0, v72
	s_or_b32 s0, vcc_lo, s0
	s_waitcnt vmcnt(0) lgkmcnt(0)
	v_fma_f64 v[57:58], v[73:74], v[75:76], v[57:58]
	s_and_not1_b32 exec_lo, exec_lo, s0
	s_cbranch_execnz .LBB91_75
; %bb.76:
	s_or_b32 exec_lo, exec_lo, s0
.LBB91_77:
	s_delay_alu instid0(SALU_CYCLE_1)
	s_or_b32 exec_lo, exec_lo, s4
	v_mov_b32_e32 v71, 0
	ds_load_b64 v[71:72], v71 offset:152
	s_waitcnt lgkmcnt(0)
	v_mul_f64 v[57:58], v[57:58], v[71:72]
	scratch_store_b64 off, v[57:58], off offset:152
.LBB91_78:
	s_or_b32 exec_lo, exec_lo, s3
	scratch_load_b64 v[57:58], off, off offset:144
	v_cmp_lt_u32_e64 s0, 18, v0
	s_waitcnt vmcnt(0)
	ds_store_b64 v60, v[57:58]
	s_waitcnt lgkmcnt(0)
	s_waitcnt_vscnt null, 0x0
	s_barrier
	buffer_gl0_inv
	s_and_saveexec_b32 s3, s0
	s_cbranch_execz .LBB91_88
; %bb.79:
	s_and_not1_b32 vcc_lo, exec_lo, s2
	s_cbranch_vccnz .LBB91_81
; %bb.80:
	scratch_load_b64 v[57:58], v61, off
	ds_load_b64 v[71:72], v60
	s_waitcnt vmcnt(0) lgkmcnt(0)
	v_mul_f64 v[57:58], v[57:58], v[71:72]
	s_cbranch_execz .LBB91_82
	s_branch .LBB91_83
.LBB91_81:
                                        ; implicit-def: $vgpr57_vgpr58
.LBB91_82:
	ds_load_b64 v[57:58], v60
.LBB91_83:
	s_and_saveexec_b32 s4, s1
	s_cbranch_execz .LBB91_87
; %bb.84:
	v_mov_b32_e32 v71, 0
	v_subrev_nc_u32_e32 v72, 19, v0
	s_movk_i32 s5, 0x178
	s_mov_b32 s1, 0
	s_delay_alu instid0(VALU_DEP_2)
	v_add_nc_u32_e32 v71, 0x98, v71
.LBB91_85:                              ; =>This Inner Loop Header: Depth=1
	scratch_load_b64 v[73:74], v71, off
	v_dual_mov_b32 v75, s5 :: v_dual_add_nc_u32 v72, -1, v72
	v_add_nc_u32_e32 v71, 8, v71
	s_add_i32 s5, s5, 8
	ds_load_b64 v[75:76], v75
	v_cmp_eq_u32_e32 vcc_lo, 0, v72
	s_or_b32 s1, vcc_lo, s1
	s_waitcnt vmcnt(0) lgkmcnt(0)
	v_fma_f64 v[57:58], v[73:74], v[75:76], v[57:58]
	s_and_not1_b32 exec_lo, exec_lo, s1
	s_cbranch_execnz .LBB91_85
; %bb.86:
	s_or_b32 exec_lo, exec_lo, s1
.LBB91_87:
	s_delay_alu instid0(SALU_CYCLE_1)
	s_or_b32 exec_lo, exec_lo, s4
	v_mov_b32_e32 v71, 0
	ds_load_b64 v[71:72], v71 offset:144
	s_waitcnt lgkmcnt(0)
	v_mul_f64 v[57:58], v[57:58], v[71:72]
	scratch_store_b64 off, v[57:58], off offset:144
.LBB91_88:
	s_or_b32 exec_lo, exec_lo, s3
	scratch_load_b64 v[57:58], off, off offset:136
	v_cmp_lt_u32_e64 s1, 17, v0
	s_waitcnt vmcnt(0)
	ds_store_b64 v60, v[57:58]
	s_waitcnt lgkmcnt(0)
	s_waitcnt_vscnt null, 0x0
	s_barrier
	buffer_gl0_inv
	s_and_saveexec_b32 s3, s1
	s_cbranch_execz .LBB91_98
; %bb.89:
	s_and_not1_b32 vcc_lo, exec_lo, s2
	s_cbranch_vccnz .LBB91_91
; %bb.90:
	scratch_load_b64 v[57:58], v61, off
	ds_load_b64 v[71:72], v60
	s_waitcnt vmcnt(0) lgkmcnt(0)
	v_mul_f64 v[57:58], v[57:58], v[71:72]
	s_cbranch_execz .LBB91_92
	s_branch .LBB91_93
.LBB91_91:
                                        ; implicit-def: $vgpr57_vgpr58
.LBB91_92:
	ds_load_b64 v[57:58], v60
.LBB91_93:
	s_and_saveexec_b32 s4, s0
	s_cbranch_execz .LBB91_97
; %bb.94:
	v_subrev_nc_u32_e32 v71, 18, v0
	s_movk_i32 s5, 0x170
	s_mov_b32 s0, 0
.LBB91_95:                              ; =>This Inner Loop Header: Depth=1
	scratch_load_b64 v[72:73], v70, off
	v_dual_mov_b32 v74, s5 :: v_dual_add_nc_u32 v71, -1, v71
	v_add_nc_u32_e32 v70, 8, v70
	s_add_i32 s5, s5, 8
	ds_load_b64 v[74:75], v74
	v_cmp_eq_u32_e32 vcc_lo, 0, v71
	s_or_b32 s0, vcc_lo, s0
	s_waitcnt vmcnt(0) lgkmcnt(0)
	v_fma_f64 v[57:58], v[72:73], v[74:75], v[57:58]
	s_and_not1_b32 exec_lo, exec_lo, s0
	s_cbranch_execnz .LBB91_95
; %bb.96:
	s_or_b32 exec_lo, exec_lo, s0
.LBB91_97:
	s_delay_alu instid0(SALU_CYCLE_1)
	s_or_b32 exec_lo, exec_lo, s4
	v_mov_b32_e32 v70, 0
	ds_load_b64 v[70:71], v70 offset:136
	s_waitcnt lgkmcnt(0)
	v_mul_f64 v[57:58], v[57:58], v[70:71]
	scratch_store_b64 off, v[57:58], off offset:136
.LBB91_98:
	s_or_b32 exec_lo, exec_lo, s3
	scratch_load_b64 v[57:58], off, off offset:128
	v_cmp_lt_u32_e64 s0, 16, v0
	s_waitcnt vmcnt(0)
	ds_store_b64 v60, v[57:58]
	s_waitcnt lgkmcnt(0)
	s_waitcnt_vscnt null, 0x0
	s_barrier
	buffer_gl0_inv
	s_and_saveexec_b32 s3, s0
	s_cbranch_execz .LBB91_108
; %bb.99:
	s_and_not1_b32 vcc_lo, exec_lo, s2
	s_cbranch_vccnz .LBB91_101
; %bb.100:
	scratch_load_b64 v[57:58], v61, off
	ds_load_b64 v[70:71], v60
	s_waitcnt vmcnt(0) lgkmcnt(0)
	v_mul_f64 v[57:58], v[57:58], v[70:71]
	s_cbranch_execz .LBB91_102
	s_branch .LBB91_103
.LBB91_101:
                                        ; implicit-def: $vgpr57_vgpr58
.LBB91_102:
	ds_load_b64 v[57:58], v60
.LBB91_103:
	s_and_saveexec_b32 s4, s1
	s_cbranch_execz .LBB91_107
; %bb.104:
	v_mov_b32_e32 v70, 0
	v_subrev_nc_u32_e32 v71, 17, v0
	s_movk_i32 s5, 0x168
	s_mov_b32 s1, 0
	s_delay_alu instid0(VALU_DEP_2)
	v_add_nc_u32_e32 v70, 0x88, v70
.LBB91_105:                             ; =>This Inner Loop Header: Depth=1
	scratch_load_b64 v[72:73], v70, off
	v_dual_mov_b32 v74, s5 :: v_dual_add_nc_u32 v71, -1, v71
	v_add_nc_u32_e32 v70, 8, v70
	s_add_i32 s5, s5, 8
	ds_load_b64 v[74:75], v74
	v_cmp_eq_u32_e32 vcc_lo, 0, v71
	s_or_b32 s1, vcc_lo, s1
	s_waitcnt vmcnt(0) lgkmcnt(0)
	v_fma_f64 v[57:58], v[72:73], v[74:75], v[57:58]
	s_and_not1_b32 exec_lo, exec_lo, s1
	s_cbranch_execnz .LBB91_105
; %bb.106:
	s_or_b32 exec_lo, exec_lo, s1
.LBB91_107:
	s_delay_alu instid0(SALU_CYCLE_1)
	s_or_b32 exec_lo, exec_lo, s4
	v_mov_b32_e32 v70, 0
	ds_load_b64 v[70:71], v70 offset:128
	s_waitcnt lgkmcnt(0)
	v_mul_f64 v[57:58], v[57:58], v[70:71]
	scratch_store_b64 off, v[57:58], off offset:128
.LBB91_108:
	s_or_b32 exec_lo, exec_lo, s3
	scratch_load_b64 v[57:58], off, off offset:120
	v_cmp_lt_u32_e64 s1, 15, v0
	s_waitcnt vmcnt(0)
	ds_store_b64 v60, v[57:58]
	s_waitcnt lgkmcnt(0)
	s_waitcnt_vscnt null, 0x0
	s_barrier
	buffer_gl0_inv
	s_and_saveexec_b32 s3, s1
	s_cbranch_execz .LBB91_118
; %bb.109:
	s_and_not1_b32 vcc_lo, exec_lo, s2
	s_cbranch_vccnz .LBB91_111
; %bb.110:
	scratch_load_b64 v[57:58], v61, off
	ds_load_b64 v[70:71], v60
	s_waitcnt vmcnt(0) lgkmcnt(0)
	v_mul_f64 v[57:58], v[57:58], v[70:71]
	s_cbranch_execz .LBB91_112
	s_branch .LBB91_113
.LBB91_111:
                                        ; implicit-def: $vgpr57_vgpr58
.LBB91_112:
	ds_load_b64 v[57:58], v60
.LBB91_113:
	s_and_saveexec_b32 s4, s0
	s_cbranch_execz .LBB91_117
; %bb.114:
	v_add_nc_u32_e32 v70, -16, v0
	s_movk_i32 s5, 0x160
	s_mov_b32 s0, 0
.LBB91_115:                             ; =>This Inner Loop Header: Depth=1
	scratch_load_b64 v[71:72], v69, off
	v_dual_mov_b32 v73, s5 :: v_dual_add_nc_u32 v70, -1, v70
	v_add_nc_u32_e32 v69, 8, v69
	s_add_i32 s5, s5, 8
	ds_load_b64 v[73:74], v73
	v_cmp_eq_u32_e32 vcc_lo, 0, v70
	s_or_b32 s0, vcc_lo, s0
	s_waitcnt vmcnt(0) lgkmcnt(0)
	v_fma_f64 v[57:58], v[71:72], v[73:74], v[57:58]
	s_and_not1_b32 exec_lo, exec_lo, s0
	s_cbranch_execnz .LBB91_115
; %bb.116:
	s_or_b32 exec_lo, exec_lo, s0
.LBB91_117:
	s_delay_alu instid0(SALU_CYCLE_1)
	s_or_b32 exec_lo, exec_lo, s4
	v_mov_b32_e32 v69, 0
	ds_load_b64 v[69:70], v69 offset:120
	s_waitcnt lgkmcnt(0)
	v_mul_f64 v[57:58], v[57:58], v[69:70]
	scratch_store_b64 off, v[57:58], off offset:120
.LBB91_118:
	s_or_b32 exec_lo, exec_lo, s3
	scratch_load_b64 v[57:58], off, off offset:112
	v_cmp_lt_u32_e64 s0, 14, v0
	s_waitcnt vmcnt(0)
	ds_store_b64 v60, v[57:58]
	s_waitcnt lgkmcnt(0)
	s_waitcnt_vscnt null, 0x0
	s_barrier
	buffer_gl0_inv
	s_and_saveexec_b32 s3, s0
	s_cbranch_execz .LBB91_128
; %bb.119:
	s_and_not1_b32 vcc_lo, exec_lo, s2
	s_cbranch_vccnz .LBB91_121
; %bb.120:
	scratch_load_b64 v[57:58], v61, off
	ds_load_b64 v[69:70], v60
	s_waitcnt vmcnt(0) lgkmcnt(0)
	v_mul_f64 v[57:58], v[57:58], v[69:70]
	s_cbranch_execz .LBB91_122
	s_branch .LBB91_123
.LBB91_121:
                                        ; implicit-def: $vgpr57_vgpr58
.LBB91_122:
	ds_load_b64 v[57:58], v60
.LBB91_123:
	s_and_saveexec_b32 s4, s1
	s_cbranch_execz .LBB91_127
; %bb.124:
	v_dual_mov_b32 v69, 0 :: v_dual_add_nc_u32 v70, -15, v0
	s_movk_i32 s5, 0x158
	s_mov_b32 s1, 0
	s_delay_alu instid0(VALU_DEP_1)
	v_add_nc_u32_e32 v69, 0x78, v69
.LBB91_125:                             ; =>This Inner Loop Header: Depth=1
	scratch_load_b64 v[71:72], v69, off
	v_dual_mov_b32 v73, s5 :: v_dual_add_nc_u32 v70, -1, v70
	v_add_nc_u32_e32 v69, 8, v69
	s_add_i32 s5, s5, 8
	ds_load_b64 v[73:74], v73
	v_cmp_eq_u32_e32 vcc_lo, 0, v70
	s_or_b32 s1, vcc_lo, s1
	s_waitcnt vmcnt(0) lgkmcnt(0)
	v_fma_f64 v[57:58], v[71:72], v[73:74], v[57:58]
	s_and_not1_b32 exec_lo, exec_lo, s1
	s_cbranch_execnz .LBB91_125
; %bb.126:
	s_or_b32 exec_lo, exec_lo, s1
.LBB91_127:
	s_delay_alu instid0(SALU_CYCLE_1)
	s_or_b32 exec_lo, exec_lo, s4
	v_mov_b32_e32 v69, 0
	ds_load_b64 v[69:70], v69 offset:112
	s_waitcnt lgkmcnt(0)
	v_mul_f64 v[57:58], v[57:58], v[69:70]
	scratch_store_b64 off, v[57:58], off offset:112
.LBB91_128:
	s_or_b32 exec_lo, exec_lo, s3
	scratch_load_b64 v[57:58], off, off offset:104
	v_cmp_lt_u32_e64 s1, 13, v0
	s_waitcnt vmcnt(0)
	ds_store_b64 v60, v[57:58]
	s_waitcnt lgkmcnt(0)
	s_waitcnt_vscnt null, 0x0
	s_barrier
	buffer_gl0_inv
	s_and_saveexec_b32 s3, s1
	s_cbranch_execz .LBB91_138
; %bb.129:
	s_and_not1_b32 vcc_lo, exec_lo, s2
	s_cbranch_vccnz .LBB91_131
; %bb.130:
	scratch_load_b64 v[57:58], v61, off
	ds_load_b64 v[69:70], v60
	s_waitcnt vmcnt(0) lgkmcnt(0)
	v_mul_f64 v[57:58], v[57:58], v[69:70]
	s_cbranch_execz .LBB91_132
	s_branch .LBB91_133
.LBB91_131:
                                        ; implicit-def: $vgpr57_vgpr58
.LBB91_132:
	ds_load_b64 v[57:58], v60
.LBB91_133:
	s_and_saveexec_b32 s4, s0
	s_cbranch_execz .LBB91_137
; %bb.134:
	v_add_nc_u32_e32 v69, -14, v0
	s_movk_i32 s5, 0x150
	s_mov_b32 s0, 0
.LBB91_135:                             ; =>This Inner Loop Header: Depth=1
	scratch_load_b64 v[70:71], v68, off
	v_dual_mov_b32 v72, s5 :: v_dual_add_nc_u32 v69, -1, v69
	v_add_nc_u32_e32 v68, 8, v68
	s_add_i32 s5, s5, 8
	ds_load_b64 v[72:73], v72
	v_cmp_eq_u32_e32 vcc_lo, 0, v69
	s_or_b32 s0, vcc_lo, s0
	s_waitcnt vmcnt(0) lgkmcnt(0)
	v_fma_f64 v[57:58], v[70:71], v[72:73], v[57:58]
	s_and_not1_b32 exec_lo, exec_lo, s0
	s_cbranch_execnz .LBB91_135
; %bb.136:
	s_or_b32 exec_lo, exec_lo, s0
.LBB91_137:
	s_delay_alu instid0(SALU_CYCLE_1)
	s_or_b32 exec_lo, exec_lo, s4
	v_mov_b32_e32 v68, 0
	ds_load_b64 v[68:69], v68 offset:104
	s_waitcnt lgkmcnt(0)
	v_mul_f64 v[57:58], v[57:58], v[68:69]
	scratch_store_b64 off, v[57:58], off offset:104
.LBB91_138:
	s_or_b32 exec_lo, exec_lo, s3
	scratch_load_b64 v[57:58], off, off offset:96
	v_cmp_lt_u32_e64 s0, 12, v0
	s_waitcnt vmcnt(0)
	ds_store_b64 v60, v[57:58]
	s_waitcnt lgkmcnt(0)
	s_waitcnt_vscnt null, 0x0
	s_barrier
	buffer_gl0_inv
	s_and_saveexec_b32 s3, s0
	s_cbranch_execz .LBB91_148
; %bb.139:
	s_and_not1_b32 vcc_lo, exec_lo, s2
	s_cbranch_vccnz .LBB91_141
; %bb.140:
	scratch_load_b64 v[57:58], v61, off
	ds_load_b64 v[68:69], v60
	s_waitcnt vmcnt(0) lgkmcnt(0)
	v_mul_f64 v[57:58], v[57:58], v[68:69]
	s_cbranch_execz .LBB91_142
	s_branch .LBB91_143
.LBB91_141:
                                        ; implicit-def: $vgpr57_vgpr58
.LBB91_142:
	ds_load_b64 v[57:58], v60
.LBB91_143:
	s_and_saveexec_b32 s4, s1
	s_cbranch_execz .LBB91_147
; %bb.144:
	v_dual_mov_b32 v68, 0 :: v_dual_add_nc_u32 v69, -13, v0
	s_movk_i32 s5, 0x148
	s_mov_b32 s1, 0
	s_delay_alu instid0(VALU_DEP_1)
	v_add_nc_u32_e32 v68, 0x68, v68
.LBB91_145:                             ; =>This Inner Loop Header: Depth=1
	scratch_load_b64 v[70:71], v68, off
	v_dual_mov_b32 v72, s5 :: v_dual_add_nc_u32 v69, -1, v69
	v_add_nc_u32_e32 v68, 8, v68
	s_add_i32 s5, s5, 8
	ds_load_b64 v[72:73], v72
	v_cmp_eq_u32_e32 vcc_lo, 0, v69
	s_or_b32 s1, vcc_lo, s1
	s_waitcnt vmcnt(0) lgkmcnt(0)
	v_fma_f64 v[57:58], v[70:71], v[72:73], v[57:58]
	s_and_not1_b32 exec_lo, exec_lo, s1
	s_cbranch_execnz .LBB91_145
; %bb.146:
	s_or_b32 exec_lo, exec_lo, s1
.LBB91_147:
	s_delay_alu instid0(SALU_CYCLE_1)
	s_or_b32 exec_lo, exec_lo, s4
	v_mov_b32_e32 v68, 0
	ds_load_b64 v[68:69], v68 offset:96
	s_waitcnt lgkmcnt(0)
	v_mul_f64 v[57:58], v[57:58], v[68:69]
	scratch_store_b64 off, v[57:58], off offset:96
.LBB91_148:
	s_or_b32 exec_lo, exec_lo, s3
	scratch_load_b64 v[57:58], off, off offset:88
	v_cmp_lt_u32_e64 s1, 11, v0
	s_waitcnt vmcnt(0)
	ds_store_b64 v60, v[57:58]
	s_waitcnt lgkmcnt(0)
	s_waitcnt_vscnt null, 0x0
	s_barrier
	buffer_gl0_inv
	s_and_saveexec_b32 s3, s1
	s_cbranch_execz .LBB91_158
; %bb.149:
	s_and_not1_b32 vcc_lo, exec_lo, s2
	s_cbranch_vccnz .LBB91_151
; %bb.150:
	scratch_load_b64 v[57:58], v61, off
	ds_load_b64 v[68:69], v60
	s_waitcnt vmcnt(0) lgkmcnt(0)
	v_mul_f64 v[57:58], v[57:58], v[68:69]
	s_cbranch_execz .LBB91_152
	s_branch .LBB91_153
.LBB91_151:
                                        ; implicit-def: $vgpr57_vgpr58
.LBB91_152:
	ds_load_b64 v[57:58], v60
.LBB91_153:
	s_and_saveexec_b32 s4, s0
	s_cbranch_execz .LBB91_157
; %bb.154:
	v_add_nc_u32_e32 v68, -12, v0
	s_movk_i32 s5, 0x140
	s_mov_b32 s0, 0
.LBB91_155:                             ; =>This Inner Loop Header: Depth=1
	scratch_load_b64 v[69:70], v67, off
	v_dual_mov_b32 v71, s5 :: v_dual_add_nc_u32 v68, -1, v68
	v_add_nc_u32_e32 v67, 8, v67
	s_add_i32 s5, s5, 8
	ds_load_b64 v[71:72], v71
	v_cmp_eq_u32_e32 vcc_lo, 0, v68
	s_or_b32 s0, vcc_lo, s0
	s_waitcnt vmcnt(0) lgkmcnt(0)
	v_fma_f64 v[57:58], v[69:70], v[71:72], v[57:58]
	s_and_not1_b32 exec_lo, exec_lo, s0
	s_cbranch_execnz .LBB91_155
; %bb.156:
	s_or_b32 exec_lo, exec_lo, s0
.LBB91_157:
	s_delay_alu instid0(SALU_CYCLE_1)
	s_or_b32 exec_lo, exec_lo, s4
	v_mov_b32_e32 v67, 0
	ds_load_b64 v[67:68], v67 offset:88
	s_waitcnt lgkmcnt(0)
	v_mul_f64 v[57:58], v[57:58], v[67:68]
	scratch_store_b64 off, v[57:58], off offset:88
.LBB91_158:
	s_or_b32 exec_lo, exec_lo, s3
	scratch_load_b64 v[57:58], off, off offset:80
	v_cmp_lt_u32_e64 s0, 10, v0
	s_waitcnt vmcnt(0)
	ds_store_b64 v60, v[57:58]
	s_waitcnt lgkmcnt(0)
	s_waitcnt_vscnt null, 0x0
	s_barrier
	buffer_gl0_inv
	s_and_saveexec_b32 s3, s0
	s_cbranch_execz .LBB91_168
; %bb.159:
	s_and_not1_b32 vcc_lo, exec_lo, s2
	s_cbranch_vccnz .LBB91_161
; %bb.160:
	scratch_load_b64 v[57:58], v61, off
	ds_load_b64 v[67:68], v60
	s_waitcnt vmcnt(0) lgkmcnt(0)
	v_mul_f64 v[57:58], v[57:58], v[67:68]
	s_cbranch_execz .LBB91_162
	s_branch .LBB91_163
.LBB91_161:
                                        ; implicit-def: $vgpr57_vgpr58
.LBB91_162:
	ds_load_b64 v[57:58], v60
.LBB91_163:
	s_and_saveexec_b32 s4, s1
	s_cbranch_execz .LBB91_167
; %bb.164:
	v_dual_mov_b32 v67, 0 :: v_dual_add_nc_u32 v68, -11, v0
	s_movk_i32 s5, 0x138
	s_mov_b32 s1, 0
	s_delay_alu instid0(VALU_DEP_1)
	v_add_nc_u32_e32 v67, 0x58, v67
.LBB91_165:                             ; =>This Inner Loop Header: Depth=1
	scratch_load_b64 v[69:70], v67, off
	v_dual_mov_b32 v71, s5 :: v_dual_add_nc_u32 v68, -1, v68
	v_add_nc_u32_e32 v67, 8, v67
	s_add_i32 s5, s5, 8
	ds_load_b64 v[71:72], v71
	v_cmp_eq_u32_e32 vcc_lo, 0, v68
	s_or_b32 s1, vcc_lo, s1
	s_waitcnt vmcnt(0) lgkmcnt(0)
	v_fma_f64 v[57:58], v[69:70], v[71:72], v[57:58]
	s_and_not1_b32 exec_lo, exec_lo, s1
	s_cbranch_execnz .LBB91_165
; %bb.166:
	s_or_b32 exec_lo, exec_lo, s1
.LBB91_167:
	s_delay_alu instid0(SALU_CYCLE_1)
	s_or_b32 exec_lo, exec_lo, s4
	v_mov_b32_e32 v67, 0
	ds_load_b64 v[67:68], v67 offset:80
	s_waitcnt lgkmcnt(0)
	v_mul_f64 v[57:58], v[57:58], v[67:68]
	scratch_store_b64 off, v[57:58], off offset:80
.LBB91_168:
	s_or_b32 exec_lo, exec_lo, s3
	scratch_load_b64 v[57:58], off, off offset:72
	v_cmp_lt_u32_e64 s1, 9, v0
	s_waitcnt vmcnt(0)
	ds_store_b64 v60, v[57:58]
	s_waitcnt lgkmcnt(0)
	s_waitcnt_vscnt null, 0x0
	s_barrier
	buffer_gl0_inv
	s_and_saveexec_b32 s3, s1
	s_cbranch_execz .LBB91_178
; %bb.169:
	s_and_not1_b32 vcc_lo, exec_lo, s2
	s_cbranch_vccnz .LBB91_171
; %bb.170:
	scratch_load_b64 v[57:58], v61, off
	ds_load_b64 v[67:68], v60
	s_waitcnt vmcnt(0) lgkmcnt(0)
	v_mul_f64 v[57:58], v[57:58], v[67:68]
	s_cbranch_execz .LBB91_172
	s_branch .LBB91_173
.LBB91_171:
                                        ; implicit-def: $vgpr57_vgpr58
.LBB91_172:
	ds_load_b64 v[57:58], v60
.LBB91_173:
	s_and_saveexec_b32 s4, s0
	s_cbranch_execz .LBB91_177
; %bb.174:
	v_add_nc_u32_e32 v67, -10, v0
	s_movk_i32 s5, 0x130
	s_mov_b32 s0, 0
.LBB91_175:                             ; =>This Inner Loop Header: Depth=1
	scratch_load_b64 v[68:69], v66, off
	v_dual_mov_b32 v70, s5 :: v_dual_add_nc_u32 v67, -1, v67
	v_add_nc_u32_e32 v66, 8, v66
	s_add_i32 s5, s5, 8
	ds_load_b64 v[70:71], v70
	v_cmp_eq_u32_e32 vcc_lo, 0, v67
	s_or_b32 s0, vcc_lo, s0
	s_waitcnt vmcnt(0) lgkmcnt(0)
	v_fma_f64 v[57:58], v[68:69], v[70:71], v[57:58]
	s_and_not1_b32 exec_lo, exec_lo, s0
	s_cbranch_execnz .LBB91_175
; %bb.176:
	s_or_b32 exec_lo, exec_lo, s0
.LBB91_177:
	s_delay_alu instid0(SALU_CYCLE_1)
	s_or_b32 exec_lo, exec_lo, s4
	v_mov_b32_e32 v66, 0
	ds_load_b64 v[66:67], v66 offset:72
	s_waitcnt lgkmcnt(0)
	v_mul_f64 v[57:58], v[57:58], v[66:67]
	scratch_store_b64 off, v[57:58], off offset:72
.LBB91_178:
	s_or_b32 exec_lo, exec_lo, s3
	scratch_load_b64 v[57:58], off, off offset:64
	v_cmp_lt_u32_e64 s0, 8, v0
	s_waitcnt vmcnt(0)
	ds_store_b64 v60, v[57:58]
	s_waitcnt lgkmcnt(0)
	s_waitcnt_vscnt null, 0x0
	s_barrier
	buffer_gl0_inv
	s_and_saveexec_b32 s3, s0
	s_cbranch_execz .LBB91_188
; %bb.179:
	s_and_not1_b32 vcc_lo, exec_lo, s2
	s_cbranch_vccnz .LBB91_181
; %bb.180:
	scratch_load_b64 v[57:58], v61, off
	ds_load_b64 v[66:67], v60
	s_waitcnt vmcnt(0) lgkmcnt(0)
	v_mul_f64 v[57:58], v[57:58], v[66:67]
	s_cbranch_execz .LBB91_182
	s_branch .LBB91_183
.LBB91_181:
                                        ; implicit-def: $vgpr57_vgpr58
.LBB91_182:
	ds_load_b64 v[57:58], v60
.LBB91_183:
	s_and_saveexec_b32 s4, s1
	s_cbranch_execz .LBB91_187
; %bb.184:
	v_dual_mov_b32 v66, 0 :: v_dual_add_nc_u32 v67, -9, v0
	s_movk_i32 s5, 0x128
	s_mov_b32 s1, 0
	s_delay_alu instid0(VALU_DEP_1)
	v_add_nc_u32_e32 v66, 0x48, v66
.LBB91_185:                             ; =>This Inner Loop Header: Depth=1
	scratch_load_b64 v[68:69], v66, off
	v_dual_mov_b32 v70, s5 :: v_dual_add_nc_u32 v67, -1, v67
	v_add_nc_u32_e32 v66, 8, v66
	s_add_i32 s5, s5, 8
	ds_load_b64 v[70:71], v70
	v_cmp_eq_u32_e32 vcc_lo, 0, v67
	s_or_b32 s1, vcc_lo, s1
	s_waitcnt vmcnt(0) lgkmcnt(0)
	v_fma_f64 v[57:58], v[68:69], v[70:71], v[57:58]
	s_and_not1_b32 exec_lo, exec_lo, s1
	s_cbranch_execnz .LBB91_185
; %bb.186:
	s_or_b32 exec_lo, exec_lo, s1
.LBB91_187:
	s_delay_alu instid0(SALU_CYCLE_1)
	s_or_b32 exec_lo, exec_lo, s4
	v_mov_b32_e32 v66, 0
	ds_load_b64 v[66:67], v66 offset:64
	s_waitcnt lgkmcnt(0)
	v_mul_f64 v[57:58], v[57:58], v[66:67]
	scratch_store_b64 off, v[57:58], off offset:64
.LBB91_188:
	s_or_b32 exec_lo, exec_lo, s3
	scratch_load_b64 v[57:58], off, off offset:56
	v_cmp_lt_u32_e64 s1, 7, v0
	s_waitcnt vmcnt(0)
	ds_store_b64 v60, v[57:58]
	s_waitcnt lgkmcnt(0)
	s_waitcnt_vscnt null, 0x0
	s_barrier
	buffer_gl0_inv
	s_and_saveexec_b32 s3, s1
	s_cbranch_execz .LBB91_198
; %bb.189:
	s_and_not1_b32 vcc_lo, exec_lo, s2
	s_cbranch_vccnz .LBB91_191
; %bb.190:
	scratch_load_b64 v[57:58], v61, off
	ds_load_b64 v[66:67], v60
	s_waitcnt vmcnt(0) lgkmcnt(0)
	v_mul_f64 v[57:58], v[57:58], v[66:67]
	s_cbranch_execz .LBB91_192
	s_branch .LBB91_193
.LBB91_191:
                                        ; implicit-def: $vgpr57_vgpr58
.LBB91_192:
	ds_load_b64 v[57:58], v60
.LBB91_193:
	s_and_saveexec_b32 s4, s0
	s_cbranch_execz .LBB91_197
; %bb.194:
	v_add_nc_u32_e32 v66, -8, v0
	s_movk_i32 s5, 0x120
	s_mov_b32 s0, 0
.LBB91_195:                             ; =>This Inner Loop Header: Depth=1
	scratch_load_b64 v[67:68], v65, off
	v_dual_mov_b32 v69, s5 :: v_dual_add_nc_u32 v66, -1, v66
	v_add_nc_u32_e32 v65, 8, v65
	s_add_i32 s5, s5, 8
	ds_load_b64 v[69:70], v69
	v_cmp_eq_u32_e32 vcc_lo, 0, v66
	s_or_b32 s0, vcc_lo, s0
	s_waitcnt vmcnt(0) lgkmcnt(0)
	v_fma_f64 v[57:58], v[67:68], v[69:70], v[57:58]
	s_and_not1_b32 exec_lo, exec_lo, s0
	s_cbranch_execnz .LBB91_195
; %bb.196:
	s_or_b32 exec_lo, exec_lo, s0
.LBB91_197:
	s_delay_alu instid0(SALU_CYCLE_1)
	s_or_b32 exec_lo, exec_lo, s4
	v_mov_b32_e32 v65, 0
	ds_load_b64 v[65:66], v65 offset:56
	s_waitcnt lgkmcnt(0)
	v_mul_f64 v[57:58], v[57:58], v[65:66]
	scratch_store_b64 off, v[57:58], off offset:56
.LBB91_198:
	s_or_b32 exec_lo, exec_lo, s3
	scratch_load_b64 v[57:58], off, off offset:48
	v_cmp_lt_u32_e64 s0, 6, v0
	s_waitcnt vmcnt(0)
	ds_store_b64 v60, v[57:58]
	s_waitcnt lgkmcnt(0)
	s_waitcnt_vscnt null, 0x0
	s_barrier
	buffer_gl0_inv
	s_and_saveexec_b32 s3, s0
	s_cbranch_execz .LBB91_208
; %bb.199:
	s_and_not1_b32 vcc_lo, exec_lo, s2
	s_cbranch_vccnz .LBB91_201
; %bb.200:
	scratch_load_b64 v[57:58], v61, off
	ds_load_b64 v[65:66], v60
	s_waitcnt vmcnt(0) lgkmcnt(0)
	v_mul_f64 v[57:58], v[57:58], v[65:66]
	s_cbranch_execz .LBB91_202
	s_branch .LBB91_203
.LBB91_201:
                                        ; implicit-def: $vgpr57_vgpr58
.LBB91_202:
	ds_load_b64 v[57:58], v60
.LBB91_203:
	s_and_saveexec_b32 s4, s1
	s_cbranch_execz .LBB91_207
; %bb.204:
	v_add_nc_u32_e64 v65, 0, 56
	v_add_nc_u32_e32 v66, -7, v0
	s_movk_i32 s5, 0x118
	s_mov_b32 s1, 0
.LBB91_205:                             ; =>This Inner Loop Header: Depth=1
	scratch_load_b64 v[67:68], v65, off
	v_dual_mov_b32 v69, s5 :: v_dual_add_nc_u32 v66, -1, v66
	v_add_nc_u32_e32 v65, 8, v65
	s_add_i32 s5, s5, 8
	ds_load_b64 v[69:70], v69
	v_cmp_eq_u32_e32 vcc_lo, 0, v66
	s_or_b32 s1, vcc_lo, s1
	s_waitcnt vmcnt(0) lgkmcnt(0)
	v_fma_f64 v[57:58], v[67:68], v[69:70], v[57:58]
	s_and_not1_b32 exec_lo, exec_lo, s1
	s_cbranch_execnz .LBB91_205
; %bb.206:
	s_or_b32 exec_lo, exec_lo, s1
.LBB91_207:
	s_delay_alu instid0(SALU_CYCLE_1)
	s_or_b32 exec_lo, exec_lo, s4
	v_mov_b32_e32 v65, 0
	ds_load_b64 v[65:66], v65 offset:48
	s_waitcnt lgkmcnt(0)
	v_mul_f64 v[57:58], v[57:58], v[65:66]
	scratch_store_b64 off, v[57:58], off offset:48
.LBB91_208:
	s_or_b32 exec_lo, exec_lo, s3
	scratch_load_b64 v[57:58], off, off offset:40
	v_cmp_lt_u32_e64 s1, 5, v0
	s_waitcnt vmcnt(0)
	ds_store_b64 v60, v[57:58]
	s_waitcnt lgkmcnt(0)
	s_waitcnt_vscnt null, 0x0
	s_barrier
	buffer_gl0_inv
	s_and_saveexec_b32 s3, s1
	s_cbranch_execz .LBB91_218
; %bb.209:
	s_and_not1_b32 vcc_lo, exec_lo, s2
	s_cbranch_vccnz .LBB91_211
; %bb.210:
	scratch_load_b64 v[57:58], v61, off
	ds_load_b64 v[65:66], v60
	s_waitcnt vmcnt(0) lgkmcnt(0)
	v_mul_f64 v[57:58], v[57:58], v[65:66]
	s_cbranch_execz .LBB91_212
	s_branch .LBB91_213
.LBB91_211:
                                        ; implicit-def: $vgpr57_vgpr58
.LBB91_212:
	ds_load_b64 v[57:58], v60
.LBB91_213:
	s_and_saveexec_b32 s4, s0
	s_cbranch_execz .LBB91_217
; %bb.214:
	v_add_nc_u32_e32 v65, -6, v0
	s_movk_i32 s5, 0x110
	s_mov_b32 s0, 0
.LBB91_215:                             ; =>This Inner Loop Header: Depth=1
	scratch_load_b64 v[66:67], v64, off
	v_dual_mov_b32 v68, s5 :: v_dual_add_nc_u32 v65, -1, v65
	v_add_nc_u32_e32 v64, 8, v64
	s_add_i32 s5, s5, 8
	ds_load_b64 v[68:69], v68
	v_cmp_eq_u32_e32 vcc_lo, 0, v65
	s_or_b32 s0, vcc_lo, s0
	s_waitcnt vmcnt(0) lgkmcnt(0)
	v_fma_f64 v[57:58], v[66:67], v[68:69], v[57:58]
	s_and_not1_b32 exec_lo, exec_lo, s0
	s_cbranch_execnz .LBB91_215
; %bb.216:
	s_or_b32 exec_lo, exec_lo, s0
.LBB91_217:
	s_delay_alu instid0(SALU_CYCLE_1)
	s_or_b32 exec_lo, exec_lo, s4
	v_mov_b32_e32 v64, 0
	ds_load_b64 v[64:65], v64 offset:40
	s_waitcnt lgkmcnt(0)
	v_mul_f64 v[57:58], v[57:58], v[64:65]
	scratch_store_b64 off, v[57:58], off offset:40
.LBB91_218:
	s_or_b32 exec_lo, exec_lo, s3
	scratch_load_b64 v[57:58], off, off offset:32
	v_cmp_lt_u32_e64 s0, 4, v0
	s_waitcnt vmcnt(0)
	ds_store_b64 v60, v[57:58]
	s_waitcnt lgkmcnt(0)
	s_waitcnt_vscnt null, 0x0
	s_barrier
	buffer_gl0_inv
	s_and_saveexec_b32 s3, s0
	s_cbranch_execz .LBB91_228
; %bb.219:
	s_and_not1_b32 vcc_lo, exec_lo, s2
	s_cbranch_vccnz .LBB91_221
; %bb.220:
	scratch_load_b64 v[57:58], v61, off
	ds_load_b64 v[64:65], v60
	s_waitcnt vmcnt(0) lgkmcnt(0)
	v_mul_f64 v[57:58], v[57:58], v[64:65]
	s_cbranch_execz .LBB91_222
	s_branch .LBB91_223
.LBB91_221:
                                        ; implicit-def: $vgpr57_vgpr58
.LBB91_222:
	ds_load_b64 v[57:58], v60
.LBB91_223:
	s_and_saveexec_b32 s4, s1
	s_cbranch_execz .LBB91_227
; %bb.224:
	v_add_nc_u32_e64 v64, 0, 40
	v_add_nc_u32_e32 v65, -5, v0
	s_movk_i32 s5, 0x108
	s_mov_b32 s1, 0
.LBB91_225:                             ; =>This Inner Loop Header: Depth=1
	scratch_load_b64 v[66:67], v64, off
	v_dual_mov_b32 v68, s5 :: v_dual_add_nc_u32 v65, -1, v65
	v_add_nc_u32_e32 v64, 8, v64
	s_add_i32 s5, s5, 8
	ds_load_b64 v[68:69], v68
	v_cmp_eq_u32_e32 vcc_lo, 0, v65
	s_or_b32 s1, vcc_lo, s1
	s_waitcnt vmcnt(0) lgkmcnt(0)
	v_fma_f64 v[57:58], v[66:67], v[68:69], v[57:58]
	s_and_not1_b32 exec_lo, exec_lo, s1
	s_cbranch_execnz .LBB91_225
; %bb.226:
	s_or_b32 exec_lo, exec_lo, s1
.LBB91_227:
	s_delay_alu instid0(SALU_CYCLE_1)
	s_or_b32 exec_lo, exec_lo, s4
	v_mov_b32_e32 v64, 0
	ds_load_b64 v[64:65], v64 offset:32
	s_waitcnt lgkmcnt(0)
	v_mul_f64 v[57:58], v[57:58], v[64:65]
	scratch_store_b64 off, v[57:58], off offset:32
.LBB91_228:
	s_or_b32 exec_lo, exec_lo, s3
	scratch_load_b64 v[57:58], off, off offset:24
	v_cmp_lt_u32_e64 s1, 3, v0
	s_waitcnt vmcnt(0)
	ds_store_b64 v60, v[57:58]
	s_waitcnt lgkmcnt(0)
	s_waitcnt_vscnt null, 0x0
	s_barrier
	buffer_gl0_inv
	s_and_saveexec_b32 s3, s1
	s_cbranch_execz .LBB91_238
; %bb.229:
	s_and_not1_b32 vcc_lo, exec_lo, s2
	s_cbranch_vccnz .LBB91_231
; %bb.230:
	scratch_load_b64 v[57:58], v61, off
	ds_load_b64 v[64:65], v60
	s_waitcnt vmcnt(0) lgkmcnt(0)
	v_mul_f64 v[57:58], v[57:58], v[64:65]
	s_cbranch_execz .LBB91_232
	s_branch .LBB91_233
.LBB91_231:
                                        ; implicit-def: $vgpr57_vgpr58
.LBB91_232:
	ds_load_b64 v[57:58], v60
.LBB91_233:
	s_and_saveexec_b32 s4, s0
	s_cbranch_execz .LBB91_237
; %bb.234:
	v_add_nc_u32_e32 v64, -4, v0
	s_movk_i32 s5, 0x100
	s_mov_b32 s0, 0
.LBB91_235:                             ; =>This Inner Loop Header: Depth=1
	scratch_load_b64 v[65:66], v63, off
	v_dual_mov_b32 v67, s5 :: v_dual_add_nc_u32 v64, -1, v64
	v_add_nc_u32_e32 v63, 8, v63
	s_add_i32 s5, s5, 8
	ds_load_b64 v[67:68], v67
	v_cmp_eq_u32_e32 vcc_lo, 0, v64
	s_or_b32 s0, vcc_lo, s0
	s_waitcnt vmcnt(0) lgkmcnt(0)
	v_fma_f64 v[57:58], v[65:66], v[67:68], v[57:58]
	s_and_not1_b32 exec_lo, exec_lo, s0
	s_cbranch_execnz .LBB91_235
; %bb.236:
	s_or_b32 exec_lo, exec_lo, s0
.LBB91_237:
	s_delay_alu instid0(SALU_CYCLE_1)
	s_or_b32 exec_lo, exec_lo, s4
	v_mov_b32_e32 v63, 0
	ds_load_b64 v[63:64], v63 offset:24
	s_waitcnt lgkmcnt(0)
	v_mul_f64 v[57:58], v[57:58], v[63:64]
	scratch_store_b64 off, v[57:58], off offset:24
.LBB91_238:
	s_or_b32 exec_lo, exec_lo, s3
	scratch_load_b64 v[57:58], off, off offset:16
	v_cmp_lt_u32_e64 s0, 2, v0
	s_waitcnt vmcnt(0)
	ds_store_b64 v60, v[57:58]
	s_waitcnt lgkmcnt(0)
	s_waitcnt_vscnt null, 0x0
	s_barrier
	buffer_gl0_inv
	s_and_saveexec_b32 s3, s0
	s_cbranch_execz .LBB91_248
; %bb.239:
	s_and_not1_b32 vcc_lo, exec_lo, s2
	s_cbranch_vccnz .LBB91_241
; %bb.240:
	scratch_load_b64 v[57:58], v61, off
	ds_load_b64 v[63:64], v60
	s_waitcnt vmcnt(0) lgkmcnt(0)
	v_mul_f64 v[57:58], v[57:58], v[63:64]
	s_cbranch_execz .LBB91_242
	s_branch .LBB91_243
.LBB91_241:
                                        ; implicit-def: $vgpr57_vgpr58
.LBB91_242:
	ds_load_b64 v[57:58], v60
.LBB91_243:
	s_and_saveexec_b32 s4, s1
	s_cbranch_execz .LBB91_247
; %bb.244:
	v_add_nc_u32_e64 v63, 0, 24
	v_add_nc_u32_e32 v64, -3, v0
	s_movk_i32 s5, 0xf8
	s_mov_b32 s1, 0
.LBB91_245:                             ; =>This Inner Loop Header: Depth=1
	scratch_load_b64 v[65:66], v63, off
	v_dual_mov_b32 v67, s5 :: v_dual_add_nc_u32 v64, -1, v64
	v_add_nc_u32_e32 v63, 8, v63
	s_add_i32 s5, s5, 8
	ds_load_b64 v[67:68], v67
	v_cmp_eq_u32_e32 vcc_lo, 0, v64
	s_or_b32 s1, vcc_lo, s1
	s_waitcnt vmcnt(0) lgkmcnt(0)
	v_fma_f64 v[57:58], v[65:66], v[67:68], v[57:58]
	s_and_not1_b32 exec_lo, exec_lo, s1
	s_cbranch_execnz .LBB91_245
; %bb.246:
	s_or_b32 exec_lo, exec_lo, s1
.LBB91_247:
	s_delay_alu instid0(SALU_CYCLE_1)
	s_or_b32 exec_lo, exec_lo, s4
	v_mov_b32_e32 v63, 0
	ds_load_b64 v[63:64], v63 offset:16
	s_waitcnt lgkmcnt(0)
	v_mul_f64 v[57:58], v[57:58], v[63:64]
	scratch_store_b64 off, v[57:58], off offset:16
.LBB91_248:
	s_or_b32 exec_lo, exec_lo, s3
	scratch_load_b64 v[57:58], off, off offset:8
	v_cmp_lt_u32_e64 s1, 1, v0
	s_waitcnt vmcnt(0)
	ds_store_b64 v60, v[57:58]
	s_waitcnt lgkmcnt(0)
	s_waitcnt_vscnt null, 0x0
	s_barrier
	buffer_gl0_inv
	s_and_saveexec_b32 s3, s1
	s_cbranch_execz .LBB91_258
; %bb.249:
	s_and_not1_b32 vcc_lo, exec_lo, s2
	s_cbranch_vccnz .LBB91_251
; %bb.250:
	scratch_load_b64 v[57:58], v61, off
	ds_load_b64 v[63:64], v60
	s_waitcnt vmcnt(0) lgkmcnt(0)
	v_mul_f64 v[57:58], v[57:58], v[63:64]
	s_cbranch_execz .LBB91_252
	s_branch .LBB91_253
.LBB91_251:
                                        ; implicit-def: $vgpr57_vgpr58
.LBB91_252:
	ds_load_b64 v[57:58], v60
.LBB91_253:
	s_and_saveexec_b32 s4, s0
	s_cbranch_execz .LBB91_257
; %bb.254:
	v_add_nc_u32_e32 v63, -2, v0
	s_movk_i32 s5, 0xf0
	s_mov_b32 s0, 0
.LBB91_255:                             ; =>This Inner Loop Header: Depth=1
	scratch_load_b64 v[64:65], v62, off
	v_dual_mov_b32 v66, s5 :: v_dual_add_nc_u32 v63, -1, v63
	v_add_nc_u32_e32 v62, 8, v62
	s_add_i32 s5, s5, 8
	ds_load_b64 v[66:67], v66
	v_cmp_eq_u32_e32 vcc_lo, 0, v63
	s_or_b32 s0, vcc_lo, s0
	s_waitcnt vmcnt(0) lgkmcnt(0)
	v_fma_f64 v[57:58], v[64:65], v[66:67], v[57:58]
	s_and_not1_b32 exec_lo, exec_lo, s0
	s_cbranch_execnz .LBB91_255
; %bb.256:
	s_or_b32 exec_lo, exec_lo, s0
.LBB91_257:
	s_delay_alu instid0(SALU_CYCLE_1)
	s_or_b32 exec_lo, exec_lo, s4
	v_mov_b32_e32 v62, 0
	ds_load_b64 v[62:63], v62 offset:8
	s_waitcnt lgkmcnt(0)
	v_mul_f64 v[57:58], v[57:58], v[62:63]
	scratch_store_b64 off, v[57:58], off offset:8
.LBB91_258:
	s_or_b32 exec_lo, exec_lo, s3
	scratch_load_b64 v[57:58], off, off
	s_mov_b32 s0, 0
	s_mov_b32 s3, exec_lo
	s_waitcnt vmcnt(0)
	ds_store_b64 v60, v[57:58]
	s_waitcnt lgkmcnt(0)
	s_waitcnt_vscnt null, 0x0
	s_barrier
	buffer_gl0_inv
	v_cmpx_ne_u32_e32 0, v0
	s_cbranch_execz .LBB91_268
; %bb.259:
	s_and_not1_b32 vcc_lo, exec_lo, s2
	s_cbranch_vccnz .LBB91_261
; %bb.260:
	scratch_load_b64 v[57:58], v61, off
	ds_load_b64 v[62:63], v60
	s_waitcnt vmcnt(0) lgkmcnt(0)
	v_mul_f64 v[57:58], v[57:58], v[62:63]
	s_cbranch_execz .LBB91_262
	s_branch .LBB91_263
.LBB91_261:
                                        ; implicit-def: $vgpr57_vgpr58
.LBB91_262:
	ds_load_b64 v[57:58], v60
.LBB91_263:
	s_and_saveexec_b32 s4, s1
	s_cbranch_execz .LBB91_267
; %bb.264:
	v_or_b32_e64 v62, 0, 8
	v_add_nc_u32_e32 v63, -1, v0
	s_movk_i32 s5, 0xe8
	s_mov_b32 s1, 0
.LBB91_265:                             ; =>This Inner Loop Header: Depth=1
	scratch_load_b64 v[64:65], v62, off
	v_dual_mov_b32 v66, s5 :: v_dual_add_nc_u32 v63, -1, v63
	v_add_nc_u32_e32 v62, 8, v62
	s_add_i32 s5, s5, 8
	ds_load_b64 v[66:67], v66
	v_cmp_eq_u32_e32 vcc_lo, 0, v63
	s_or_b32 s1, vcc_lo, s1
	s_waitcnt vmcnt(0) lgkmcnt(0)
	v_fma_f64 v[57:58], v[64:65], v[66:67], v[57:58]
	s_and_not1_b32 exec_lo, exec_lo, s1
	s_cbranch_execnz .LBB91_265
; %bb.266:
	s_or_b32 exec_lo, exec_lo, s1
.LBB91_267:
	s_delay_alu instid0(SALU_CYCLE_1)
	s_or_b32 exec_lo, exec_lo, s4
	v_mov_b32_e32 v62, 0
	ds_load_b64 v[62:63], v62
	s_waitcnt lgkmcnt(0)
	v_mul_f64 v[57:58], v[57:58], v[62:63]
	scratch_store_b64 off, v[57:58], off
.LBB91_268:
	s_or_b32 exec_lo, exec_lo, s3
.LBB91_269:
	s_delay_alu instid0(SALU_CYCLE_1)
	s_and_b32 vcc_lo, exec_lo, s0
	s_cbranch_vccz .LBB91_535
; %bb.270:
	scratch_load_b64 v[57:58], off, off offset:8
	v_cmp_eq_u32_e64 s0, 0, v0
	s_waitcnt vmcnt(0)
	ds_store_b64 v60, v[57:58]
	s_waitcnt lgkmcnt(0)
	s_waitcnt_vscnt null, 0x0
	s_barrier
	buffer_gl0_inv
	s_and_saveexec_b32 s1, s0
	s_cbranch_execz .LBB91_276
; %bb.271:
	s_and_b32 vcc_lo, exec_lo, s2
	s_cbranch_vccz .LBB91_273
; %bb.272:
	scratch_load_b64 v[57:58], v61, off
	ds_load_b64 v[62:63], v60
	s_waitcnt vmcnt(0) lgkmcnt(0)
	v_mul_f64 v[57:58], v[57:58], v[62:63]
	s_cbranch_execz .LBB91_274
	s_branch .LBB91_275
.LBB91_273:
                                        ; implicit-def: $vgpr57_vgpr58
.LBB91_274:
	ds_load_b64 v[57:58], v60
.LBB91_275:
	v_mov_b32_e32 v62, 0
	ds_load_b64 v[62:63], v62 offset:8
	s_waitcnt lgkmcnt(0)
	v_mul_f64 v[57:58], v[57:58], v[62:63]
	scratch_store_b64 off, v[57:58], off offset:8
.LBB91_276:
	s_or_b32 exec_lo, exec_lo, s1
	scratch_load_b64 v[57:58], off, off offset:16
	v_cndmask_b32_e64 v62, 0, 1, s2
	s_mov_b32 s1, exec_lo
	s_waitcnt vmcnt(0)
	ds_store_b64 v60, v[57:58]
	s_waitcnt lgkmcnt(0)
	s_waitcnt_vscnt null, 0x0
	s_barrier
	buffer_gl0_inv
	v_cmpx_gt_u32_e32 2, v0
	s_cbranch_execz .LBB91_284
; %bb.277:
	s_and_not1_b32 vcc_lo, exec_lo, s2
	s_cbranch_vccnz .LBB91_279
; %bb.278:
	scratch_load_b64 v[57:58], v61, off
	ds_load_b64 v[63:64], v60
	s_waitcnt vmcnt(0) lgkmcnt(0)
	v_mul_f64 v[57:58], v[57:58], v[63:64]
	s_cbranch_execz .LBB91_280
	s_branch .LBB91_281
.LBB91_279:
                                        ; implicit-def: $vgpr57_vgpr58
.LBB91_280:
	ds_load_b64 v[57:58], v60
.LBB91_281:
	s_and_saveexec_b32 s2, s0
	s_cbranch_execz .LBB91_283
; %bb.282:
	scratch_load_b64 v[63:64], v61, off offset:8
	ds_load_b64 v[65:66], v60 offset:8
	s_waitcnt vmcnt(0) lgkmcnt(0)
	v_fma_f64 v[57:58], v[63:64], v[65:66], v[57:58]
.LBB91_283:
	s_or_b32 exec_lo, exec_lo, s2
	v_mov_b32_e32 v63, 0
	ds_load_b64 v[63:64], v63 offset:16
	s_waitcnt lgkmcnt(0)
	v_mul_f64 v[57:58], v[57:58], v[63:64]
	scratch_store_b64 off, v[57:58], off offset:16
.LBB91_284:
	s_or_b32 exec_lo, exec_lo, s1
	scratch_load_b64 v[57:58], off, off offset:24
	s_mov_b32 s1, exec_lo
	s_waitcnt vmcnt(0)
	ds_store_b64 v60, v[57:58]
	s_waitcnt lgkmcnt(0)
	s_waitcnt_vscnt null, 0x0
	s_barrier
	buffer_gl0_inv
	v_cmpx_gt_u32_e32 3, v0
	s_cbranch_execz .LBB91_294
; %bb.285:
	v_cmp_ne_u32_e32 vcc_lo, 1, v62
	s_cbranch_vccnz .LBB91_287
; %bb.286:
	scratch_load_b64 v[57:58], v61, off
	ds_load_b64 v[63:64], v60
	s_waitcnt vmcnt(0) lgkmcnt(0)
	v_mul_f64 v[57:58], v[57:58], v[63:64]
	s_cbranch_execz .LBB91_288
	s_branch .LBB91_289
.LBB91_287:
                                        ; implicit-def: $vgpr57_vgpr58
.LBB91_288:
	ds_load_b64 v[57:58], v60
.LBB91_289:
	s_mov_b32 s2, exec_lo
	v_cmpx_ne_u32_e32 2, v0
	s_cbranch_execz .LBB91_293
; %bb.290:
	scratch_load_b64 v[63:64], v61, off offset:8
	ds_load_b64 v[65:66], v60 offset:8
	s_waitcnt vmcnt(0) lgkmcnt(0)
	v_fma_f64 v[57:58], v[63:64], v[65:66], v[57:58]
	s_and_saveexec_b32 s3, s0
	s_cbranch_execz .LBB91_292
; %bb.291:
	scratch_load_b64 v[63:64], off, off offset:16
	v_mov_b32_e32 v65, 0
	ds_load_b64 v[65:66], v65 offset:240
	s_waitcnt vmcnt(0) lgkmcnt(0)
	v_fma_f64 v[57:58], v[63:64], v[65:66], v[57:58]
.LBB91_292:
	s_or_b32 exec_lo, exec_lo, s3
.LBB91_293:
	s_delay_alu instid0(SALU_CYCLE_1)
	s_or_b32 exec_lo, exec_lo, s2
	v_mov_b32_e32 v63, 0
	ds_load_b64 v[63:64], v63 offset:24
	s_waitcnt lgkmcnt(0)
	v_mul_f64 v[57:58], v[57:58], v[63:64]
	scratch_store_b64 off, v[57:58], off offset:24
.LBB91_294:
	s_or_b32 exec_lo, exec_lo, s1
	scratch_load_b64 v[57:58], off, off offset:32
	s_mov_b32 s0, exec_lo
	s_waitcnt vmcnt(0)
	ds_store_b64 v60, v[57:58]
	s_waitcnt lgkmcnt(0)
	s_waitcnt_vscnt null, 0x0
	s_barrier
	buffer_gl0_inv
	v_cmpx_gt_u32_e32 4, v0
	s_cbranch_execz .LBB91_304
; %bb.295:
	v_cmp_ne_u32_e32 vcc_lo, 1, v62
	s_cbranch_vccnz .LBB91_297
; %bb.296:
	scratch_load_b64 v[57:58], v61, off
	ds_load_b64 v[63:64], v60
	s_waitcnt vmcnt(0) lgkmcnt(0)
	v_mul_f64 v[57:58], v[57:58], v[63:64]
	s_cbranch_execz .LBB91_298
	s_branch .LBB91_299
.LBB91_297:
                                        ; implicit-def: $vgpr57_vgpr58
.LBB91_298:
	ds_load_b64 v[57:58], v60
.LBB91_299:
	s_mov_b32 s1, exec_lo
	v_cmpx_ne_u32_e32 3, v0
	s_cbranch_execz .LBB91_303
; %bb.300:
	v_add_nc_u32_e32 v63, 0xe8, v59
	v_add3_u32 v64, 0, v59, 8
	v_mov_b32_e32 v65, v0
	s_mov_b32 s2, 0
.LBB91_301:                             ; =>This Inner Loop Header: Depth=1
	scratch_load_b64 v[66:67], v64, off
	ds_load_b64 v[68:69], v63
	v_add_nc_u32_e32 v65, 1, v65
	v_add_nc_u32_e32 v63, 8, v63
	v_add_nc_u32_e32 v64, 8, v64
	s_delay_alu instid0(VALU_DEP_3)
	v_cmp_lt_u32_e32 vcc_lo, 2, v65
	s_or_b32 s2, vcc_lo, s2
	s_waitcnt vmcnt(0) lgkmcnt(0)
	v_fma_f64 v[57:58], v[66:67], v[68:69], v[57:58]
	s_and_not1_b32 exec_lo, exec_lo, s2
	s_cbranch_execnz .LBB91_301
; %bb.302:
	s_or_b32 exec_lo, exec_lo, s2
.LBB91_303:
	s_delay_alu instid0(SALU_CYCLE_1)
	s_or_b32 exec_lo, exec_lo, s1
	v_mov_b32_e32 v63, 0
	ds_load_b64 v[63:64], v63 offset:32
	s_waitcnt lgkmcnt(0)
	v_mul_f64 v[57:58], v[57:58], v[63:64]
	scratch_store_b64 off, v[57:58], off offset:32
.LBB91_304:
	s_or_b32 exec_lo, exec_lo, s0
	scratch_load_b64 v[57:58], off, off offset:40
	s_mov_b32 s0, exec_lo
	s_waitcnt vmcnt(0)
	ds_store_b64 v60, v[57:58]
	s_waitcnt lgkmcnt(0)
	s_waitcnt_vscnt null, 0x0
	s_barrier
	buffer_gl0_inv
	v_cmpx_gt_u32_e32 5, v0
	s_cbranch_execz .LBB91_314
; %bb.305:
	v_cmp_ne_u32_e32 vcc_lo, 1, v62
	s_cbranch_vccnz .LBB91_307
; %bb.306:
	scratch_load_b64 v[57:58], v61, off
	ds_load_b64 v[63:64], v60
	s_waitcnt vmcnt(0) lgkmcnt(0)
	v_mul_f64 v[57:58], v[57:58], v[63:64]
	s_cbranch_execz .LBB91_308
	s_branch .LBB91_309
.LBB91_307:
                                        ; implicit-def: $vgpr57_vgpr58
.LBB91_308:
	ds_load_b64 v[57:58], v60
.LBB91_309:
	s_mov_b32 s1, exec_lo
	v_cmpx_ne_u32_e32 4, v0
	s_cbranch_execz .LBB91_313
; %bb.310:
	v_add_nc_u32_e32 v63, 0xe8, v59
	v_add3_u32 v64, 0, v59, 8
	v_mov_b32_e32 v65, v0
	s_mov_b32 s2, 0
.LBB91_311:                             ; =>This Inner Loop Header: Depth=1
	scratch_load_b64 v[66:67], v64, off
	ds_load_b64 v[68:69], v63
	v_add_nc_u32_e32 v65, 1, v65
	v_add_nc_u32_e32 v63, 8, v63
	v_add_nc_u32_e32 v64, 8, v64
	s_delay_alu instid0(VALU_DEP_3)
	v_cmp_lt_u32_e32 vcc_lo, 3, v65
	s_or_b32 s2, vcc_lo, s2
	s_waitcnt vmcnt(0) lgkmcnt(0)
	v_fma_f64 v[57:58], v[66:67], v[68:69], v[57:58]
	s_and_not1_b32 exec_lo, exec_lo, s2
	s_cbranch_execnz .LBB91_311
; %bb.312:
	s_or_b32 exec_lo, exec_lo, s2
.LBB91_313:
	s_delay_alu instid0(SALU_CYCLE_1)
	s_or_b32 exec_lo, exec_lo, s1
	v_mov_b32_e32 v63, 0
	ds_load_b64 v[63:64], v63 offset:40
	s_waitcnt lgkmcnt(0)
	v_mul_f64 v[57:58], v[57:58], v[63:64]
	scratch_store_b64 off, v[57:58], off offset:40
.LBB91_314:
	;; [unrolled: 58-line block ×22, first 2 shown]
	s_or_b32 exec_lo, exec_lo, s0
	scratch_load_b64 v[57:58], off, off offset:208
	v_cmp_gt_u32_e64 s0, 26, v0
	s_waitcnt vmcnt(0)
	ds_store_b64 v60, v[57:58]
	s_waitcnt lgkmcnt(0)
	s_waitcnt_vscnt null, 0x0
	s_barrier
	buffer_gl0_inv
	s_and_saveexec_b32 s1, s0
	s_cbranch_execz .LBB91_524
; %bb.515:
	v_cmp_ne_u32_e32 vcc_lo, 1, v62
	s_cbranch_vccnz .LBB91_517
; %bb.516:
	scratch_load_b64 v[57:58], v61, off
	ds_load_b64 v[63:64], v60
	s_waitcnt vmcnt(0) lgkmcnt(0)
	v_mul_f64 v[57:58], v[57:58], v[63:64]
	s_cbranch_execz .LBB91_518
	s_branch .LBB91_519
.LBB91_517:
                                        ; implicit-def: $vgpr57_vgpr58
.LBB91_518:
	ds_load_b64 v[57:58], v60
.LBB91_519:
	s_mov_b32 s2, exec_lo
	v_cmpx_ne_u32_e32 25, v0
	s_cbranch_execz .LBB91_523
; %bb.520:
	v_add_nc_u32_e32 v63, 0xe8, v59
	v_add3_u32 v64, 0, v59, 8
	v_mov_b32_e32 v65, v0
	s_mov_b32 s3, 0
.LBB91_521:                             ; =>This Inner Loop Header: Depth=1
	scratch_load_b64 v[66:67], v64, off
	ds_load_b64 v[68:69], v63
	v_add_nc_u32_e32 v65, 1, v65
	v_add_nc_u32_e32 v63, 8, v63
	;; [unrolled: 1-line block ×3, first 2 shown]
	s_delay_alu instid0(VALU_DEP_3)
	v_cmp_lt_u32_e32 vcc_lo, 24, v65
	s_or_b32 s3, vcc_lo, s3
	s_waitcnt vmcnt(0) lgkmcnt(0)
	v_fma_f64 v[57:58], v[66:67], v[68:69], v[57:58]
	s_and_not1_b32 exec_lo, exec_lo, s3
	s_cbranch_execnz .LBB91_521
; %bb.522:
	s_or_b32 exec_lo, exec_lo, s3
.LBB91_523:
	s_delay_alu instid0(SALU_CYCLE_1)
	s_or_b32 exec_lo, exec_lo, s2
	v_mov_b32_e32 v63, 0
	ds_load_b64 v[63:64], v63 offset:208
	s_waitcnt lgkmcnt(0)
	v_mul_f64 v[57:58], v[57:58], v[63:64]
	scratch_store_b64 off, v[57:58], off offset:208
.LBB91_524:
	s_or_b32 exec_lo, exec_lo, s1
	scratch_load_b64 v[57:58], off, off offset:216
	s_mov_b32 s1, exec_lo
	s_waitcnt vmcnt(0)
	ds_store_b64 v60, v[57:58]
	s_waitcnt lgkmcnt(0)
	s_waitcnt_vscnt null, 0x0
	s_barrier
	buffer_gl0_inv
	v_cmpx_ne_u32_e32 27, v0
	s_cbranch_execz .LBB91_534
; %bb.525:
	v_cmp_ne_u32_e32 vcc_lo, 1, v62
	s_cbranch_vccnz .LBB91_527
; %bb.526:
	scratch_load_b64 v[57:58], v61, off
	ds_load_b64 v[61:62], v60
	s_waitcnt vmcnt(0) lgkmcnt(0)
	v_mul_f64 v[57:58], v[57:58], v[61:62]
	s_cbranch_execz .LBB91_528
	s_branch .LBB91_529
.LBB91_527:
                                        ; implicit-def: $vgpr57_vgpr58
.LBB91_528:
	ds_load_b64 v[57:58], v60
.LBB91_529:
	s_and_saveexec_b32 s2, s0
	s_cbranch_execz .LBB91_533
; %bb.530:
	v_add_nc_u32_e32 v60, 0xe8, v59
	v_add3_u32 v59, 0, v59, 8
	s_mov_b32 s0, 0
.LBB91_531:                             ; =>This Inner Loop Header: Depth=1
	scratch_load_b64 v[61:62], v59, off
	ds_load_b64 v[63:64], v60
	v_add_nc_u32_e32 v0, 1, v0
	v_add_nc_u32_e32 v60, 8, v60
	v_add_nc_u32_e32 v59, 8, v59
	s_delay_alu instid0(VALU_DEP_3)
	v_cmp_lt_u32_e32 vcc_lo, 25, v0
	s_or_b32 s0, vcc_lo, s0
	s_waitcnt vmcnt(0) lgkmcnt(0)
	v_fma_f64 v[57:58], v[61:62], v[63:64], v[57:58]
	s_and_not1_b32 exec_lo, exec_lo, s0
	s_cbranch_execnz .LBB91_531
; %bb.532:
	s_or_b32 exec_lo, exec_lo, s0
.LBB91_533:
	s_delay_alu instid0(SALU_CYCLE_1)
	s_or_b32 exec_lo, exec_lo, s2
	v_mov_b32_e32 v0, 0
	ds_load_b64 v[59:60], v0 offset:216
	s_waitcnt lgkmcnt(0)
	v_mul_f64 v[57:58], v[57:58], v[59:60]
	scratch_store_b64 off, v[57:58], off offset:216
.LBB91_534:
	s_or_b32 exec_lo, exec_lo, s1
.LBB91_535:
	s_clause 0x9
	scratch_load_b128 v[57:60], off, off
	scratch_load_b128 v[61:64], off, off offset:16
	scratch_load_b128 v[65:68], off, off offset:32
	scratch_load_b128 v[69:72], off, off offset:48
	scratch_load_b128 v[73:76], off, off offset:64
	scratch_load_b128 v[77:80], off, off offset:80
	scratch_load_b128 v[81:84], off, off offset:96
	scratch_load_b128 v[85:88], off, off offset:112
	scratch_load_b128 v[89:92], off, off offset:128
	scratch_load_b128 v[93:96], off, off offset:160
	s_waitcnt vmcnt(9)
	s_clause 0x1
	global_store_b64 v[15:16], v[57:58], off
	global_store_b64 v[11:12], v[59:60], off
	scratch_load_b128 v[57:60], off, off offset:144
	s_waitcnt vmcnt(9)
	s_clause 0x1
	global_store_b64 v[3:4], v[61:62], off
	global_store_b64 v[1:2], v[63:64], off
	scratch_load_b128 v[0:3], off, off offset:176
	s_waitcnt vmcnt(9)
	global_store_b64 v[13:14], v[65:66], off
	s_clause 0x1
	scratch_load_b128 v[11:14], off, off offset:192
	scratch_load_b128 v[61:64], off, off offset:208
	global_store_b64 v[9:10], v[67:68], off
	s_waitcnt vmcnt(10)
	s_clause 0x1
	global_store_b64 v[5:6], v[69:70], off
	global_store_b64 v[7:8], v[71:72], off
	s_waitcnt vmcnt(9)
	s_clause 0x1
	global_store_b64 v[17:18], v[73:74], off
	;; [unrolled: 4-line block ×7, first 2 shown]
	global_store_b64 v[41:42], v[59:60], off
	global_store_b64 v[43:44], v[93:94], off
	;; [unrolled: 1-line block ×3, first 2 shown]
	s_waitcnt vmcnt(2)
	s_clause 0x1
	global_store_b64 v[47:48], v[0:1], off
	global_store_b64 v[51:52], v[2:3], off
	s_waitcnt vmcnt(1)
	s_clause 0x1
	global_store_b64 v[53:54], v[11:12], off
	global_store_b64 v[55:56], v[13:14], off
	s_waitcnt vmcnt(0)
	s_clause 0x1
	global_store_b64 v[49:50], v[61:62], off
	global_store_b64 v[27:28], v[63:64], off
.LBB91_536:
	s_endpgm
	.section	.rodata,"a",@progbits
	.p2align	6, 0x0
	.amdhsa_kernel _ZN9rocsolver6v33100L18trti2_kernel_smallILi28EdPKPdEEv13rocblas_fill_17rocblas_diagonal_T1_iil
		.amdhsa_group_segment_fixed_size 448
		.amdhsa_private_segment_fixed_size 240
		.amdhsa_kernarg_size 32
		.amdhsa_user_sgpr_count 15
		.amdhsa_user_sgpr_dispatch_ptr 0
		.amdhsa_user_sgpr_queue_ptr 0
		.amdhsa_user_sgpr_kernarg_segment_ptr 1
		.amdhsa_user_sgpr_dispatch_id 0
		.amdhsa_user_sgpr_private_segment_size 0
		.amdhsa_wavefront_size32 1
		.amdhsa_uses_dynamic_stack 0
		.amdhsa_enable_private_segment 1
		.amdhsa_system_sgpr_workgroup_id_x 1
		.amdhsa_system_sgpr_workgroup_id_y 0
		.amdhsa_system_sgpr_workgroup_id_z 0
		.amdhsa_system_sgpr_workgroup_info 0
		.amdhsa_system_vgpr_workitem_id 0
		.amdhsa_next_free_vgpr 98
		.amdhsa_next_free_sgpr 16
		.amdhsa_reserve_vcc 1
		.amdhsa_float_round_mode_32 0
		.amdhsa_float_round_mode_16_64 0
		.amdhsa_float_denorm_mode_32 3
		.amdhsa_float_denorm_mode_16_64 3
		.amdhsa_dx10_clamp 1
		.amdhsa_ieee_mode 1
		.amdhsa_fp16_overflow 0
		.amdhsa_workgroup_processor_mode 1
		.amdhsa_memory_ordered 1
		.amdhsa_forward_progress 0
		.amdhsa_shared_vgpr_count 0
		.amdhsa_exception_fp_ieee_invalid_op 0
		.amdhsa_exception_fp_denorm_src 0
		.amdhsa_exception_fp_ieee_div_zero 0
		.amdhsa_exception_fp_ieee_overflow 0
		.amdhsa_exception_fp_ieee_underflow 0
		.amdhsa_exception_fp_ieee_inexact 0
		.amdhsa_exception_int_div_zero 0
	.end_amdhsa_kernel
	.section	.text._ZN9rocsolver6v33100L18trti2_kernel_smallILi28EdPKPdEEv13rocblas_fill_17rocblas_diagonal_T1_iil,"axG",@progbits,_ZN9rocsolver6v33100L18trti2_kernel_smallILi28EdPKPdEEv13rocblas_fill_17rocblas_diagonal_T1_iil,comdat
.Lfunc_end91:
	.size	_ZN9rocsolver6v33100L18trti2_kernel_smallILi28EdPKPdEEv13rocblas_fill_17rocblas_diagonal_T1_iil, .Lfunc_end91-_ZN9rocsolver6v33100L18trti2_kernel_smallILi28EdPKPdEEv13rocblas_fill_17rocblas_diagonal_T1_iil
                                        ; -- End function
	.section	.AMDGPU.csdata,"",@progbits
; Kernel info:
; codeLenInByte = 15064
; NumSgprs: 18
; NumVgprs: 98
; ScratchSize: 240
; MemoryBound: 0
; FloatMode: 240
; IeeeMode: 1
; LDSByteSize: 448 bytes/workgroup (compile time only)
; SGPRBlocks: 2
; VGPRBlocks: 12
; NumSGPRsForWavesPerEU: 18
; NumVGPRsForWavesPerEU: 98
; Occupancy: 12
; WaveLimiterHint : 1
; COMPUTE_PGM_RSRC2:SCRATCH_EN: 1
; COMPUTE_PGM_RSRC2:USER_SGPR: 15
; COMPUTE_PGM_RSRC2:TRAP_HANDLER: 0
; COMPUTE_PGM_RSRC2:TGID_X_EN: 1
; COMPUTE_PGM_RSRC2:TGID_Y_EN: 0
; COMPUTE_PGM_RSRC2:TGID_Z_EN: 0
; COMPUTE_PGM_RSRC2:TIDIG_COMP_CNT: 0
	.section	.text._ZN9rocsolver6v33100L18trti2_kernel_smallILi29EdPKPdEEv13rocblas_fill_17rocblas_diagonal_T1_iil,"axG",@progbits,_ZN9rocsolver6v33100L18trti2_kernel_smallILi29EdPKPdEEv13rocblas_fill_17rocblas_diagonal_T1_iil,comdat
	.globl	_ZN9rocsolver6v33100L18trti2_kernel_smallILi29EdPKPdEEv13rocblas_fill_17rocblas_diagonal_T1_iil ; -- Begin function _ZN9rocsolver6v33100L18trti2_kernel_smallILi29EdPKPdEEv13rocblas_fill_17rocblas_diagonal_T1_iil
	.p2align	8
	.type	_ZN9rocsolver6v33100L18trti2_kernel_smallILi29EdPKPdEEv13rocblas_fill_17rocblas_diagonal_T1_iil,@function
_ZN9rocsolver6v33100L18trti2_kernel_smallILi29EdPKPdEEv13rocblas_fill_17rocblas_diagonal_T1_iil: ; @_ZN9rocsolver6v33100L18trti2_kernel_smallILi29EdPKPdEEv13rocblas_fill_17rocblas_diagonal_T1_iil
; %bb.0:
	s_mov_b32 s2, exec_lo
	v_cmpx_gt_u32_e32 29, v0
	s_cbranch_execz .LBB92_556
; %bb.1:
	s_clause 0x1
	s_load_b64 s[4:5], s[0:1], 0x10
	s_load_b128 s[0:3], s[0:1], 0x0
	s_mov_b32 s6, s15
	s_ashr_i32 s7, s15, 31
	v_mov_b32_e32 v59, 0
	s_lshl_b64 s[6:7], s[6:7], 3
	v_dual_mov_b32 v60, 0xbff00000 :: v_dual_lshlrev_b32 v61, 3, v0
	s_waitcnt lgkmcnt(0)
	s_ashr_i32 s9, s4, 31
	s_add_u32 s2, s2, s6
	s_addc_u32 s3, s3, s7
	v_add3_u32 v1, s5, s5, v0
	s_load_b64 s[2:3], s[2:3], 0x0
	s_mov_b32 s8, s4
	s_mov_b32 s6, s5
	s_lshl_b64 s[8:9], s[8:9], 3
	v_add_nc_u32_e32 v3, s5, v1
	v_ashrrev_i32_e32 v2, 31, v1
	s_delay_alu instid0(VALU_DEP_2) | instskip(SKIP_1) | instid1(VALU_DEP_3)
	v_add_nc_u32_e32 v5, s5, v3
	v_ashrrev_i32_e32 v4, 31, v3
	v_lshlrev_b64 v[1:2], 3, v[1:2]
	s_delay_alu instid0(VALU_DEP_3) | instskip(NEXT) | instid1(VALU_DEP_3)
	v_add_nc_u32_e32 v7, s5, v5
	v_lshlrev_b64 v[3:4], 3, v[3:4]
	v_ashrrev_i32_e32 v6, 31, v5
	s_delay_alu instid0(VALU_DEP_3)
	v_ashrrev_i32_e32 v8, 31, v7
	s_waitcnt lgkmcnt(0)
	s_add_u32 s2, s2, s8
	v_add_nc_u32_e32 v9, s5, v7
	s_addc_u32 s3, s3, s9
	v_add_co_u32 v11, vcc_lo, s2, v1
	v_add_co_u32 v19, s4, s2, v61
	s_ashr_i32 s7, s5, 31
	v_add_co_ci_u32_e32 v12, vcc_lo, s3, v2, vcc_lo
	v_lshlrev_b64 v[5:6], 3, v[5:6]
	v_lshlrev_b64 v[13:14], 3, v[7:8]
	v_add_co_ci_u32_e64 v20, null, s3, 0, s4
	v_add_co_u32 v7, vcc_lo, s2, v3
	v_add_nc_u32_e32 v17, s5, v9
	s_lshl_b64 s[6:7], s[6:7], 3
	v_add_co_ci_u32_e32 v8, vcc_lo, s3, v4, vcc_lo
	v_add_co_u32 v15, vcc_lo, v19, s6
	v_ashrrev_i32_e32 v10, 31, v9
	v_add_co_ci_u32_e32 v16, vcc_lo, s7, v20, vcc_lo
	v_add_co_u32 v1, vcc_lo, s2, v5
	v_ashrrev_i32_e32 v18, 31, v17
	v_add_nc_u32_e32 v5, s5, v17
	v_add_co_ci_u32_e32 v2, vcc_lo, s3, v6, vcc_lo
	v_lshlrev_b64 v[3:4], 3, v[9:10]
	v_add_co_u32 v9, vcc_lo, s2, v13
	v_add_co_ci_u32_e32 v10, vcc_lo, s3, v14, vcc_lo
	v_lshlrev_b64 v[13:14], 3, v[17:18]
	v_ashrrev_i32_e32 v6, 31, v5
	v_add_nc_u32_e32 v17, s5, v5
	v_add_co_u32 v3, vcc_lo, s2, v3
	v_add_co_ci_u32_e32 v4, vcc_lo, s3, v4, vcc_lo
	s_delay_alu instid0(VALU_DEP_4) | instskip(NEXT) | instid1(VALU_DEP_4)
	v_lshlrev_b64 v[21:22], 3, v[5:6]
	v_ashrrev_i32_e32 v18, 31, v17
	v_add_nc_u32_e32 v25, s5, v17
	v_add_co_u32 v5, vcc_lo, s2, v13
	v_add_co_ci_u32_e32 v6, vcc_lo, s3, v14, vcc_lo
	s_delay_alu instid0(VALU_DEP_4)
	v_lshlrev_b64 v[23:24], 3, v[17:18]
	v_add_co_u32 v13, vcc_lo, s2, v21
	v_add_nc_u32_e32 v21, s5, v25
	v_add_co_ci_u32_e32 v14, vcc_lo, s3, v22, vcc_lo
	v_ashrrev_i32_e32 v26, 31, v25
	v_add_co_u32 v17, vcc_lo, s2, v23
	s_delay_alu instid0(VALU_DEP_4) | instskip(SKIP_1) | instid1(VALU_DEP_4)
	v_add_nc_u32_e32 v23, s5, v21
	v_ashrrev_i32_e32 v22, 31, v21
	v_lshlrev_b64 v[25:26], 3, v[25:26]
	v_add_co_ci_u32_e32 v18, vcc_lo, s3, v24, vcc_lo
	s_delay_alu instid0(VALU_DEP_4) | instskip(NEXT) | instid1(VALU_DEP_4)
	v_add_nc_u32_e32 v29, s5, v23
	v_lshlrev_b64 v[27:28], 3, v[21:22]
	v_ashrrev_i32_e32 v24, 31, v23
	v_add_co_u32 v21, vcc_lo, s2, v25
	s_delay_alu instid0(VALU_DEP_4) | instskip(SKIP_1) | instid1(VALU_DEP_4)
	v_ashrrev_i32_e32 v30, 31, v29
	v_add_co_ci_u32_e32 v22, vcc_lo, s3, v26, vcc_lo
	v_lshlrev_b64 v[25:26], 3, v[23:24]
	v_add_co_u32 v23, vcc_lo, s2, v27
	v_add_co_ci_u32_e32 v24, vcc_lo, s3, v28, vcc_lo
	v_lshlrev_b64 v[27:28], 3, v[29:30]
	s_delay_alu instid0(VALU_DEP_4)
	v_add_co_u32 v25, vcc_lo, s2, v25
	v_add_co_ci_u32_e32 v26, vcc_lo, s3, v26, vcc_lo
	global_load_b64 v[62:63], v61, s[2:3]
	v_add_co_u32 v27, vcc_lo, s2, v27
	s_clause 0x3
	global_load_b64 v[64:65], v[15:16], off
	global_load_b64 v[66:67], v[11:12], off
	;; [unrolled: 1-line block ×4, first 2 shown]
	v_add_co_ci_u32_e32 v28, vcc_lo, s3, v28, vcc_lo
	s_clause 0x8
	global_load_b64 v[72:73], v[9:10], off
	global_load_b64 v[74:75], v[3:4], off
	;; [unrolled: 1-line block ×9, first 2 shown]
	v_add_nc_u32_e32 v29, s5, v29
	s_cmpk_lg_i32 s1, 0x84
	s_delay_alu instid0(VALU_DEP_1) | instskip(SKIP_1) | instid1(VALU_DEP_2)
	v_add_nc_u32_e32 v31, s5, v29
	v_ashrrev_i32_e32 v30, 31, v29
	v_add_nc_u32_e32 v33, s5, v31
	v_ashrrev_i32_e32 v32, 31, v31
	s_delay_alu instid0(VALU_DEP_3) | instskip(NEXT) | instid1(VALU_DEP_3)
	v_lshlrev_b64 v[29:30], 3, v[29:30]
	v_add_nc_u32_e32 v35, s5, v33
	v_ashrrev_i32_e32 v34, 31, v33
	s_delay_alu instid0(VALU_DEP_4) | instskip(NEXT) | instid1(VALU_DEP_4)
	v_lshlrev_b64 v[31:32], 3, v[31:32]
	v_add_co_u32 v29, vcc_lo, s2, v29
	s_delay_alu instid0(VALU_DEP_4) | instskip(SKIP_3) | instid1(VALU_DEP_4)
	v_add_nc_u32_e32 v37, s5, v35
	v_ashrrev_i32_e32 v36, 31, v35
	v_lshlrev_b64 v[33:34], 3, v[33:34]
	v_add_co_ci_u32_e32 v30, vcc_lo, s3, v30, vcc_lo
	v_add_nc_u32_e32 v39, s5, v37
	v_ashrrev_i32_e32 v38, 31, v37
	v_add_co_u32 v31, vcc_lo, s2, v31
	v_lshlrev_b64 v[35:36], 3, v[35:36]
	s_delay_alu instid0(VALU_DEP_4) | instskip(SKIP_3) | instid1(VALU_DEP_4)
	v_add_nc_u32_e32 v41, s5, v39
	v_ashrrev_i32_e32 v40, 31, v39
	v_add_co_ci_u32_e32 v32, vcc_lo, s3, v32, vcc_lo
	v_add_co_u32 v33, vcc_lo, s2, v33
	v_add_nc_u32_e32 v43, s5, v41
	v_lshlrev_b64 v[37:38], 3, v[37:38]
	v_ashrrev_i32_e32 v42, 31, v41
	v_add_co_ci_u32_e32 v34, vcc_lo, s3, v34, vcc_lo
	s_delay_alu instid0(VALU_DEP_4) | instskip(SKIP_3) | instid1(VALU_DEP_4)
	v_add_nc_u32_e32 v45, s5, v43
	v_add_co_u32 v35, vcc_lo, s2, v35
	v_lshlrev_b64 v[39:40], 3, v[39:40]
	v_ashrrev_i32_e32 v44, 31, v43
	v_add_nc_u32_e32 v47, s5, v45
	v_add_co_ci_u32_e32 v36, vcc_lo, s3, v36, vcc_lo
	v_add_co_u32 v37, vcc_lo, s2, v37
	s_delay_alu instid0(VALU_DEP_3) | instskip(SKIP_3) | instid1(VALU_DEP_4)
	v_add_nc_u32_e32 v49, s5, v47
	v_lshlrev_b64 v[41:42], 3, v[41:42]
	v_ashrrev_i32_e32 v46, 31, v45
	v_add_co_ci_u32_e32 v38, vcc_lo, s3, v38, vcc_lo
	v_add_nc_u32_e32 v51, s5, v49
	v_add_co_u32 v39, vcc_lo, s2, v39
	v_lshlrev_b64 v[43:44], 3, v[43:44]
	v_ashrrev_i32_e32 v48, 31, v47
	s_delay_alu instid0(VALU_DEP_4)
	v_add_nc_u32_e32 v53, s5, v51
	v_add_co_ci_u32_e32 v40, vcc_lo, s3, v40, vcc_lo
	v_add_co_u32 v41, vcc_lo, s2, v41
	v_lshlrev_b64 v[45:46], 3, v[45:46]
	v_ashrrev_i32_e32 v50, 31, v49
	v_add_co_ci_u32_e32 v42, vcc_lo, s3, v42, vcc_lo
	v_add_co_u32 v43, vcc_lo, s2, v43
	v_lshlrev_b64 v[47:48], 3, v[47:48]
	v_add_nc_u32_e32 v55, s5, v53
	v_ashrrev_i32_e32 v52, 31, v51
	v_add_co_ci_u32_e32 v44, vcc_lo, s3, v44, vcc_lo
	v_add_co_u32 v45, vcc_lo, s2, v45
	v_lshlrev_b64 v[49:50], 3, v[49:50]
	v_ashrrev_i32_e32 v54, 31, v53
	v_add_co_ci_u32_e32 v46, vcc_lo, s3, v46, vcc_lo
	v_add_nc_u32_e32 v57, s5, v55
	v_add_co_u32 v47, vcc_lo, s2, v47
	v_lshlrev_b64 v[51:52], 3, v[51:52]
	v_ashrrev_i32_e32 v56, 31, v55
	v_add_co_ci_u32_e32 v48, vcc_lo, s3, v48, vcc_lo
	v_add_co_u32 v49, vcc_lo, s2, v49
	v_lshlrev_b64 v[53:54], 3, v[53:54]
	v_ashrrev_i32_e32 v58, 31, v57
	v_add_co_ci_u32_e32 v50, vcc_lo, s3, v50, vcc_lo
	v_add_co_u32 v51, vcc_lo, s2, v51
	v_lshlrev_b64 v[55:56], 3, v[55:56]
	v_add_co_ci_u32_e32 v52, vcc_lo, s3, v52, vcc_lo
	v_add_co_u32 v53, vcc_lo, s2, v53
	v_lshlrev_b64 v[57:58], 3, v[57:58]
	v_add_co_ci_u32_e32 v54, vcc_lo, s3, v54, vcc_lo
	v_add_co_u32 v55, vcc_lo, s2, v55
	v_add_co_ci_u32_e32 v56, vcc_lo, s3, v56, vcc_lo
	s_delay_alu instid0(VALU_DEP_4)
	v_add_co_u32 v57, vcc_lo, s2, v57
	v_add_co_ci_u32_e32 v58, vcc_lo, s3, v58, vcc_lo
	s_cselect_b32 s2, -1, 0
	s_cmpk_eq_i32 s1, 0x84
	s_waitcnt vmcnt(12)
	scratch_store_b128 off, v[62:65], off
	s_clause 0x2
	global_load_b64 v[62:63], v[29:30], off
	global_load_b64 v[64:65], v[31:32], off
	global_load_b64 v[90:91], v[33:34], off
	s_waitcnt vmcnt(13)
	scratch_store_b128 off, v[66:69], off offset:16
	s_waitcnt vmcnt(11)
	scratch_store_b128 off, v[70:73], off offset:32
	s_clause 0x3
	global_load_b64 v[92:93], v[35:36], off
	global_load_b64 v[66:67], v[37:38], off
	global_load_b64 v[68:69], v[39:40], off
	global_load_b64 v[70:71], v[41:42], off
	s_waitcnt vmcnt(13)
	scratch_store_b128 off, v[74:77], off offset:48
	s_waitcnt vmcnt(11)
	scratch_store_b128 off, v[78:81], off offset:64
	s_clause 0x3
	global_load_b64 v[72:73], v[43:44], off
	;; [unrolled: 9-line block ×3, first 2 shown]
	global_load_b64 v[82:83], v[53:54], off
	global_load_b64 v[84:85], v[55:56], off
	;; [unrolled: 1-line block ×3, first 2 shown]
	s_waitcnt vmcnt(13)
	scratch_store_b128 off, v[62:65], off offset:112
	s_waitcnt vmcnt(11)
	scratch_store_b128 off, v[90:93], off offset:128
	;; [unrolled: 2-line block ×7, first 2 shown]
	s_waitcnt vmcnt(0)
	scratch_store_b64 off, v[86:87], off offset:224
	s_cbranch_scc1 .LBB92_3
; %bb.2:
	scratch_load_b64 v[59:60], v61, off
	s_waitcnt vmcnt(0)
	v_div_scale_f64 v[62:63], null, v[59:60], v[59:60], 1.0
	v_div_scale_f64 v[68:69], vcc_lo, 1.0, v[59:60], 1.0
	s_delay_alu instid0(VALU_DEP_2) | instskip(SKIP_2) | instid1(VALU_DEP_1)
	v_rcp_f64_e32 v[64:65], v[62:63]
	s_waitcnt_depctr 0xfff
	v_fma_f64 v[66:67], -v[62:63], v[64:65], 1.0
	v_fma_f64 v[64:65], v[64:65], v[66:67], v[64:65]
	s_delay_alu instid0(VALU_DEP_1) | instskip(NEXT) | instid1(VALU_DEP_1)
	v_fma_f64 v[66:67], -v[62:63], v[64:65], 1.0
	v_fma_f64 v[64:65], v[64:65], v[66:67], v[64:65]
	s_delay_alu instid0(VALU_DEP_1) | instskip(NEXT) | instid1(VALU_DEP_1)
	v_mul_f64 v[66:67], v[68:69], v[64:65]
	v_fma_f64 v[62:63], -v[62:63], v[66:67], v[68:69]
	s_delay_alu instid0(VALU_DEP_1) | instskip(NEXT) | instid1(VALU_DEP_1)
	v_div_fmas_f64 v[62:63], v[62:63], v[64:65], v[66:67]
	v_div_fixup_f64 v[59:60], v[62:63], v[59:60], 1.0
	scratch_store_b64 v61, v[59:60], off
	v_xor_b32_e32 v60, 0x80000000, v60
.LBB92_3:
	v_add_nc_u32_e32 v62, 0xf0, v61
	v_add_nc_u32_e32 v63, 0, v61
	s_cmpk_eq_i32 s0, 0x79
	s_mov_b32 s0, -1
	ds_store_b64 v61, v[59:60]
	s_cbranch_scc1 .LBB92_279
; %bb.4:
	scratch_load_b64 v[59:60], off, off offset:216
	v_cmp_eq_u32_e64 s1, 28, v0
	s_movk_i32 s0, 0x50
	s_movk_i32 s3, 0x60
	;; [unrolled: 1-line block ×9, first 2 shown]
	s_waitcnt vmcnt(0)
	ds_store_b64 v62, v[59:60]
	s_waitcnt lgkmcnt(0)
	s_waitcnt_vscnt null, 0x0
	s_barrier
	buffer_gl0_inv
	s_and_saveexec_b32 s11, s1
	s_cbranch_execz .LBB92_10
; %bb.5:
	s_and_b32 vcc_lo, exec_lo, s2
	s_cbranch_vccz .LBB92_7
; %bb.6:
	scratch_load_b64 v[59:60], v63, off
	ds_load_b64 v[64:65], v62
	s_waitcnt vmcnt(0) lgkmcnt(0)
	v_mul_f64 v[59:60], v[59:60], v[64:65]
	s_cbranch_execz .LBB92_8
	s_branch .LBB92_9
.LBB92_7:
                                        ; implicit-def: $vgpr59_vgpr60
.LBB92_8:
	ds_load_b64 v[59:60], v62
.LBB92_9:
	v_mov_b32_e32 v64, 0
	ds_load_b64 v[64:65], v64 offset:216
	s_waitcnt lgkmcnt(0)
	v_mul_f64 v[59:60], v[59:60], v[64:65]
	scratch_store_b64 off, v[59:60], off offset:216
.LBB92_10:
	s_or_b32 exec_lo, exec_lo, s11
	scratch_load_b64 v[59:60], off, off offset:208
	v_add_nc_u32_e64 v64, 0, 16
	v_add_nc_u32_e64 v65, 0, 32
	;; [unrolled: 1-line block ×13, first 2 shown]
	v_cmp_lt_u32_e64 s0, 26, v0
	s_waitcnt vmcnt(0)
	ds_store_b64 v62, v[59:60]
	s_waitcnt lgkmcnt(0)
	s_waitcnt_vscnt null, 0x0
	s_barrier
	buffer_gl0_inv
	s_and_saveexec_b32 s3, s0
	s_cbranch_execz .LBB92_18
; %bb.11:
	s_and_not1_b32 vcc_lo, exec_lo, s2
	s_cbranch_vccnz .LBB92_13
; %bb.12:
	scratch_load_b64 v[59:60], v63, off
	ds_load_b64 v[77:78], v62
	s_waitcnt vmcnt(0) lgkmcnt(0)
	v_mul_f64 v[59:60], v[59:60], v[77:78]
	s_cbranch_execz .LBB92_14
	s_branch .LBB92_15
.LBB92_13:
                                        ; implicit-def: $vgpr59_vgpr60
.LBB92_14:
	ds_load_b64 v[59:60], v62
.LBB92_15:
	s_and_saveexec_b32 s4, s1
	s_cbranch_execz .LBB92_17
; %bb.16:
	scratch_load_b64 v[77:78], off, off offset:216
	v_mov_b32_e32 v79, 0
	ds_load_b64 v[79:80], v79 offset:456
	s_waitcnt vmcnt(0) lgkmcnt(0)
	v_fma_f64 v[59:60], v[77:78], v[79:80], v[59:60]
.LBB92_17:
	s_or_b32 exec_lo, exec_lo, s4
	v_mov_b32_e32 v77, 0
	ds_load_b64 v[77:78], v77 offset:208
	s_waitcnt lgkmcnt(0)
	v_mul_f64 v[59:60], v[59:60], v[77:78]
	scratch_store_b64 off, v[59:60], off offset:208
.LBB92_18:
	s_or_b32 exec_lo, exec_lo, s3
	scratch_load_b64 v[59:60], off, off offset:200
	v_cmp_lt_u32_e64 s1, 25, v0
	s_waitcnt vmcnt(0)
	ds_store_b64 v62, v[59:60]
	s_waitcnt lgkmcnt(0)
	s_waitcnt_vscnt null, 0x0
	s_barrier
	buffer_gl0_inv
	s_and_saveexec_b32 s3, s1
	s_cbranch_execz .LBB92_28
; %bb.19:
	s_and_not1_b32 vcc_lo, exec_lo, s2
	s_cbranch_vccnz .LBB92_21
; %bb.20:
	scratch_load_b64 v[59:60], v63, off
	ds_load_b64 v[77:78], v62
	s_waitcnt vmcnt(0) lgkmcnt(0)
	v_mul_f64 v[59:60], v[59:60], v[77:78]
	s_cbranch_execz .LBB92_22
	s_branch .LBB92_23
.LBB92_21:
                                        ; implicit-def: $vgpr59_vgpr60
.LBB92_22:
	ds_load_b64 v[59:60], v62
.LBB92_23:
	s_and_saveexec_b32 s4, s0
	s_cbranch_execz .LBB92_27
; %bb.24:
	v_subrev_nc_u32_e32 v77, 26, v0
	s_movk_i32 s5, 0x1c0
	s_mov_b32 s0, 0
.LBB92_25:                              ; =>This Inner Loop Header: Depth=1
	scratch_load_b64 v[78:79], v76, off
	v_dual_mov_b32 v80, s5 :: v_dual_add_nc_u32 v77, -1, v77
	v_add_nc_u32_e32 v76, 8, v76
	s_add_i32 s5, s5, 8
	ds_load_b64 v[80:81], v80
	v_cmp_eq_u32_e32 vcc_lo, 0, v77
	s_or_b32 s0, vcc_lo, s0
	s_waitcnt vmcnt(0) lgkmcnt(0)
	v_fma_f64 v[59:60], v[78:79], v[80:81], v[59:60]
	s_and_not1_b32 exec_lo, exec_lo, s0
	s_cbranch_execnz .LBB92_25
; %bb.26:
	s_or_b32 exec_lo, exec_lo, s0
.LBB92_27:
	s_delay_alu instid0(SALU_CYCLE_1)
	s_or_b32 exec_lo, exec_lo, s4
	v_mov_b32_e32 v76, 0
	ds_load_b64 v[76:77], v76 offset:200
	s_waitcnt lgkmcnt(0)
	v_mul_f64 v[59:60], v[59:60], v[76:77]
	scratch_store_b64 off, v[59:60], off offset:200
.LBB92_28:
	s_or_b32 exec_lo, exec_lo, s3
	scratch_load_b64 v[59:60], off, off offset:192
	v_cmp_lt_u32_e64 s0, 24, v0
	s_waitcnt vmcnt(0)
	ds_store_b64 v62, v[59:60]
	s_waitcnt lgkmcnt(0)
	s_waitcnt_vscnt null, 0x0
	s_barrier
	buffer_gl0_inv
	s_and_saveexec_b32 s3, s0
	s_cbranch_execz .LBB92_38
; %bb.29:
	s_and_not1_b32 vcc_lo, exec_lo, s2
	s_cbranch_vccnz .LBB92_31
; %bb.30:
	scratch_load_b64 v[59:60], v63, off
	ds_load_b64 v[76:77], v62
	s_waitcnt vmcnt(0) lgkmcnt(0)
	v_mul_f64 v[59:60], v[59:60], v[76:77]
	s_cbranch_execz .LBB92_32
	s_branch .LBB92_33
.LBB92_31:
                                        ; implicit-def: $vgpr59_vgpr60
.LBB92_32:
	ds_load_b64 v[59:60], v62
.LBB92_33:
	s_and_saveexec_b32 s4, s1
	s_cbranch_execz .LBB92_37
; %bb.34:
	v_mov_b32_e32 v76, 0
	v_subrev_nc_u32_e32 v77, 25, v0
	s_movk_i32 s5, 0x1b8
	s_mov_b32 s1, 0
	s_delay_alu instid0(VALU_DEP_2)
	v_add_nc_u32_e32 v76, 0xc8, v76
.LBB92_35:                              ; =>This Inner Loop Header: Depth=1
	scratch_load_b64 v[78:79], v76, off
	v_dual_mov_b32 v80, s5 :: v_dual_add_nc_u32 v77, -1, v77
	v_add_nc_u32_e32 v76, 8, v76
	s_add_i32 s5, s5, 8
	ds_load_b64 v[80:81], v80
	v_cmp_eq_u32_e32 vcc_lo, 0, v77
	s_or_b32 s1, vcc_lo, s1
	s_waitcnt vmcnt(0) lgkmcnt(0)
	v_fma_f64 v[59:60], v[78:79], v[80:81], v[59:60]
	s_and_not1_b32 exec_lo, exec_lo, s1
	s_cbranch_execnz .LBB92_35
; %bb.36:
	s_or_b32 exec_lo, exec_lo, s1
.LBB92_37:
	s_delay_alu instid0(SALU_CYCLE_1)
	s_or_b32 exec_lo, exec_lo, s4
	v_mov_b32_e32 v76, 0
	ds_load_b64 v[76:77], v76 offset:192
	s_waitcnt lgkmcnt(0)
	v_mul_f64 v[59:60], v[59:60], v[76:77]
	scratch_store_b64 off, v[59:60], off offset:192
.LBB92_38:
	s_or_b32 exec_lo, exec_lo, s3
	scratch_load_b64 v[59:60], off, off offset:184
	v_cmp_lt_u32_e64 s1, 23, v0
	s_waitcnt vmcnt(0)
	ds_store_b64 v62, v[59:60]
	s_waitcnt lgkmcnt(0)
	s_waitcnt_vscnt null, 0x0
	s_barrier
	buffer_gl0_inv
	s_and_saveexec_b32 s3, s1
	s_cbranch_execz .LBB92_48
; %bb.39:
	s_and_not1_b32 vcc_lo, exec_lo, s2
	s_cbranch_vccnz .LBB92_41
; %bb.40:
	scratch_load_b64 v[59:60], v63, off
	ds_load_b64 v[76:77], v62
	s_waitcnt vmcnt(0) lgkmcnt(0)
	v_mul_f64 v[59:60], v[59:60], v[76:77]
	s_cbranch_execz .LBB92_42
	s_branch .LBB92_43
.LBB92_41:
                                        ; implicit-def: $vgpr59_vgpr60
.LBB92_42:
	ds_load_b64 v[59:60], v62
.LBB92_43:
	s_and_saveexec_b32 s4, s0
	s_cbranch_execz .LBB92_47
; %bb.44:
	v_subrev_nc_u32_e32 v76, 24, v0
	s_movk_i32 s5, 0x1b0
	s_mov_b32 s0, 0
.LBB92_45:                              ; =>This Inner Loop Header: Depth=1
	scratch_load_b64 v[77:78], v75, off
	v_dual_mov_b32 v79, s5 :: v_dual_add_nc_u32 v76, -1, v76
	v_add_nc_u32_e32 v75, 8, v75
	s_add_i32 s5, s5, 8
	ds_load_b64 v[79:80], v79
	v_cmp_eq_u32_e32 vcc_lo, 0, v76
	s_or_b32 s0, vcc_lo, s0
	s_waitcnt vmcnt(0) lgkmcnt(0)
	v_fma_f64 v[59:60], v[77:78], v[79:80], v[59:60]
	s_and_not1_b32 exec_lo, exec_lo, s0
	s_cbranch_execnz .LBB92_45
; %bb.46:
	s_or_b32 exec_lo, exec_lo, s0
.LBB92_47:
	s_delay_alu instid0(SALU_CYCLE_1)
	s_or_b32 exec_lo, exec_lo, s4
	v_mov_b32_e32 v75, 0
	ds_load_b64 v[75:76], v75 offset:184
	s_waitcnt lgkmcnt(0)
	v_mul_f64 v[59:60], v[59:60], v[75:76]
	scratch_store_b64 off, v[59:60], off offset:184
.LBB92_48:
	s_or_b32 exec_lo, exec_lo, s3
	scratch_load_b64 v[59:60], off, off offset:176
	v_cmp_lt_u32_e64 s0, 22, v0
	s_waitcnt vmcnt(0)
	ds_store_b64 v62, v[59:60]
	s_waitcnt lgkmcnt(0)
	s_waitcnt_vscnt null, 0x0
	s_barrier
	buffer_gl0_inv
	s_and_saveexec_b32 s3, s0
	s_cbranch_execz .LBB92_58
; %bb.49:
	s_and_not1_b32 vcc_lo, exec_lo, s2
	s_cbranch_vccnz .LBB92_51
; %bb.50:
	scratch_load_b64 v[59:60], v63, off
	ds_load_b64 v[75:76], v62
	s_waitcnt vmcnt(0) lgkmcnt(0)
	v_mul_f64 v[59:60], v[59:60], v[75:76]
	s_cbranch_execz .LBB92_52
	s_branch .LBB92_53
.LBB92_51:
                                        ; implicit-def: $vgpr59_vgpr60
.LBB92_52:
	ds_load_b64 v[59:60], v62
.LBB92_53:
	s_and_saveexec_b32 s4, s1
	s_cbranch_execz .LBB92_57
; %bb.54:
	v_mov_b32_e32 v75, 0
	v_subrev_nc_u32_e32 v76, 23, v0
	s_movk_i32 s5, 0x1a8
	s_mov_b32 s1, 0
	s_delay_alu instid0(VALU_DEP_2)
	v_add_nc_u32_e32 v75, 0xb8, v75
.LBB92_55:                              ; =>This Inner Loop Header: Depth=1
	scratch_load_b64 v[77:78], v75, off
	v_dual_mov_b32 v79, s5 :: v_dual_add_nc_u32 v76, -1, v76
	v_add_nc_u32_e32 v75, 8, v75
	s_add_i32 s5, s5, 8
	ds_load_b64 v[79:80], v79
	v_cmp_eq_u32_e32 vcc_lo, 0, v76
	s_or_b32 s1, vcc_lo, s1
	s_waitcnt vmcnt(0) lgkmcnt(0)
	v_fma_f64 v[59:60], v[77:78], v[79:80], v[59:60]
	s_and_not1_b32 exec_lo, exec_lo, s1
	s_cbranch_execnz .LBB92_55
; %bb.56:
	s_or_b32 exec_lo, exec_lo, s1
.LBB92_57:
	s_delay_alu instid0(SALU_CYCLE_1)
	s_or_b32 exec_lo, exec_lo, s4
	v_mov_b32_e32 v75, 0
	ds_load_b64 v[75:76], v75 offset:176
	s_waitcnt lgkmcnt(0)
	v_mul_f64 v[59:60], v[59:60], v[75:76]
	scratch_store_b64 off, v[59:60], off offset:176
.LBB92_58:
	s_or_b32 exec_lo, exec_lo, s3
	scratch_load_b64 v[59:60], off, off offset:168
	v_cmp_lt_u32_e64 s1, 21, v0
	s_waitcnt vmcnt(0)
	ds_store_b64 v62, v[59:60]
	s_waitcnt lgkmcnt(0)
	s_waitcnt_vscnt null, 0x0
	s_barrier
	buffer_gl0_inv
	s_and_saveexec_b32 s3, s1
	s_cbranch_execz .LBB92_68
; %bb.59:
	s_and_not1_b32 vcc_lo, exec_lo, s2
	s_cbranch_vccnz .LBB92_61
; %bb.60:
	scratch_load_b64 v[59:60], v63, off
	ds_load_b64 v[75:76], v62
	s_waitcnt vmcnt(0) lgkmcnt(0)
	v_mul_f64 v[59:60], v[59:60], v[75:76]
	s_cbranch_execz .LBB92_62
	s_branch .LBB92_63
.LBB92_61:
                                        ; implicit-def: $vgpr59_vgpr60
.LBB92_62:
	ds_load_b64 v[59:60], v62
.LBB92_63:
	s_and_saveexec_b32 s4, s0
	s_cbranch_execz .LBB92_67
; %bb.64:
	v_subrev_nc_u32_e32 v75, 22, v0
	s_movk_i32 s5, 0x1a0
	s_mov_b32 s0, 0
.LBB92_65:                              ; =>This Inner Loop Header: Depth=1
	scratch_load_b64 v[76:77], v74, off
	v_dual_mov_b32 v78, s5 :: v_dual_add_nc_u32 v75, -1, v75
	v_add_nc_u32_e32 v74, 8, v74
	s_add_i32 s5, s5, 8
	ds_load_b64 v[78:79], v78
	v_cmp_eq_u32_e32 vcc_lo, 0, v75
	s_or_b32 s0, vcc_lo, s0
	s_waitcnt vmcnt(0) lgkmcnt(0)
	v_fma_f64 v[59:60], v[76:77], v[78:79], v[59:60]
	s_and_not1_b32 exec_lo, exec_lo, s0
	s_cbranch_execnz .LBB92_65
; %bb.66:
	s_or_b32 exec_lo, exec_lo, s0
.LBB92_67:
	s_delay_alu instid0(SALU_CYCLE_1)
	s_or_b32 exec_lo, exec_lo, s4
	v_mov_b32_e32 v74, 0
	ds_load_b64 v[74:75], v74 offset:168
	s_waitcnt lgkmcnt(0)
	v_mul_f64 v[59:60], v[59:60], v[74:75]
	scratch_store_b64 off, v[59:60], off offset:168
.LBB92_68:
	s_or_b32 exec_lo, exec_lo, s3
	scratch_load_b64 v[59:60], off, off offset:160
	v_cmp_lt_u32_e64 s0, 20, v0
	s_waitcnt vmcnt(0)
	ds_store_b64 v62, v[59:60]
	s_waitcnt lgkmcnt(0)
	s_waitcnt_vscnt null, 0x0
	s_barrier
	buffer_gl0_inv
	s_and_saveexec_b32 s3, s0
	s_cbranch_execz .LBB92_78
; %bb.69:
	s_and_not1_b32 vcc_lo, exec_lo, s2
	s_cbranch_vccnz .LBB92_71
; %bb.70:
	scratch_load_b64 v[59:60], v63, off
	ds_load_b64 v[74:75], v62
	s_waitcnt vmcnt(0) lgkmcnt(0)
	v_mul_f64 v[59:60], v[59:60], v[74:75]
	s_cbranch_execz .LBB92_72
	s_branch .LBB92_73
.LBB92_71:
                                        ; implicit-def: $vgpr59_vgpr60
.LBB92_72:
	ds_load_b64 v[59:60], v62
.LBB92_73:
	s_and_saveexec_b32 s4, s1
	s_cbranch_execz .LBB92_77
; %bb.74:
	v_mov_b32_e32 v74, 0
	v_subrev_nc_u32_e32 v75, 21, v0
	s_movk_i32 s5, 0x198
	s_mov_b32 s1, 0
	s_delay_alu instid0(VALU_DEP_2)
	v_add_nc_u32_e32 v74, 0xa8, v74
.LBB92_75:                              ; =>This Inner Loop Header: Depth=1
	scratch_load_b64 v[76:77], v74, off
	v_dual_mov_b32 v78, s5 :: v_dual_add_nc_u32 v75, -1, v75
	v_add_nc_u32_e32 v74, 8, v74
	s_add_i32 s5, s5, 8
	ds_load_b64 v[78:79], v78
	v_cmp_eq_u32_e32 vcc_lo, 0, v75
	s_or_b32 s1, vcc_lo, s1
	s_waitcnt vmcnt(0) lgkmcnt(0)
	v_fma_f64 v[59:60], v[76:77], v[78:79], v[59:60]
	s_and_not1_b32 exec_lo, exec_lo, s1
	s_cbranch_execnz .LBB92_75
; %bb.76:
	s_or_b32 exec_lo, exec_lo, s1
.LBB92_77:
	s_delay_alu instid0(SALU_CYCLE_1)
	s_or_b32 exec_lo, exec_lo, s4
	v_mov_b32_e32 v74, 0
	ds_load_b64 v[74:75], v74 offset:160
	s_waitcnt lgkmcnt(0)
	v_mul_f64 v[59:60], v[59:60], v[74:75]
	scratch_store_b64 off, v[59:60], off offset:160
.LBB92_78:
	s_or_b32 exec_lo, exec_lo, s3
	scratch_load_b64 v[59:60], off, off offset:152
	v_cmp_lt_u32_e64 s1, 19, v0
	s_waitcnt vmcnt(0)
	ds_store_b64 v62, v[59:60]
	s_waitcnt lgkmcnt(0)
	s_waitcnt_vscnt null, 0x0
	s_barrier
	buffer_gl0_inv
	s_and_saveexec_b32 s3, s1
	s_cbranch_execz .LBB92_88
; %bb.79:
	s_and_not1_b32 vcc_lo, exec_lo, s2
	s_cbranch_vccnz .LBB92_81
; %bb.80:
	scratch_load_b64 v[59:60], v63, off
	ds_load_b64 v[74:75], v62
	s_waitcnt vmcnt(0) lgkmcnt(0)
	v_mul_f64 v[59:60], v[59:60], v[74:75]
	s_cbranch_execz .LBB92_82
	s_branch .LBB92_83
.LBB92_81:
                                        ; implicit-def: $vgpr59_vgpr60
.LBB92_82:
	ds_load_b64 v[59:60], v62
.LBB92_83:
	s_and_saveexec_b32 s4, s0
	s_cbranch_execz .LBB92_87
; %bb.84:
	v_subrev_nc_u32_e32 v74, 20, v0
	s_movk_i32 s5, 0x190
	s_mov_b32 s0, 0
.LBB92_85:                              ; =>This Inner Loop Header: Depth=1
	scratch_load_b64 v[75:76], v73, off
	v_dual_mov_b32 v77, s5 :: v_dual_add_nc_u32 v74, -1, v74
	v_add_nc_u32_e32 v73, 8, v73
	s_add_i32 s5, s5, 8
	ds_load_b64 v[77:78], v77
	v_cmp_eq_u32_e32 vcc_lo, 0, v74
	s_or_b32 s0, vcc_lo, s0
	s_waitcnt vmcnt(0) lgkmcnt(0)
	v_fma_f64 v[59:60], v[75:76], v[77:78], v[59:60]
	s_and_not1_b32 exec_lo, exec_lo, s0
	s_cbranch_execnz .LBB92_85
; %bb.86:
	s_or_b32 exec_lo, exec_lo, s0
.LBB92_87:
	s_delay_alu instid0(SALU_CYCLE_1)
	s_or_b32 exec_lo, exec_lo, s4
	v_mov_b32_e32 v73, 0
	ds_load_b64 v[73:74], v73 offset:152
	s_waitcnt lgkmcnt(0)
	v_mul_f64 v[59:60], v[59:60], v[73:74]
	scratch_store_b64 off, v[59:60], off offset:152
.LBB92_88:
	s_or_b32 exec_lo, exec_lo, s3
	scratch_load_b64 v[59:60], off, off offset:144
	v_cmp_lt_u32_e64 s0, 18, v0
	s_waitcnt vmcnt(0)
	ds_store_b64 v62, v[59:60]
	s_waitcnt lgkmcnt(0)
	s_waitcnt_vscnt null, 0x0
	s_barrier
	buffer_gl0_inv
	s_and_saveexec_b32 s3, s0
	s_cbranch_execz .LBB92_98
; %bb.89:
	s_and_not1_b32 vcc_lo, exec_lo, s2
	s_cbranch_vccnz .LBB92_91
; %bb.90:
	scratch_load_b64 v[59:60], v63, off
	ds_load_b64 v[73:74], v62
	s_waitcnt vmcnt(0) lgkmcnt(0)
	v_mul_f64 v[59:60], v[59:60], v[73:74]
	s_cbranch_execz .LBB92_92
	s_branch .LBB92_93
.LBB92_91:
                                        ; implicit-def: $vgpr59_vgpr60
.LBB92_92:
	ds_load_b64 v[59:60], v62
.LBB92_93:
	s_and_saveexec_b32 s4, s1
	s_cbranch_execz .LBB92_97
; %bb.94:
	v_mov_b32_e32 v73, 0
	v_subrev_nc_u32_e32 v74, 19, v0
	s_movk_i32 s5, 0x188
	s_mov_b32 s1, 0
	s_delay_alu instid0(VALU_DEP_2)
	v_add_nc_u32_e32 v73, 0x98, v73
.LBB92_95:                              ; =>This Inner Loop Header: Depth=1
	scratch_load_b64 v[75:76], v73, off
	v_dual_mov_b32 v77, s5 :: v_dual_add_nc_u32 v74, -1, v74
	v_add_nc_u32_e32 v73, 8, v73
	s_add_i32 s5, s5, 8
	ds_load_b64 v[77:78], v77
	v_cmp_eq_u32_e32 vcc_lo, 0, v74
	s_or_b32 s1, vcc_lo, s1
	s_waitcnt vmcnt(0) lgkmcnt(0)
	v_fma_f64 v[59:60], v[75:76], v[77:78], v[59:60]
	s_and_not1_b32 exec_lo, exec_lo, s1
	s_cbranch_execnz .LBB92_95
; %bb.96:
	s_or_b32 exec_lo, exec_lo, s1
.LBB92_97:
	s_delay_alu instid0(SALU_CYCLE_1)
	s_or_b32 exec_lo, exec_lo, s4
	v_mov_b32_e32 v73, 0
	ds_load_b64 v[73:74], v73 offset:144
	s_waitcnt lgkmcnt(0)
	v_mul_f64 v[59:60], v[59:60], v[73:74]
	scratch_store_b64 off, v[59:60], off offset:144
.LBB92_98:
	s_or_b32 exec_lo, exec_lo, s3
	scratch_load_b64 v[59:60], off, off offset:136
	v_cmp_lt_u32_e64 s1, 17, v0
	s_waitcnt vmcnt(0)
	ds_store_b64 v62, v[59:60]
	s_waitcnt lgkmcnt(0)
	s_waitcnt_vscnt null, 0x0
	s_barrier
	buffer_gl0_inv
	s_and_saveexec_b32 s3, s1
	s_cbranch_execz .LBB92_108
; %bb.99:
	s_and_not1_b32 vcc_lo, exec_lo, s2
	s_cbranch_vccnz .LBB92_101
; %bb.100:
	scratch_load_b64 v[59:60], v63, off
	ds_load_b64 v[73:74], v62
	s_waitcnt vmcnt(0) lgkmcnt(0)
	v_mul_f64 v[59:60], v[59:60], v[73:74]
	s_cbranch_execz .LBB92_102
	s_branch .LBB92_103
.LBB92_101:
                                        ; implicit-def: $vgpr59_vgpr60
.LBB92_102:
	ds_load_b64 v[59:60], v62
.LBB92_103:
	s_and_saveexec_b32 s4, s0
	s_cbranch_execz .LBB92_107
; %bb.104:
	v_subrev_nc_u32_e32 v73, 18, v0
	s_movk_i32 s5, 0x180
	s_mov_b32 s0, 0
.LBB92_105:                             ; =>This Inner Loop Header: Depth=1
	scratch_load_b64 v[74:75], v72, off
	v_dual_mov_b32 v76, s5 :: v_dual_add_nc_u32 v73, -1, v73
	v_add_nc_u32_e32 v72, 8, v72
	s_add_i32 s5, s5, 8
	ds_load_b64 v[76:77], v76
	v_cmp_eq_u32_e32 vcc_lo, 0, v73
	s_or_b32 s0, vcc_lo, s0
	s_waitcnt vmcnt(0) lgkmcnt(0)
	v_fma_f64 v[59:60], v[74:75], v[76:77], v[59:60]
	s_and_not1_b32 exec_lo, exec_lo, s0
	s_cbranch_execnz .LBB92_105
; %bb.106:
	s_or_b32 exec_lo, exec_lo, s0
.LBB92_107:
	s_delay_alu instid0(SALU_CYCLE_1)
	s_or_b32 exec_lo, exec_lo, s4
	v_mov_b32_e32 v72, 0
	ds_load_b64 v[72:73], v72 offset:136
	s_waitcnt lgkmcnt(0)
	v_mul_f64 v[59:60], v[59:60], v[72:73]
	scratch_store_b64 off, v[59:60], off offset:136
.LBB92_108:
	s_or_b32 exec_lo, exec_lo, s3
	scratch_load_b64 v[59:60], off, off offset:128
	v_cmp_lt_u32_e64 s0, 16, v0
	s_waitcnt vmcnt(0)
	ds_store_b64 v62, v[59:60]
	s_waitcnt lgkmcnt(0)
	s_waitcnt_vscnt null, 0x0
	s_barrier
	buffer_gl0_inv
	s_and_saveexec_b32 s3, s0
	s_cbranch_execz .LBB92_118
; %bb.109:
	s_and_not1_b32 vcc_lo, exec_lo, s2
	s_cbranch_vccnz .LBB92_111
; %bb.110:
	scratch_load_b64 v[59:60], v63, off
	ds_load_b64 v[72:73], v62
	s_waitcnt vmcnt(0) lgkmcnt(0)
	v_mul_f64 v[59:60], v[59:60], v[72:73]
	s_cbranch_execz .LBB92_112
	s_branch .LBB92_113
.LBB92_111:
                                        ; implicit-def: $vgpr59_vgpr60
.LBB92_112:
	ds_load_b64 v[59:60], v62
.LBB92_113:
	s_and_saveexec_b32 s4, s1
	s_cbranch_execz .LBB92_117
; %bb.114:
	v_mov_b32_e32 v72, 0
	v_subrev_nc_u32_e32 v73, 17, v0
	s_movk_i32 s5, 0x178
	s_mov_b32 s1, 0
	s_delay_alu instid0(VALU_DEP_2)
	v_add_nc_u32_e32 v72, 0x88, v72
.LBB92_115:                             ; =>This Inner Loop Header: Depth=1
	scratch_load_b64 v[74:75], v72, off
	v_dual_mov_b32 v76, s5 :: v_dual_add_nc_u32 v73, -1, v73
	v_add_nc_u32_e32 v72, 8, v72
	s_add_i32 s5, s5, 8
	ds_load_b64 v[76:77], v76
	v_cmp_eq_u32_e32 vcc_lo, 0, v73
	s_or_b32 s1, vcc_lo, s1
	s_waitcnt vmcnt(0) lgkmcnt(0)
	v_fma_f64 v[59:60], v[74:75], v[76:77], v[59:60]
	s_and_not1_b32 exec_lo, exec_lo, s1
	s_cbranch_execnz .LBB92_115
; %bb.116:
	s_or_b32 exec_lo, exec_lo, s1
.LBB92_117:
	s_delay_alu instid0(SALU_CYCLE_1)
	s_or_b32 exec_lo, exec_lo, s4
	v_mov_b32_e32 v72, 0
	ds_load_b64 v[72:73], v72 offset:128
	s_waitcnt lgkmcnt(0)
	v_mul_f64 v[59:60], v[59:60], v[72:73]
	scratch_store_b64 off, v[59:60], off offset:128
.LBB92_118:
	s_or_b32 exec_lo, exec_lo, s3
	scratch_load_b64 v[59:60], off, off offset:120
	v_cmp_lt_u32_e64 s1, 15, v0
	s_waitcnt vmcnt(0)
	ds_store_b64 v62, v[59:60]
	s_waitcnt lgkmcnt(0)
	s_waitcnt_vscnt null, 0x0
	s_barrier
	buffer_gl0_inv
	s_and_saveexec_b32 s3, s1
	s_cbranch_execz .LBB92_128
; %bb.119:
	s_and_not1_b32 vcc_lo, exec_lo, s2
	s_cbranch_vccnz .LBB92_121
; %bb.120:
	scratch_load_b64 v[59:60], v63, off
	ds_load_b64 v[72:73], v62
	s_waitcnt vmcnt(0) lgkmcnt(0)
	v_mul_f64 v[59:60], v[59:60], v[72:73]
	s_cbranch_execz .LBB92_122
	s_branch .LBB92_123
.LBB92_121:
                                        ; implicit-def: $vgpr59_vgpr60
.LBB92_122:
	ds_load_b64 v[59:60], v62
.LBB92_123:
	s_and_saveexec_b32 s4, s0
	s_cbranch_execz .LBB92_127
; %bb.124:
	v_add_nc_u32_e32 v72, -16, v0
	s_movk_i32 s5, 0x170
	s_mov_b32 s0, 0
.LBB92_125:                             ; =>This Inner Loop Header: Depth=1
	scratch_load_b64 v[73:74], v71, off
	v_dual_mov_b32 v75, s5 :: v_dual_add_nc_u32 v72, -1, v72
	v_add_nc_u32_e32 v71, 8, v71
	s_add_i32 s5, s5, 8
	ds_load_b64 v[75:76], v75
	v_cmp_eq_u32_e32 vcc_lo, 0, v72
	s_or_b32 s0, vcc_lo, s0
	s_waitcnt vmcnt(0) lgkmcnt(0)
	v_fma_f64 v[59:60], v[73:74], v[75:76], v[59:60]
	s_and_not1_b32 exec_lo, exec_lo, s0
	s_cbranch_execnz .LBB92_125
; %bb.126:
	s_or_b32 exec_lo, exec_lo, s0
.LBB92_127:
	s_delay_alu instid0(SALU_CYCLE_1)
	s_or_b32 exec_lo, exec_lo, s4
	v_mov_b32_e32 v71, 0
	ds_load_b64 v[71:72], v71 offset:120
	s_waitcnt lgkmcnt(0)
	v_mul_f64 v[59:60], v[59:60], v[71:72]
	scratch_store_b64 off, v[59:60], off offset:120
.LBB92_128:
	s_or_b32 exec_lo, exec_lo, s3
	scratch_load_b64 v[59:60], off, off offset:112
	v_cmp_lt_u32_e64 s0, 14, v0
	s_waitcnt vmcnt(0)
	ds_store_b64 v62, v[59:60]
	s_waitcnt lgkmcnt(0)
	s_waitcnt_vscnt null, 0x0
	s_barrier
	buffer_gl0_inv
	s_and_saveexec_b32 s3, s0
	s_cbranch_execz .LBB92_138
; %bb.129:
	s_and_not1_b32 vcc_lo, exec_lo, s2
	s_cbranch_vccnz .LBB92_131
; %bb.130:
	scratch_load_b64 v[59:60], v63, off
	ds_load_b64 v[71:72], v62
	s_waitcnt vmcnt(0) lgkmcnt(0)
	v_mul_f64 v[59:60], v[59:60], v[71:72]
	s_cbranch_execz .LBB92_132
	s_branch .LBB92_133
.LBB92_131:
                                        ; implicit-def: $vgpr59_vgpr60
.LBB92_132:
	ds_load_b64 v[59:60], v62
.LBB92_133:
	s_and_saveexec_b32 s4, s1
	s_cbranch_execz .LBB92_137
; %bb.134:
	v_dual_mov_b32 v71, 0 :: v_dual_add_nc_u32 v72, -15, v0
	s_movk_i32 s5, 0x168
	s_mov_b32 s1, 0
	s_delay_alu instid0(VALU_DEP_1)
	v_add_nc_u32_e32 v71, 0x78, v71
.LBB92_135:                             ; =>This Inner Loop Header: Depth=1
	scratch_load_b64 v[73:74], v71, off
	v_dual_mov_b32 v75, s5 :: v_dual_add_nc_u32 v72, -1, v72
	v_add_nc_u32_e32 v71, 8, v71
	s_add_i32 s5, s5, 8
	ds_load_b64 v[75:76], v75
	v_cmp_eq_u32_e32 vcc_lo, 0, v72
	s_or_b32 s1, vcc_lo, s1
	s_waitcnt vmcnt(0) lgkmcnt(0)
	v_fma_f64 v[59:60], v[73:74], v[75:76], v[59:60]
	s_and_not1_b32 exec_lo, exec_lo, s1
	s_cbranch_execnz .LBB92_135
; %bb.136:
	s_or_b32 exec_lo, exec_lo, s1
.LBB92_137:
	s_delay_alu instid0(SALU_CYCLE_1)
	s_or_b32 exec_lo, exec_lo, s4
	v_mov_b32_e32 v71, 0
	ds_load_b64 v[71:72], v71 offset:112
	s_waitcnt lgkmcnt(0)
	v_mul_f64 v[59:60], v[59:60], v[71:72]
	scratch_store_b64 off, v[59:60], off offset:112
.LBB92_138:
	s_or_b32 exec_lo, exec_lo, s3
	scratch_load_b64 v[59:60], off, off offset:104
	v_cmp_lt_u32_e64 s1, 13, v0
	s_waitcnt vmcnt(0)
	ds_store_b64 v62, v[59:60]
	s_waitcnt lgkmcnt(0)
	s_waitcnt_vscnt null, 0x0
	s_barrier
	buffer_gl0_inv
	s_and_saveexec_b32 s3, s1
	s_cbranch_execz .LBB92_148
; %bb.139:
	s_and_not1_b32 vcc_lo, exec_lo, s2
	s_cbranch_vccnz .LBB92_141
; %bb.140:
	scratch_load_b64 v[59:60], v63, off
	ds_load_b64 v[71:72], v62
	s_waitcnt vmcnt(0) lgkmcnt(0)
	v_mul_f64 v[59:60], v[59:60], v[71:72]
	s_cbranch_execz .LBB92_142
	s_branch .LBB92_143
.LBB92_141:
                                        ; implicit-def: $vgpr59_vgpr60
.LBB92_142:
	ds_load_b64 v[59:60], v62
.LBB92_143:
	s_and_saveexec_b32 s4, s0
	s_cbranch_execz .LBB92_147
; %bb.144:
	v_add_nc_u32_e32 v71, -14, v0
	s_movk_i32 s5, 0x160
	s_mov_b32 s0, 0
.LBB92_145:                             ; =>This Inner Loop Header: Depth=1
	scratch_load_b64 v[72:73], v70, off
	v_dual_mov_b32 v74, s5 :: v_dual_add_nc_u32 v71, -1, v71
	v_add_nc_u32_e32 v70, 8, v70
	s_add_i32 s5, s5, 8
	ds_load_b64 v[74:75], v74
	v_cmp_eq_u32_e32 vcc_lo, 0, v71
	s_or_b32 s0, vcc_lo, s0
	s_waitcnt vmcnt(0) lgkmcnt(0)
	v_fma_f64 v[59:60], v[72:73], v[74:75], v[59:60]
	s_and_not1_b32 exec_lo, exec_lo, s0
	s_cbranch_execnz .LBB92_145
; %bb.146:
	s_or_b32 exec_lo, exec_lo, s0
.LBB92_147:
	s_delay_alu instid0(SALU_CYCLE_1)
	s_or_b32 exec_lo, exec_lo, s4
	v_mov_b32_e32 v70, 0
	ds_load_b64 v[70:71], v70 offset:104
	s_waitcnt lgkmcnt(0)
	v_mul_f64 v[59:60], v[59:60], v[70:71]
	scratch_store_b64 off, v[59:60], off offset:104
.LBB92_148:
	s_or_b32 exec_lo, exec_lo, s3
	scratch_load_b64 v[59:60], off, off offset:96
	v_cmp_lt_u32_e64 s0, 12, v0
	s_waitcnt vmcnt(0)
	ds_store_b64 v62, v[59:60]
	s_waitcnt lgkmcnt(0)
	s_waitcnt_vscnt null, 0x0
	s_barrier
	buffer_gl0_inv
	s_and_saveexec_b32 s3, s0
	s_cbranch_execz .LBB92_158
; %bb.149:
	s_and_not1_b32 vcc_lo, exec_lo, s2
	s_cbranch_vccnz .LBB92_151
; %bb.150:
	scratch_load_b64 v[59:60], v63, off
	ds_load_b64 v[70:71], v62
	s_waitcnt vmcnt(0) lgkmcnt(0)
	v_mul_f64 v[59:60], v[59:60], v[70:71]
	s_cbranch_execz .LBB92_152
	s_branch .LBB92_153
.LBB92_151:
                                        ; implicit-def: $vgpr59_vgpr60
.LBB92_152:
	ds_load_b64 v[59:60], v62
.LBB92_153:
	s_and_saveexec_b32 s4, s1
	s_cbranch_execz .LBB92_157
; %bb.154:
	v_dual_mov_b32 v70, 0 :: v_dual_add_nc_u32 v71, -13, v0
	s_movk_i32 s5, 0x158
	s_mov_b32 s1, 0
	s_delay_alu instid0(VALU_DEP_1)
	v_add_nc_u32_e32 v70, 0x68, v70
.LBB92_155:                             ; =>This Inner Loop Header: Depth=1
	scratch_load_b64 v[72:73], v70, off
	v_dual_mov_b32 v74, s5 :: v_dual_add_nc_u32 v71, -1, v71
	v_add_nc_u32_e32 v70, 8, v70
	s_add_i32 s5, s5, 8
	ds_load_b64 v[74:75], v74
	v_cmp_eq_u32_e32 vcc_lo, 0, v71
	s_or_b32 s1, vcc_lo, s1
	s_waitcnt vmcnt(0) lgkmcnt(0)
	v_fma_f64 v[59:60], v[72:73], v[74:75], v[59:60]
	s_and_not1_b32 exec_lo, exec_lo, s1
	s_cbranch_execnz .LBB92_155
; %bb.156:
	s_or_b32 exec_lo, exec_lo, s1
.LBB92_157:
	s_delay_alu instid0(SALU_CYCLE_1)
	s_or_b32 exec_lo, exec_lo, s4
	v_mov_b32_e32 v70, 0
	ds_load_b64 v[70:71], v70 offset:96
	s_waitcnt lgkmcnt(0)
	v_mul_f64 v[59:60], v[59:60], v[70:71]
	scratch_store_b64 off, v[59:60], off offset:96
.LBB92_158:
	s_or_b32 exec_lo, exec_lo, s3
	scratch_load_b64 v[59:60], off, off offset:88
	v_cmp_lt_u32_e64 s1, 11, v0
	s_waitcnt vmcnt(0)
	ds_store_b64 v62, v[59:60]
	s_waitcnt lgkmcnt(0)
	s_waitcnt_vscnt null, 0x0
	s_barrier
	buffer_gl0_inv
	s_and_saveexec_b32 s3, s1
	s_cbranch_execz .LBB92_168
; %bb.159:
	s_and_not1_b32 vcc_lo, exec_lo, s2
	s_cbranch_vccnz .LBB92_161
; %bb.160:
	scratch_load_b64 v[59:60], v63, off
	ds_load_b64 v[70:71], v62
	s_waitcnt vmcnt(0) lgkmcnt(0)
	v_mul_f64 v[59:60], v[59:60], v[70:71]
	s_cbranch_execz .LBB92_162
	s_branch .LBB92_163
.LBB92_161:
                                        ; implicit-def: $vgpr59_vgpr60
.LBB92_162:
	ds_load_b64 v[59:60], v62
.LBB92_163:
	s_and_saveexec_b32 s4, s0
	s_cbranch_execz .LBB92_167
; %bb.164:
	v_add_nc_u32_e32 v70, -12, v0
	s_movk_i32 s5, 0x150
	s_mov_b32 s0, 0
.LBB92_165:                             ; =>This Inner Loop Header: Depth=1
	scratch_load_b64 v[71:72], v69, off
	v_dual_mov_b32 v73, s5 :: v_dual_add_nc_u32 v70, -1, v70
	v_add_nc_u32_e32 v69, 8, v69
	s_add_i32 s5, s5, 8
	ds_load_b64 v[73:74], v73
	v_cmp_eq_u32_e32 vcc_lo, 0, v70
	s_or_b32 s0, vcc_lo, s0
	s_waitcnt vmcnt(0) lgkmcnt(0)
	v_fma_f64 v[59:60], v[71:72], v[73:74], v[59:60]
	s_and_not1_b32 exec_lo, exec_lo, s0
	s_cbranch_execnz .LBB92_165
; %bb.166:
	s_or_b32 exec_lo, exec_lo, s0
.LBB92_167:
	s_delay_alu instid0(SALU_CYCLE_1)
	s_or_b32 exec_lo, exec_lo, s4
	v_mov_b32_e32 v69, 0
	ds_load_b64 v[69:70], v69 offset:88
	s_waitcnt lgkmcnt(0)
	v_mul_f64 v[59:60], v[59:60], v[69:70]
	scratch_store_b64 off, v[59:60], off offset:88
.LBB92_168:
	s_or_b32 exec_lo, exec_lo, s3
	scratch_load_b64 v[59:60], off, off offset:80
	v_cmp_lt_u32_e64 s0, 10, v0
	s_waitcnt vmcnt(0)
	ds_store_b64 v62, v[59:60]
	s_waitcnt lgkmcnt(0)
	s_waitcnt_vscnt null, 0x0
	s_barrier
	buffer_gl0_inv
	s_and_saveexec_b32 s3, s0
	s_cbranch_execz .LBB92_178
; %bb.169:
	s_and_not1_b32 vcc_lo, exec_lo, s2
	s_cbranch_vccnz .LBB92_171
; %bb.170:
	scratch_load_b64 v[59:60], v63, off
	ds_load_b64 v[69:70], v62
	s_waitcnt vmcnt(0) lgkmcnt(0)
	v_mul_f64 v[59:60], v[59:60], v[69:70]
	s_cbranch_execz .LBB92_172
	s_branch .LBB92_173
.LBB92_171:
                                        ; implicit-def: $vgpr59_vgpr60
.LBB92_172:
	ds_load_b64 v[59:60], v62
.LBB92_173:
	s_and_saveexec_b32 s4, s1
	s_cbranch_execz .LBB92_177
; %bb.174:
	v_dual_mov_b32 v69, 0 :: v_dual_add_nc_u32 v70, -11, v0
	s_movk_i32 s5, 0x148
	s_mov_b32 s1, 0
	s_delay_alu instid0(VALU_DEP_1)
	v_add_nc_u32_e32 v69, 0x58, v69
.LBB92_175:                             ; =>This Inner Loop Header: Depth=1
	scratch_load_b64 v[71:72], v69, off
	v_dual_mov_b32 v73, s5 :: v_dual_add_nc_u32 v70, -1, v70
	v_add_nc_u32_e32 v69, 8, v69
	s_add_i32 s5, s5, 8
	ds_load_b64 v[73:74], v73
	v_cmp_eq_u32_e32 vcc_lo, 0, v70
	s_or_b32 s1, vcc_lo, s1
	s_waitcnt vmcnt(0) lgkmcnt(0)
	v_fma_f64 v[59:60], v[71:72], v[73:74], v[59:60]
	s_and_not1_b32 exec_lo, exec_lo, s1
	s_cbranch_execnz .LBB92_175
; %bb.176:
	s_or_b32 exec_lo, exec_lo, s1
.LBB92_177:
	s_delay_alu instid0(SALU_CYCLE_1)
	s_or_b32 exec_lo, exec_lo, s4
	v_mov_b32_e32 v69, 0
	ds_load_b64 v[69:70], v69 offset:80
	s_waitcnt lgkmcnt(0)
	v_mul_f64 v[59:60], v[59:60], v[69:70]
	scratch_store_b64 off, v[59:60], off offset:80
.LBB92_178:
	s_or_b32 exec_lo, exec_lo, s3
	scratch_load_b64 v[59:60], off, off offset:72
	v_cmp_lt_u32_e64 s1, 9, v0
	s_waitcnt vmcnt(0)
	ds_store_b64 v62, v[59:60]
	s_waitcnt lgkmcnt(0)
	s_waitcnt_vscnt null, 0x0
	s_barrier
	buffer_gl0_inv
	s_and_saveexec_b32 s3, s1
	s_cbranch_execz .LBB92_188
; %bb.179:
	s_and_not1_b32 vcc_lo, exec_lo, s2
	s_cbranch_vccnz .LBB92_181
; %bb.180:
	scratch_load_b64 v[59:60], v63, off
	ds_load_b64 v[69:70], v62
	s_waitcnt vmcnt(0) lgkmcnt(0)
	v_mul_f64 v[59:60], v[59:60], v[69:70]
	s_cbranch_execz .LBB92_182
	s_branch .LBB92_183
.LBB92_181:
                                        ; implicit-def: $vgpr59_vgpr60
.LBB92_182:
	ds_load_b64 v[59:60], v62
.LBB92_183:
	s_and_saveexec_b32 s4, s0
	s_cbranch_execz .LBB92_187
; %bb.184:
	v_add_nc_u32_e32 v69, -10, v0
	s_movk_i32 s5, 0x140
	s_mov_b32 s0, 0
.LBB92_185:                             ; =>This Inner Loop Header: Depth=1
	scratch_load_b64 v[70:71], v68, off
	v_dual_mov_b32 v72, s5 :: v_dual_add_nc_u32 v69, -1, v69
	v_add_nc_u32_e32 v68, 8, v68
	s_add_i32 s5, s5, 8
	ds_load_b64 v[72:73], v72
	v_cmp_eq_u32_e32 vcc_lo, 0, v69
	s_or_b32 s0, vcc_lo, s0
	s_waitcnt vmcnt(0) lgkmcnt(0)
	v_fma_f64 v[59:60], v[70:71], v[72:73], v[59:60]
	s_and_not1_b32 exec_lo, exec_lo, s0
	s_cbranch_execnz .LBB92_185
; %bb.186:
	s_or_b32 exec_lo, exec_lo, s0
.LBB92_187:
	s_delay_alu instid0(SALU_CYCLE_1)
	s_or_b32 exec_lo, exec_lo, s4
	v_mov_b32_e32 v68, 0
	ds_load_b64 v[68:69], v68 offset:72
	s_waitcnt lgkmcnt(0)
	v_mul_f64 v[59:60], v[59:60], v[68:69]
	scratch_store_b64 off, v[59:60], off offset:72
.LBB92_188:
	s_or_b32 exec_lo, exec_lo, s3
	scratch_load_b64 v[59:60], off, off offset:64
	v_cmp_lt_u32_e64 s0, 8, v0
	s_waitcnt vmcnt(0)
	ds_store_b64 v62, v[59:60]
	s_waitcnt lgkmcnt(0)
	s_waitcnt_vscnt null, 0x0
	s_barrier
	buffer_gl0_inv
	s_and_saveexec_b32 s3, s0
	s_cbranch_execz .LBB92_198
; %bb.189:
	s_and_not1_b32 vcc_lo, exec_lo, s2
	s_cbranch_vccnz .LBB92_191
; %bb.190:
	scratch_load_b64 v[59:60], v63, off
	ds_load_b64 v[68:69], v62
	s_waitcnt vmcnt(0) lgkmcnt(0)
	v_mul_f64 v[59:60], v[59:60], v[68:69]
	s_cbranch_execz .LBB92_192
	s_branch .LBB92_193
.LBB92_191:
                                        ; implicit-def: $vgpr59_vgpr60
.LBB92_192:
	ds_load_b64 v[59:60], v62
.LBB92_193:
	s_and_saveexec_b32 s4, s1
	s_cbranch_execz .LBB92_197
; %bb.194:
	v_dual_mov_b32 v68, 0 :: v_dual_add_nc_u32 v69, -9, v0
	s_movk_i32 s5, 0x138
	s_mov_b32 s1, 0
	s_delay_alu instid0(VALU_DEP_1)
	v_add_nc_u32_e32 v68, 0x48, v68
.LBB92_195:                             ; =>This Inner Loop Header: Depth=1
	scratch_load_b64 v[70:71], v68, off
	v_dual_mov_b32 v72, s5 :: v_dual_add_nc_u32 v69, -1, v69
	v_add_nc_u32_e32 v68, 8, v68
	s_add_i32 s5, s5, 8
	ds_load_b64 v[72:73], v72
	v_cmp_eq_u32_e32 vcc_lo, 0, v69
	s_or_b32 s1, vcc_lo, s1
	s_waitcnt vmcnt(0) lgkmcnt(0)
	v_fma_f64 v[59:60], v[70:71], v[72:73], v[59:60]
	s_and_not1_b32 exec_lo, exec_lo, s1
	s_cbranch_execnz .LBB92_195
; %bb.196:
	s_or_b32 exec_lo, exec_lo, s1
.LBB92_197:
	s_delay_alu instid0(SALU_CYCLE_1)
	s_or_b32 exec_lo, exec_lo, s4
	v_mov_b32_e32 v68, 0
	ds_load_b64 v[68:69], v68 offset:64
	s_waitcnt lgkmcnt(0)
	v_mul_f64 v[59:60], v[59:60], v[68:69]
	scratch_store_b64 off, v[59:60], off offset:64
.LBB92_198:
	s_or_b32 exec_lo, exec_lo, s3
	scratch_load_b64 v[59:60], off, off offset:56
	v_cmp_lt_u32_e64 s1, 7, v0
	s_waitcnt vmcnt(0)
	ds_store_b64 v62, v[59:60]
	s_waitcnt lgkmcnt(0)
	s_waitcnt_vscnt null, 0x0
	s_barrier
	buffer_gl0_inv
	s_and_saveexec_b32 s3, s1
	s_cbranch_execz .LBB92_208
; %bb.199:
	s_and_not1_b32 vcc_lo, exec_lo, s2
	s_cbranch_vccnz .LBB92_201
; %bb.200:
	scratch_load_b64 v[59:60], v63, off
	ds_load_b64 v[68:69], v62
	s_waitcnt vmcnt(0) lgkmcnt(0)
	v_mul_f64 v[59:60], v[59:60], v[68:69]
	s_cbranch_execz .LBB92_202
	s_branch .LBB92_203
.LBB92_201:
                                        ; implicit-def: $vgpr59_vgpr60
.LBB92_202:
	ds_load_b64 v[59:60], v62
.LBB92_203:
	s_and_saveexec_b32 s4, s0
	s_cbranch_execz .LBB92_207
; %bb.204:
	v_add_nc_u32_e32 v68, -8, v0
	s_movk_i32 s5, 0x130
	s_mov_b32 s0, 0
.LBB92_205:                             ; =>This Inner Loop Header: Depth=1
	scratch_load_b64 v[69:70], v67, off
	v_dual_mov_b32 v71, s5 :: v_dual_add_nc_u32 v68, -1, v68
	v_add_nc_u32_e32 v67, 8, v67
	s_add_i32 s5, s5, 8
	ds_load_b64 v[71:72], v71
	v_cmp_eq_u32_e32 vcc_lo, 0, v68
	s_or_b32 s0, vcc_lo, s0
	s_waitcnt vmcnt(0) lgkmcnt(0)
	v_fma_f64 v[59:60], v[69:70], v[71:72], v[59:60]
	s_and_not1_b32 exec_lo, exec_lo, s0
	s_cbranch_execnz .LBB92_205
; %bb.206:
	s_or_b32 exec_lo, exec_lo, s0
.LBB92_207:
	s_delay_alu instid0(SALU_CYCLE_1)
	s_or_b32 exec_lo, exec_lo, s4
	v_mov_b32_e32 v67, 0
	ds_load_b64 v[67:68], v67 offset:56
	s_waitcnt lgkmcnt(0)
	v_mul_f64 v[59:60], v[59:60], v[67:68]
	scratch_store_b64 off, v[59:60], off offset:56
.LBB92_208:
	s_or_b32 exec_lo, exec_lo, s3
	scratch_load_b64 v[59:60], off, off offset:48
	v_cmp_lt_u32_e64 s0, 6, v0
	s_waitcnt vmcnt(0)
	ds_store_b64 v62, v[59:60]
	s_waitcnt lgkmcnt(0)
	s_waitcnt_vscnt null, 0x0
	s_barrier
	buffer_gl0_inv
	s_and_saveexec_b32 s3, s0
	s_cbranch_execz .LBB92_218
; %bb.209:
	s_and_not1_b32 vcc_lo, exec_lo, s2
	s_cbranch_vccnz .LBB92_211
; %bb.210:
	scratch_load_b64 v[59:60], v63, off
	ds_load_b64 v[67:68], v62
	s_waitcnt vmcnt(0) lgkmcnt(0)
	v_mul_f64 v[59:60], v[59:60], v[67:68]
	s_cbranch_execz .LBB92_212
	s_branch .LBB92_213
.LBB92_211:
                                        ; implicit-def: $vgpr59_vgpr60
.LBB92_212:
	ds_load_b64 v[59:60], v62
.LBB92_213:
	s_and_saveexec_b32 s4, s1
	s_cbranch_execz .LBB92_217
; %bb.214:
	v_add_nc_u32_e64 v67, 0, 56
	v_add_nc_u32_e32 v68, -7, v0
	s_movk_i32 s5, 0x128
	s_mov_b32 s1, 0
.LBB92_215:                             ; =>This Inner Loop Header: Depth=1
	scratch_load_b64 v[69:70], v67, off
	v_dual_mov_b32 v71, s5 :: v_dual_add_nc_u32 v68, -1, v68
	v_add_nc_u32_e32 v67, 8, v67
	s_add_i32 s5, s5, 8
	ds_load_b64 v[71:72], v71
	v_cmp_eq_u32_e32 vcc_lo, 0, v68
	s_or_b32 s1, vcc_lo, s1
	s_waitcnt vmcnt(0) lgkmcnt(0)
	v_fma_f64 v[59:60], v[69:70], v[71:72], v[59:60]
	s_and_not1_b32 exec_lo, exec_lo, s1
	s_cbranch_execnz .LBB92_215
; %bb.216:
	s_or_b32 exec_lo, exec_lo, s1
.LBB92_217:
	s_delay_alu instid0(SALU_CYCLE_1)
	s_or_b32 exec_lo, exec_lo, s4
	v_mov_b32_e32 v67, 0
	ds_load_b64 v[67:68], v67 offset:48
	s_waitcnt lgkmcnt(0)
	v_mul_f64 v[59:60], v[59:60], v[67:68]
	scratch_store_b64 off, v[59:60], off offset:48
.LBB92_218:
	s_or_b32 exec_lo, exec_lo, s3
	scratch_load_b64 v[59:60], off, off offset:40
	v_cmp_lt_u32_e64 s1, 5, v0
	s_waitcnt vmcnt(0)
	ds_store_b64 v62, v[59:60]
	s_waitcnt lgkmcnt(0)
	s_waitcnt_vscnt null, 0x0
	s_barrier
	buffer_gl0_inv
	s_and_saveexec_b32 s3, s1
	s_cbranch_execz .LBB92_228
; %bb.219:
	s_and_not1_b32 vcc_lo, exec_lo, s2
	s_cbranch_vccnz .LBB92_221
; %bb.220:
	scratch_load_b64 v[59:60], v63, off
	ds_load_b64 v[67:68], v62
	s_waitcnt vmcnt(0) lgkmcnt(0)
	v_mul_f64 v[59:60], v[59:60], v[67:68]
	s_cbranch_execz .LBB92_222
	s_branch .LBB92_223
.LBB92_221:
                                        ; implicit-def: $vgpr59_vgpr60
.LBB92_222:
	ds_load_b64 v[59:60], v62
.LBB92_223:
	s_and_saveexec_b32 s4, s0
	s_cbranch_execz .LBB92_227
; %bb.224:
	v_add_nc_u32_e32 v67, -6, v0
	s_movk_i32 s5, 0x120
	s_mov_b32 s0, 0
.LBB92_225:                             ; =>This Inner Loop Header: Depth=1
	scratch_load_b64 v[68:69], v66, off
	v_dual_mov_b32 v70, s5 :: v_dual_add_nc_u32 v67, -1, v67
	v_add_nc_u32_e32 v66, 8, v66
	s_add_i32 s5, s5, 8
	ds_load_b64 v[70:71], v70
	v_cmp_eq_u32_e32 vcc_lo, 0, v67
	s_or_b32 s0, vcc_lo, s0
	s_waitcnt vmcnt(0) lgkmcnt(0)
	v_fma_f64 v[59:60], v[68:69], v[70:71], v[59:60]
	s_and_not1_b32 exec_lo, exec_lo, s0
	s_cbranch_execnz .LBB92_225
; %bb.226:
	s_or_b32 exec_lo, exec_lo, s0
.LBB92_227:
	s_delay_alu instid0(SALU_CYCLE_1)
	s_or_b32 exec_lo, exec_lo, s4
	v_mov_b32_e32 v66, 0
	ds_load_b64 v[66:67], v66 offset:40
	s_waitcnt lgkmcnt(0)
	v_mul_f64 v[59:60], v[59:60], v[66:67]
	scratch_store_b64 off, v[59:60], off offset:40
.LBB92_228:
	s_or_b32 exec_lo, exec_lo, s3
	scratch_load_b64 v[59:60], off, off offset:32
	v_cmp_lt_u32_e64 s0, 4, v0
	s_waitcnt vmcnt(0)
	ds_store_b64 v62, v[59:60]
	s_waitcnt lgkmcnt(0)
	s_waitcnt_vscnt null, 0x0
	s_barrier
	buffer_gl0_inv
	s_and_saveexec_b32 s3, s0
	s_cbranch_execz .LBB92_238
; %bb.229:
	s_and_not1_b32 vcc_lo, exec_lo, s2
	s_cbranch_vccnz .LBB92_231
; %bb.230:
	scratch_load_b64 v[59:60], v63, off
	ds_load_b64 v[66:67], v62
	s_waitcnt vmcnt(0) lgkmcnt(0)
	v_mul_f64 v[59:60], v[59:60], v[66:67]
	s_cbranch_execz .LBB92_232
	s_branch .LBB92_233
.LBB92_231:
                                        ; implicit-def: $vgpr59_vgpr60
.LBB92_232:
	ds_load_b64 v[59:60], v62
.LBB92_233:
	s_and_saveexec_b32 s4, s1
	s_cbranch_execz .LBB92_237
; %bb.234:
	v_add_nc_u32_e64 v66, 0, 40
	v_add_nc_u32_e32 v67, -5, v0
	s_movk_i32 s5, 0x118
	s_mov_b32 s1, 0
.LBB92_235:                             ; =>This Inner Loop Header: Depth=1
	scratch_load_b64 v[68:69], v66, off
	v_dual_mov_b32 v70, s5 :: v_dual_add_nc_u32 v67, -1, v67
	v_add_nc_u32_e32 v66, 8, v66
	s_add_i32 s5, s5, 8
	ds_load_b64 v[70:71], v70
	v_cmp_eq_u32_e32 vcc_lo, 0, v67
	s_or_b32 s1, vcc_lo, s1
	s_waitcnt vmcnt(0) lgkmcnt(0)
	v_fma_f64 v[59:60], v[68:69], v[70:71], v[59:60]
	s_and_not1_b32 exec_lo, exec_lo, s1
	s_cbranch_execnz .LBB92_235
; %bb.236:
	s_or_b32 exec_lo, exec_lo, s1
.LBB92_237:
	s_delay_alu instid0(SALU_CYCLE_1)
	s_or_b32 exec_lo, exec_lo, s4
	v_mov_b32_e32 v66, 0
	ds_load_b64 v[66:67], v66 offset:32
	s_waitcnt lgkmcnt(0)
	v_mul_f64 v[59:60], v[59:60], v[66:67]
	scratch_store_b64 off, v[59:60], off offset:32
.LBB92_238:
	s_or_b32 exec_lo, exec_lo, s3
	scratch_load_b64 v[59:60], off, off offset:24
	v_cmp_lt_u32_e64 s1, 3, v0
	s_waitcnt vmcnt(0)
	ds_store_b64 v62, v[59:60]
	s_waitcnt lgkmcnt(0)
	s_waitcnt_vscnt null, 0x0
	s_barrier
	buffer_gl0_inv
	s_and_saveexec_b32 s3, s1
	s_cbranch_execz .LBB92_248
; %bb.239:
	s_and_not1_b32 vcc_lo, exec_lo, s2
	s_cbranch_vccnz .LBB92_241
; %bb.240:
	scratch_load_b64 v[59:60], v63, off
	ds_load_b64 v[66:67], v62
	s_waitcnt vmcnt(0) lgkmcnt(0)
	v_mul_f64 v[59:60], v[59:60], v[66:67]
	s_cbranch_execz .LBB92_242
	s_branch .LBB92_243
.LBB92_241:
                                        ; implicit-def: $vgpr59_vgpr60
.LBB92_242:
	ds_load_b64 v[59:60], v62
.LBB92_243:
	s_and_saveexec_b32 s4, s0
	s_cbranch_execz .LBB92_247
; %bb.244:
	v_add_nc_u32_e32 v66, -4, v0
	s_movk_i32 s5, 0x110
	s_mov_b32 s0, 0
.LBB92_245:                             ; =>This Inner Loop Header: Depth=1
	scratch_load_b64 v[67:68], v65, off
	v_dual_mov_b32 v69, s5 :: v_dual_add_nc_u32 v66, -1, v66
	v_add_nc_u32_e32 v65, 8, v65
	s_add_i32 s5, s5, 8
	ds_load_b64 v[69:70], v69
	v_cmp_eq_u32_e32 vcc_lo, 0, v66
	s_or_b32 s0, vcc_lo, s0
	s_waitcnt vmcnt(0) lgkmcnt(0)
	v_fma_f64 v[59:60], v[67:68], v[69:70], v[59:60]
	s_and_not1_b32 exec_lo, exec_lo, s0
	s_cbranch_execnz .LBB92_245
; %bb.246:
	s_or_b32 exec_lo, exec_lo, s0
.LBB92_247:
	s_delay_alu instid0(SALU_CYCLE_1)
	s_or_b32 exec_lo, exec_lo, s4
	v_mov_b32_e32 v65, 0
	ds_load_b64 v[65:66], v65 offset:24
	s_waitcnt lgkmcnt(0)
	v_mul_f64 v[59:60], v[59:60], v[65:66]
	scratch_store_b64 off, v[59:60], off offset:24
.LBB92_248:
	s_or_b32 exec_lo, exec_lo, s3
	scratch_load_b64 v[59:60], off, off offset:16
	v_cmp_lt_u32_e64 s0, 2, v0
	s_waitcnt vmcnt(0)
	ds_store_b64 v62, v[59:60]
	s_waitcnt lgkmcnt(0)
	s_waitcnt_vscnt null, 0x0
	s_barrier
	buffer_gl0_inv
	s_and_saveexec_b32 s3, s0
	s_cbranch_execz .LBB92_258
; %bb.249:
	s_and_not1_b32 vcc_lo, exec_lo, s2
	s_cbranch_vccnz .LBB92_251
; %bb.250:
	scratch_load_b64 v[59:60], v63, off
	ds_load_b64 v[65:66], v62
	s_waitcnt vmcnt(0) lgkmcnt(0)
	v_mul_f64 v[59:60], v[59:60], v[65:66]
	s_cbranch_execz .LBB92_252
	s_branch .LBB92_253
.LBB92_251:
                                        ; implicit-def: $vgpr59_vgpr60
.LBB92_252:
	ds_load_b64 v[59:60], v62
.LBB92_253:
	s_and_saveexec_b32 s4, s1
	s_cbranch_execz .LBB92_257
; %bb.254:
	v_add_nc_u32_e64 v65, 0, 24
	v_add_nc_u32_e32 v66, -3, v0
	s_movk_i32 s5, 0x108
	s_mov_b32 s1, 0
.LBB92_255:                             ; =>This Inner Loop Header: Depth=1
	scratch_load_b64 v[67:68], v65, off
	v_dual_mov_b32 v69, s5 :: v_dual_add_nc_u32 v66, -1, v66
	v_add_nc_u32_e32 v65, 8, v65
	s_add_i32 s5, s5, 8
	ds_load_b64 v[69:70], v69
	v_cmp_eq_u32_e32 vcc_lo, 0, v66
	s_or_b32 s1, vcc_lo, s1
	s_waitcnt vmcnt(0) lgkmcnt(0)
	v_fma_f64 v[59:60], v[67:68], v[69:70], v[59:60]
	s_and_not1_b32 exec_lo, exec_lo, s1
	s_cbranch_execnz .LBB92_255
; %bb.256:
	s_or_b32 exec_lo, exec_lo, s1
.LBB92_257:
	s_delay_alu instid0(SALU_CYCLE_1)
	s_or_b32 exec_lo, exec_lo, s4
	v_mov_b32_e32 v65, 0
	ds_load_b64 v[65:66], v65 offset:16
	s_waitcnt lgkmcnt(0)
	v_mul_f64 v[59:60], v[59:60], v[65:66]
	scratch_store_b64 off, v[59:60], off offset:16
.LBB92_258:
	s_or_b32 exec_lo, exec_lo, s3
	scratch_load_b64 v[59:60], off, off offset:8
	v_cmp_lt_u32_e64 s1, 1, v0
	s_waitcnt vmcnt(0)
	ds_store_b64 v62, v[59:60]
	s_waitcnt lgkmcnt(0)
	s_waitcnt_vscnt null, 0x0
	s_barrier
	buffer_gl0_inv
	s_and_saveexec_b32 s3, s1
	s_cbranch_execz .LBB92_268
; %bb.259:
	s_and_not1_b32 vcc_lo, exec_lo, s2
	s_cbranch_vccnz .LBB92_261
; %bb.260:
	scratch_load_b64 v[59:60], v63, off
	ds_load_b64 v[65:66], v62
	s_waitcnt vmcnt(0) lgkmcnt(0)
	v_mul_f64 v[59:60], v[59:60], v[65:66]
	s_cbranch_execz .LBB92_262
	s_branch .LBB92_263
.LBB92_261:
                                        ; implicit-def: $vgpr59_vgpr60
.LBB92_262:
	ds_load_b64 v[59:60], v62
.LBB92_263:
	s_and_saveexec_b32 s4, s0
	s_cbranch_execz .LBB92_267
; %bb.264:
	v_add_nc_u32_e32 v65, -2, v0
	s_movk_i32 s5, 0x100
	s_mov_b32 s0, 0
.LBB92_265:                             ; =>This Inner Loop Header: Depth=1
	scratch_load_b64 v[66:67], v64, off
	v_dual_mov_b32 v68, s5 :: v_dual_add_nc_u32 v65, -1, v65
	v_add_nc_u32_e32 v64, 8, v64
	s_add_i32 s5, s5, 8
	ds_load_b64 v[68:69], v68
	v_cmp_eq_u32_e32 vcc_lo, 0, v65
	s_or_b32 s0, vcc_lo, s0
	s_waitcnt vmcnt(0) lgkmcnt(0)
	v_fma_f64 v[59:60], v[66:67], v[68:69], v[59:60]
	s_and_not1_b32 exec_lo, exec_lo, s0
	s_cbranch_execnz .LBB92_265
; %bb.266:
	s_or_b32 exec_lo, exec_lo, s0
.LBB92_267:
	s_delay_alu instid0(SALU_CYCLE_1)
	s_or_b32 exec_lo, exec_lo, s4
	v_mov_b32_e32 v64, 0
	ds_load_b64 v[64:65], v64 offset:8
	s_waitcnt lgkmcnt(0)
	v_mul_f64 v[59:60], v[59:60], v[64:65]
	scratch_store_b64 off, v[59:60], off offset:8
.LBB92_268:
	s_or_b32 exec_lo, exec_lo, s3
	scratch_load_b64 v[59:60], off, off
	s_mov_b32 s0, 0
	s_mov_b32 s3, exec_lo
	s_waitcnt vmcnt(0)
	ds_store_b64 v62, v[59:60]
	s_waitcnt lgkmcnt(0)
	s_waitcnt_vscnt null, 0x0
	s_barrier
	buffer_gl0_inv
	v_cmpx_ne_u32_e32 0, v0
	s_cbranch_execz .LBB92_278
; %bb.269:
	s_and_not1_b32 vcc_lo, exec_lo, s2
	s_cbranch_vccnz .LBB92_271
; %bb.270:
	scratch_load_b64 v[59:60], v63, off
	ds_load_b64 v[64:65], v62
	s_waitcnt vmcnt(0) lgkmcnt(0)
	v_mul_f64 v[59:60], v[59:60], v[64:65]
	s_cbranch_execz .LBB92_272
	s_branch .LBB92_273
.LBB92_271:
                                        ; implicit-def: $vgpr59_vgpr60
.LBB92_272:
	ds_load_b64 v[59:60], v62
.LBB92_273:
	s_and_saveexec_b32 s4, s1
	s_cbranch_execz .LBB92_277
; %bb.274:
	v_or_b32_e64 v64, 0, 8
	v_add_nc_u32_e32 v65, -1, v0
	s_movk_i32 s5, 0xf8
	s_mov_b32 s1, 0
.LBB92_275:                             ; =>This Inner Loop Header: Depth=1
	scratch_load_b64 v[66:67], v64, off
	v_dual_mov_b32 v68, s5 :: v_dual_add_nc_u32 v65, -1, v65
	v_add_nc_u32_e32 v64, 8, v64
	s_add_i32 s5, s5, 8
	ds_load_b64 v[68:69], v68
	v_cmp_eq_u32_e32 vcc_lo, 0, v65
	s_or_b32 s1, vcc_lo, s1
	s_waitcnt vmcnt(0) lgkmcnt(0)
	v_fma_f64 v[59:60], v[66:67], v[68:69], v[59:60]
	s_and_not1_b32 exec_lo, exec_lo, s1
	s_cbranch_execnz .LBB92_275
; %bb.276:
	s_or_b32 exec_lo, exec_lo, s1
.LBB92_277:
	s_delay_alu instid0(SALU_CYCLE_1)
	s_or_b32 exec_lo, exec_lo, s4
	v_mov_b32_e32 v64, 0
	ds_load_b64 v[64:65], v64
	s_waitcnt lgkmcnt(0)
	v_mul_f64 v[59:60], v[59:60], v[64:65]
	scratch_store_b64 off, v[59:60], off
.LBB92_278:
	s_or_b32 exec_lo, exec_lo, s3
.LBB92_279:
	s_delay_alu instid0(SALU_CYCLE_1)
	s_and_b32 vcc_lo, exec_lo, s0
	s_cbranch_vccz .LBB92_555
; %bb.280:
	scratch_load_b64 v[59:60], off, off offset:8
	v_cmp_eq_u32_e64 s0, 0, v0
	s_waitcnt vmcnt(0)
	ds_store_b64 v62, v[59:60]
	s_waitcnt lgkmcnt(0)
	s_waitcnt_vscnt null, 0x0
	s_barrier
	buffer_gl0_inv
	s_and_saveexec_b32 s1, s0
	s_cbranch_execz .LBB92_286
; %bb.281:
	s_and_b32 vcc_lo, exec_lo, s2
	s_cbranch_vccz .LBB92_283
; %bb.282:
	scratch_load_b64 v[59:60], v63, off
	ds_load_b64 v[64:65], v62
	s_waitcnt vmcnt(0) lgkmcnt(0)
	v_mul_f64 v[59:60], v[59:60], v[64:65]
	s_cbranch_execz .LBB92_284
	s_branch .LBB92_285
.LBB92_283:
                                        ; implicit-def: $vgpr59_vgpr60
.LBB92_284:
	ds_load_b64 v[59:60], v62
.LBB92_285:
	v_mov_b32_e32 v64, 0
	ds_load_b64 v[64:65], v64 offset:8
	s_waitcnt lgkmcnt(0)
	v_mul_f64 v[59:60], v[59:60], v[64:65]
	scratch_store_b64 off, v[59:60], off offset:8
.LBB92_286:
	s_or_b32 exec_lo, exec_lo, s1
	scratch_load_b64 v[59:60], off, off offset:16
	v_cndmask_b32_e64 v64, 0, 1, s2
	s_mov_b32 s1, exec_lo
	s_waitcnt vmcnt(0)
	ds_store_b64 v62, v[59:60]
	s_waitcnt lgkmcnt(0)
	s_waitcnt_vscnt null, 0x0
	s_barrier
	buffer_gl0_inv
	v_cmpx_gt_u32_e32 2, v0
	s_cbranch_execz .LBB92_294
; %bb.287:
	s_and_not1_b32 vcc_lo, exec_lo, s2
	s_cbranch_vccnz .LBB92_289
; %bb.288:
	scratch_load_b64 v[59:60], v63, off
	ds_load_b64 v[65:66], v62
	s_waitcnt vmcnt(0) lgkmcnt(0)
	v_mul_f64 v[59:60], v[59:60], v[65:66]
	s_cbranch_execz .LBB92_290
	s_branch .LBB92_291
.LBB92_289:
                                        ; implicit-def: $vgpr59_vgpr60
.LBB92_290:
	ds_load_b64 v[59:60], v62
.LBB92_291:
	s_and_saveexec_b32 s2, s0
	s_cbranch_execz .LBB92_293
; %bb.292:
	scratch_load_b64 v[65:66], v63, off offset:8
	ds_load_b64 v[67:68], v62 offset:8
	s_waitcnt vmcnt(0) lgkmcnt(0)
	v_fma_f64 v[59:60], v[65:66], v[67:68], v[59:60]
.LBB92_293:
	s_or_b32 exec_lo, exec_lo, s2
	v_mov_b32_e32 v65, 0
	ds_load_b64 v[65:66], v65 offset:16
	s_waitcnt lgkmcnt(0)
	v_mul_f64 v[59:60], v[59:60], v[65:66]
	scratch_store_b64 off, v[59:60], off offset:16
.LBB92_294:
	s_or_b32 exec_lo, exec_lo, s1
	scratch_load_b64 v[59:60], off, off offset:24
	s_mov_b32 s1, exec_lo
	s_waitcnt vmcnt(0)
	ds_store_b64 v62, v[59:60]
	s_waitcnt lgkmcnt(0)
	s_waitcnt_vscnt null, 0x0
	s_barrier
	buffer_gl0_inv
	v_cmpx_gt_u32_e32 3, v0
	s_cbranch_execz .LBB92_304
; %bb.295:
	v_cmp_ne_u32_e32 vcc_lo, 1, v64
	s_cbranch_vccnz .LBB92_297
; %bb.296:
	scratch_load_b64 v[59:60], v63, off
	ds_load_b64 v[65:66], v62
	s_waitcnt vmcnt(0) lgkmcnt(0)
	v_mul_f64 v[59:60], v[59:60], v[65:66]
	s_cbranch_execz .LBB92_298
	s_branch .LBB92_299
.LBB92_297:
                                        ; implicit-def: $vgpr59_vgpr60
.LBB92_298:
	ds_load_b64 v[59:60], v62
.LBB92_299:
	s_mov_b32 s2, exec_lo
	v_cmpx_ne_u32_e32 2, v0
	s_cbranch_execz .LBB92_303
; %bb.300:
	scratch_load_b64 v[65:66], v63, off offset:8
	ds_load_b64 v[67:68], v62 offset:8
	s_waitcnt vmcnt(0) lgkmcnt(0)
	v_fma_f64 v[59:60], v[65:66], v[67:68], v[59:60]
	s_and_saveexec_b32 s3, s0
	s_cbranch_execz .LBB92_302
; %bb.301:
	scratch_load_b64 v[65:66], off, off offset:16
	v_mov_b32_e32 v67, 0
	ds_load_b64 v[67:68], v67 offset:256
	s_waitcnt vmcnt(0) lgkmcnt(0)
	v_fma_f64 v[59:60], v[65:66], v[67:68], v[59:60]
.LBB92_302:
	s_or_b32 exec_lo, exec_lo, s3
.LBB92_303:
	s_delay_alu instid0(SALU_CYCLE_1)
	s_or_b32 exec_lo, exec_lo, s2
	v_mov_b32_e32 v65, 0
	ds_load_b64 v[65:66], v65 offset:24
	s_waitcnt lgkmcnt(0)
	v_mul_f64 v[59:60], v[59:60], v[65:66]
	scratch_store_b64 off, v[59:60], off offset:24
.LBB92_304:
	s_or_b32 exec_lo, exec_lo, s1
	scratch_load_b64 v[59:60], off, off offset:32
	s_mov_b32 s0, exec_lo
	s_waitcnt vmcnt(0)
	ds_store_b64 v62, v[59:60]
	s_waitcnt lgkmcnt(0)
	s_waitcnt_vscnt null, 0x0
	s_barrier
	buffer_gl0_inv
	v_cmpx_gt_u32_e32 4, v0
	s_cbranch_execz .LBB92_314
; %bb.305:
	v_cmp_ne_u32_e32 vcc_lo, 1, v64
	s_cbranch_vccnz .LBB92_307
; %bb.306:
	scratch_load_b64 v[59:60], v63, off
	ds_load_b64 v[65:66], v62
	s_waitcnt vmcnt(0) lgkmcnt(0)
	v_mul_f64 v[59:60], v[59:60], v[65:66]
	s_cbranch_execz .LBB92_308
	s_branch .LBB92_309
.LBB92_307:
                                        ; implicit-def: $vgpr59_vgpr60
.LBB92_308:
	ds_load_b64 v[59:60], v62
.LBB92_309:
	s_mov_b32 s1, exec_lo
	v_cmpx_ne_u32_e32 3, v0
	s_cbranch_execz .LBB92_313
; %bb.310:
	v_add_nc_u32_e32 v65, 0xf8, v61
	v_add3_u32 v66, 0, v61, 8
	v_mov_b32_e32 v67, v0
	s_mov_b32 s2, 0
.LBB92_311:                             ; =>This Inner Loop Header: Depth=1
	scratch_load_b64 v[68:69], v66, off
	ds_load_b64 v[70:71], v65
	v_add_nc_u32_e32 v67, 1, v67
	v_add_nc_u32_e32 v65, 8, v65
	v_add_nc_u32_e32 v66, 8, v66
	s_delay_alu instid0(VALU_DEP_3)
	v_cmp_lt_u32_e32 vcc_lo, 2, v67
	s_or_b32 s2, vcc_lo, s2
	s_waitcnt vmcnt(0) lgkmcnt(0)
	v_fma_f64 v[59:60], v[68:69], v[70:71], v[59:60]
	s_and_not1_b32 exec_lo, exec_lo, s2
	s_cbranch_execnz .LBB92_311
; %bb.312:
	s_or_b32 exec_lo, exec_lo, s2
.LBB92_313:
	s_delay_alu instid0(SALU_CYCLE_1)
	s_or_b32 exec_lo, exec_lo, s1
	v_mov_b32_e32 v65, 0
	ds_load_b64 v[65:66], v65 offset:32
	s_waitcnt lgkmcnt(0)
	v_mul_f64 v[59:60], v[59:60], v[65:66]
	scratch_store_b64 off, v[59:60], off offset:32
.LBB92_314:
	s_or_b32 exec_lo, exec_lo, s0
	scratch_load_b64 v[59:60], off, off offset:40
	s_mov_b32 s0, exec_lo
	s_waitcnt vmcnt(0)
	ds_store_b64 v62, v[59:60]
	s_waitcnt lgkmcnt(0)
	s_waitcnt_vscnt null, 0x0
	s_barrier
	buffer_gl0_inv
	v_cmpx_gt_u32_e32 5, v0
	s_cbranch_execz .LBB92_324
; %bb.315:
	v_cmp_ne_u32_e32 vcc_lo, 1, v64
	s_cbranch_vccnz .LBB92_317
; %bb.316:
	scratch_load_b64 v[59:60], v63, off
	ds_load_b64 v[65:66], v62
	s_waitcnt vmcnt(0) lgkmcnt(0)
	v_mul_f64 v[59:60], v[59:60], v[65:66]
	s_cbranch_execz .LBB92_318
	s_branch .LBB92_319
.LBB92_317:
                                        ; implicit-def: $vgpr59_vgpr60
.LBB92_318:
	ds_load_b64 v[59:60], v62
.LBB92_319:
	s_mov_b32 s1, exec_lo
	v_cmpx_ne_u32_e32 4, v0
	s_cbranch_execz .LBB92_323
; %bb.320:
	v_add_nc_u32_e32 v65, 0xf8, v61
	v_add3_u32 v66, 0, v61, 8
	v_mov_b32_e32 v67, v0
	s_mov_b32 s2, 0
.LBB92_321:                             ; =>This Inner Loop Header: Depth=1
	scratch_load_b64 v[68:69], v66, off
	ds_load_b64 v[70:71], v65
	v_add_nc_u32_e32 v67, 1, v67
	v_add_nc_u32_e32 v65, 8, v65
	v_add_nc_u32_e32 v66, 8, v66
	s_delay_alu instid0(VALU_DEP_3)
	v_cmp_lt_u32_e32 vcc_lo, 3, v67
	s_or_b32 s2, vcc_lo, s2
	s_waitcnt vmcnt(0) lgkmcnt(0)
	v_fma_f64 v[59:60], v[68:69], v[70:71], v[59:60]
	s_and_not1_b32 exec_lo, exec_lo, s2
	s_cbranch_execnz .LBB92_321
; %bb.322:
	s_or_b32 exec_lo, exec_lo, s2
.LBB92_323:
	s_delay_alu instid0(SALU_CYCLE_1)
	s_or_b32 exec_lo, exec_lo, s1
	v_mov_b32_e32 v65, 0
	ds_load_b64 v[65:66], v65 offset:40
	s_waitcnt lgkmcnt(0)
	v_mul_f64 v[59:60], v[59:60], v[65:66]
	scratch_store_b64 off, v[59:60], off offset:40
.LBB92_324:
	;; [unrolled: 58-line block ×23, first 2 shown]
	s_or_b32 exec_lo, exec_lo, s0
	scratch_load_b64 v[59:60], off, off offset:216
	v_cmp_gt_u32_e64 s0, 27, v0
	s_waitcnt vmcnt(0)
	ds_store_b64 v62, v[59:60]
	s_waitcnt lgkmcnt(0)
	s_waitcnt_vscnt null, 0x0
	s_barrier
	buffer_gl0_inv
	s_and_saveexec_b32 s1, s0
	s_cbranch_execz .LBB92_544
; %bb.535:
	v_cmp_ne_u32_e32 vcc_lo, 1, v64
	s_cbranch_vccnz .LBB92_537
; %bb.536:
	scratch_load_b64 v[59:60], v63, off
	ds_load_b64 v[65:66], v62
	s_waitcnt vmcnt(0) lgkmcnt(0)
	v_mul_f64 v[59:60], v[59:60], v[65:66]
	s_cbranch_execz .LBB92_538
	s_branch .LBB92_539
.LBB92_537:
                                        ; implicit-def: $vgpr59_vgpr60
.LBB92_538:
	ds_load_b64 v[59:60], v62
.LBB92_539:
	s_mov_b32 s2, exec_lo
	v_cmpx_ne_u32_e32 26, v0
	s_cbranch_execz .LBB92_543
; %bb.540:
	v_add_nc_u32_e32 v65, 0xf8, v61
	v_add3_u32 v66, 0, v61, 8
	v_mov_b32_e32 v67, v0
	s_mov_b32 s3, 0
.LBB92_541:                             ; =>This Inner Loop Header: Depth=1
	scratch_load_b64 v[68:69], v66, off
	ds_load_b64 v[70:71], v65
	v_add_nc_u32_e32 v67, 1, v67
	v_add_nc_u32_e32 v65, 8, v65
	v_add_nc_u32_e32 v66, 8, v66
	s_delay_alu instid0(VALU_DEP_3)
	v_cmp_lt_u32_e32 vcc_lo, 25, v67
	s_or_b32 s3, vcc_lo, s3
	s_waitcnt vmcnt(0) lgkmcnt(0)
	v_fma_f64 v[59:60], v[68:69], v[70:71], v[59:60]
	s_and_not1_b32 exec_lo, exec_lo, s3
	s_cbranch_execnz .LBB92_541
; %bb.542:
	s_or_b32 exec_lo, exec_lo, s3
.LBB92_543:
	s_delay_alu instid0(SALU_CYCLE_1)
	s_or_b32 exec_lo, exec_lo, s2
	v_mov_b32_e32 v65, 0
	ds_load_b64 v[65:66], v65 offset:216
	s_waitcnt lgkmcnt(0)
	v_mul_f64 v[59:60], v[59:60], v[65:66]
	scratch_store_b64 off, v[59:60], off offset:216
.LBB92_544:
	s_or_b32 exec_lo, exec_lo, s1
	scratch_load_b64 v[59:60], off, off offset:224
	s_mov_b32 s1, exec_lo
	s_waitcnt vmcnt(0)
	ds_store_b64 v62, v[59:60]
	s_waitcnt lgkmcnt(0)
	s_waitcnt_vscnt null, 0x0
	s_barrier
	buffer_gl0_inv
	v_cmpx_ne_u32_e32 28, v0
	s_cbranch_execz .LBB92_554
; %bb.545:
	v_cmp_ne_u32_e32 vcc_lo, 1, v64
	s_cbranch_vccnz .LBB92_547
; %bb.546:
	scratch_load_b64 v[59:60], v63, off
	ds_load_b64 v[63:64], v62
	s_waitcnt vmcnt(0) lgkmcnt(0)
	v_mul_f64 v[59:60], v[59:60], v[63:64]
	s_cbranch_execz .LBB92_548
	s_branch .LBB92_549
.LBB92_547:
                                        ; implicit-def: $vgpr59_vgpr60
.LBB92_548:
	ds_load_b64 v[59:60], v62
.LBB92_549:
	s_and_saveexec_b32 s2, s0
	s_cbranch_execz .LBB92_553
; %bb.550:
	v_add_nc_u32_e32 v62, 0xf8, v61
	v_add3_u32 v61, 0, v61, 8
	s_mov_b32 s0, 0
.LBB92_551:                             ; =>This Inner Loop Header: Depth=1
	scratch_load_b64 v[63:64], v61, off
	ds_load_b64 v[65:66], v62
	v_add_nc_u32_e32 v0, 1, v0
	v_add_nc_u32_e32 v62, 8, v62
	;; [unrolled: 1-line block ×3, first 2 shown]
	s_delay_alu instid0(VALU_DEP_3)
	v_cmp_lt_u32_e32 vcc_lo, 26, v0
	s_or_b32 s0, vcc_lo, s0
	s_waitcnt vmcnt(0) lgkmcnt(0)
	v_fma_f64 v[59:60], v[63:64], v[65:66], v[59:60]
	s_and_not1_b32 exec_lo, exec_lo, s0
	s_cbranch_execnz .LBB92_551
; %bb.552:
	s_or_b32 exec_lo, exec_lo, s0
.LBB92_553:
	s_delay_alu instid0(SALU_CYCLE_1)
	s_or_b32 exec_lo, exec_lo, s2
	v_mov_b32_e32 v0, 0
	ds_load_b64 v[61:62], v0 offset:224
	s_waitcnt lgkmcnt(0)
	v_mul_f64 v[59:60], v[59:60], v[61:62]
	scratch_store_b64 off, v[59:60], off offset:224
.LBB92_554:
	s_or_b32 exec_lo, exec_lo, s1
.LBB92_555:
	s_clause 0xa
	scratch_load_b128 v[59:62], off, off
	scratch_load_b128 v[63:66], off, off offset:16
	scratch_load_b128 v[67:70], off, off offset:32
	;; [unrolled: 1-line block ×10, first 2 shown]
	s_waitcnt vmcnt(10)
	s_clause 0x1
	global_store_b64 v[19:20], v[59:60], off
	global_store_b64 v[15:16], v[61:62], off
	s_waitcnt vmcnt(9)
	s_clause 0x1
	global_store_b64 v[11:12], v[63:64], off
	global_store_b64 v[7:8], v[65:66], off
	scratch_load_b128 v[63:66], off, off offset:176
	s_waitcnt vmcnt(9)
	s_clause 0x1
	global_store_b64 v[1:2], v[67:68], off
	global_store_b64 v[9:10], v[69:70], off
	s_clause 0x2
	scratch_load_b128 v[59:62], off, off offset:144
	scratch_load_b128 v[7:10], off, off offset:208
	scratch_load_b64 v[0:1], off, off offset:224
	s_waitcnt vmcnt(11)
	s_clause 0x1
	global_store_b64 v[3:4], v[71:72], off
	global_store_b64 v[5:6], v[73:74], off
	s_waitcnt vmcnt(10)
	s_clause 0x1
	global_store_b64 v[13:14], v[75:76], off
	global_store_b64 v[17:18], v[77:78], off
	;; [unrolled: 4-line block ×7, first 2 shown]
	global_store_b64 v[41:42], v[95:96], off
	global_store_b64 v[43:44], v[97:98], off
	;; [unrolled: 1-line block ×6, first 2 shown]
	s_waitcnt vmcnt(1)
	s_clause 0x1
	global_store_b64 v[53:54], v[7:8], off
	global_store_b64 v[55:56], v[9:10], off
	s_waitcnt vmcnt(0)
	global_store_b64 v[57:58], v[0:1], off
.LBB92_556:
	s_endpgm
	.section	.rodata,"a",@progbits
	.p2align	6, 0x0
	.amdhsa_kernel _ZN9rocsolver6v33100L18trti2_kernel_smallILi29EdPKPdEEv13rocblas_fill_17rocblas_diagonal_T1_iil
		.amdhsa_group_segment_fixed_size 472
		.amdhsa_private_segment_fixed_size 240
		.amdhsa_kernarg_size 32
		.amdhsa_user_sgpr_count 15
		.amdhsa_user_sgpr_dispatch_ptr 0
		.amdhsa_user_sgpr_queue_ptr 0
		.amdhsa_user_sgpr_kernarg_segment_ptr 1
		.amdhsa_user_sgpr_dispatch_id 0
		.amdhsa_user_sgpr_private_segment_size 0
		.amdhsa_wavefront_size32 1
		.amdhsa_uses_dynamic_stack 0
		.amdhsa_enable_private_segment 1
		.amdhsa_system_sgpr_workgroup_id_x 1
		.amdhsa_system_sgpr_workgroup_id_y 0
		.amdhsa_system_sgpr_workgroup_id_z 0
		.amdhsa_system_sgpr_workgroup_info 0
		.amdhsa_system_vgpr_workitem_id 0
		.amdhsa_next_free_vgpr 103
		.amdhsa_next_free_sgpr 16
		.amdhsa_reserve_vcc 1
		.amdhsa_float_round_mode_32 0
		.amdhsa_float_round_mode_16_64 0
		.amdhsa_float_denorm_mode_32 3
		.amdhsa_float_denorm_mode_16_64 3
		.amdhsa_dx10_clamp 1
		.amdhsa_ieee_mode 1
		.amdhsa_fp16_overflow 0
		.amdhsa_workgroup_processor_mode 1
		.amdhsa_memory_ordered 1
		.amdhsa_forward_progress 0
		.amdhsa_shared_vgpr_count 0
		.amdhsa_exception_fp_ieee_invalid_op 0
		.amdhsa_exception_fp_denorm_src 0
		.amdhsa_exception_fp_ieee_div_zero 0
		.amdhsa_exception_fp_ieee_overflow 0
		.amdhsa_exception_fp_ieee_underflow 0
		.amdhsa_exception_fp_ieee_inexact 0
		.amdhsa_exception_int_div_zero 0
	.end_amdhsa_kernel
	.section	.text._ZN9rocsolver6v33100L18trti2_kernel_smallILi29EdPKPdEEv13rocblas_fill_17rocblas_diagonal_T1_iil,"axG",@progbits,_ZN9rocsolver6v33100L18trti2_kernel_smallILi29EdPKPdEEv13rocblas_fill_17rocblas_diagonal_T1_iil,comdat
.Lfunc_end92:
	.size	_ZN9rocsolver6v33100L18trti2_kernel_smallILi29EdPKPdEEv13rocblas_fill_17rocblas_diagonal_T1_iil, .Lfunc_end92-_ZN9rocsolver6v33100L18trti2_kernel_smallILi29EdPKPdEEv13rocblas_fill_17rocblas_diagonal_T1_iil
                                        ; -- End function
	.section	.AMDGPU.csdata,"",@progbits
; Kernel info:
; codeLenInByte = 15604
; NumSgprs: 18
; NumVgprs: 103
; ScratchSize: 240
; MemoryBound: 0
; FloatMode: 240
; IeeeMode: 1
; LDSByteSize: 472 bytes/workgroup (compile time only)
; SGPRBlocks: 2
; VGPRBlocks: 12
; NumSGPRsForWavesPerEU: 18
; NumVGPRsForWavesPerEU: 103
; Occupancy: 12
; WaveLimiterHint : 1
; COMPUTE_PGM_RSRC2:SCRATCH_EN: 1
; COMPUTE_PGM_RSRC2:USER_SGPR: 15
; COMPUTE_PGM_RSRC2:TRAP_HANDLER: 0
; COMPUTE_PGM_RSRC2:TGID_X_EN: 1
; COMPUTE_PGM_RSRC2:TGID_Y_EN: 0
; COMPUTE_PGM_RSRC2:TGID_Z_EN: 0
; COMPUTE_PGM_RSRC2:TIDIG_COMP_CNT: 0
	.section	.text._ZN9rocsolver6v33100L18trti2_kernel_smallILi30EdPKPdEEv13rocblas_fill_17rocblas_diagonal_T1_iil,"axG",@progbits,_ZN9rocsolver6v33100L18trti2_kernel_smallILi30EdPKPdEEv13rocblas_fill_17rocblas_diagonal_T1_iil,comdat
	.globl	_ZN9rocsolver6v33100L18trti2_kernel_smallILi30EdPKPdEEv13rocblas_fill_17rocblas_diagonal_T1_iil ; -- Begin function _ZN9rocsolver6v33100L18trti2_kernel_smallILi30EdPKPdEEv13rocblas_fill_17rocblas_diagonal_T1_iil
	.p2align	8
	.type	_ZN9rocsolver6v33100L18trti2_kernel_smallILi30EdPKPdEEv13rocblas_fill_17rocblas_diagonal_T1_iil,@function
_ZN9rocsolver6v33100L18trti2_kernel_smallILi30EdPKPdEEv13rocblas_fill_17rocblas_diagonal_T1_iil: ; @_ZN9rocsolver6v33100L18trti2_kernel_smallILi30EdPKPdEEv13rocblas_fill_17rocblas_diagonal_T1_iil
; %bb.0:
	s_mov_b32 s2, exec_lo
	v_cmpx_gt_u32_e32 30, v0
	s_cbranch_execz .LBB93_576
; %bb.1:
	s_clause 0x1
	s_load_b64 s[4:5], s[0:1], 0x10
	s_load_b128 s[0:3], s[0:1], 0x0
	s_mov_b32 s6, s15
	s_ashr_i32 s7, s15, 31
	v_lshlrev_b32_e32 v63, 3, v0
	s_lshl_b64 s[6:7], s[6:7], 3
	s_waitcnt lgkmcnt(0)
	s_ashr_i32 s9, s4, 31
	s_add_u32 s2, s2, s6
	s_addc_u32 s3, s3, s7
	s_mov_b32 s8, s4
	s_load_b64 s[2:3], s[2:3], 0x0
	s_lshl_b64 s[6:7], s[8:9], 3
	v_add3_u32 v5, s5, s5, v0
	s_mov_b32 s8, s5
	s_delay_alu instid0(VALU_DEP_1) | instskip(SKIP_1) | instid1(VALU_DEP_2)
	v_add_nc_u32_e32 v9, s5, v5
	v_ashrrev_i32_e32 v6, 31, v5
	v_ashrrev_i32_e32 v10, 31, v9
	s_delay_alu instid0(VALU_DEP_2) | instskip(NEXT) | instid1(VALU_DEP_2)
	v_lshlrev_b64 v[5:6], 3, v[5:6]
	v_lshlrev_b64 v[7:8], 3, v[9:10]
	v_add_nc_u32_e32 v9, s5, v9
	s_waitcnt lgkmcnt(0)
	s_add_u32 s2, s2, s6
	s_addc_u32 s3, s3, s7
	v_add_co_u32 v1, s4, s2, v63
	s_ashr_i32 s9, s5, 31
	v_add_co_ci_u32_e64 v2, null, s3, 0, s4
	s_lshl_b64 s[6:7], s[8:9], 3
	v_add_nc_u32_e32 v11, s5, v9
	v_add_co_u32 v3, vcc_lo, v1, s6
	s_delay_alu instid0(VALU_DEP_3)
	v_add_co_ci_u32_e32 v4, vcc_lo, s7, v2, vcc_lo
	s_clause 0x1
	global_load_b64 v[31:32], v63, s[2:3]
	global_load_b64 v[33:34], v[3:4], off
	v_add_co_u32 v5, vcc_lo, s2, v5
	v_add_co_ci_u32_e32 v6, vcc_lo, s3, v6, vcc_lo
	v_add_co_u32 v7, vcc_lo, s2, v7
	v_add_co_ci_u32_e32 v8, vcc_lo, s3, v8, vcc_lo
	s_clause 0x1
	global_load_b64 v[35:36], v[5:6], off
	global_load_b64 v[37:38], v[7:8], off
	v_add_nc_u32_e32 v13, s5, v11
	v_ashrrev_i32_e32 v10, 31, v9
	v_ashrrev_i32_e32 v12, 31, v11
	s_cmpk_lg_i32 s1, 0x84
	s_delay_alu instid0(VALU_DEP_3) | instskip(NEXT) | instid1(VALU_DEP_3)
	v_add_nc_u32_e32 v15, s5, v13
	v_lshlrev_b64 v[9:10], 3, v[9:10]
	v_ashrrev_i32_e32 v14, 31, v13
	v_lshlrev_b64 v[11:12], 3, v[11:12]
	s_delay_alu instid0(VALU_DEP_4) | instskip(SKIP_3) | instid1(VALU_DEP_4)
	v_add_nc_u32_e32 v17, s5, v15
	v_ashrrev_i32_e32 v16, 31, v15
	v_add_co_u32 v9, vcc_lo, s2, v9
	v_lshlrev_b64 v[13:14], 3, v[13:14]
	v_add_nc_u32_e32 v19, s5, v17
	v_ashrrev_i32_e32 v18, 31, v17
	v_add_co_ci_u32_e32 v10, vcc_lo, s3, v10, vcc_lo
	v_add_co_u32 v11, vcc_lo, s2, v11
	s_delay_alu instid0(VALU_DEP_4) | instskip(SKIP_3) | instid1(VALU_DEP_4)
	v_add_nc_u32_e32 v21, s5, v19
	v_lshlrev_b64 v[15:16], 3, v[15:16]
	v_ashrrev_i32_e32 v20, 31, v19
	v_add_co_ci_u32_e32 v12, vcc_lo, s3, v12, vcc_lo
	v_add_nc_u32_e32 v23, s5, v21
	v_add_co_u32 v13, vcc_lo, s2, v13
	v_lshlrev_b64 v[17:18], 3, v[17:18]
	v_ashrrev_i32_e32 v22, 31, v21
	s_delay_alu instid0(VALU_DEP_4) | instskip(SKIP_2) | instid1(VALU_DEP_3)
	v_add_nc_u32_e32 v25, s5, v23
	v_add_co_ci_u32_e32 v14, vcc_lo, s3, v14, vcc_lo
	v_add_co_u32 v15, vcc_lo, s2, v15
	v_add_nc_u32_e32 v27, s5, v25
	v_lshlrev_b64 v[19:20], 3, v[19:20]
	v_add_co_ci_u32_e32 v16, vcc_lo, s3, v16, vcc_lo
	s_clause 0x1
	global_load_b64 v[41:42], v[11:12], off
	global_load_b64 v[39:40], v[9:10], off
	v_add_nc_u32_e32 v43, s5, v27
	v_add_co_u32 v17, vcc_lo, s2, v17
	v_lshlrev_b64 v[21:22], 3, v[21:22]
	v_ashrrev_i32_e32 v24, 31, v23
	s_delay_alu instid0(VALU_DEP_4) | instskip(SKIP_2) | instid1(VALU_DEP_3)
	v_add_nc_u32_e32 v61, s5, v43
	v_add_co_ci_u32_e32 v18, vcc_lo, s3, v18, vcc_lo
	v_add_co_u32 v19, vcc_lo, s2, v19
	v_add_nc_u32_e32 v64, s5, v61
	v_ashrrev_i32_e32 v26, 31, v25
	v_add_co_ci_u32_e32 v20, vcc_lo, s3, v20, vcc_lo
	v_lshlrev_b64 v[29:30], 3, v[23:24]
	s_delay_alu instid0(VALU_DEP_4) | instskip(SKIP_2) | instid1(VALU_DEP_3)
	v_add_nc_u32_e32 v72, s5, v64
	v_add_co_u32 v23, vcc_lo, s2, v21
	v_add_co_ci_u32_e32 v24, vcc_lo, s3, v22, vcc_lo
	v_add_nc_u32_e32 v74, s5, v72
	v_lshlrev_b64 v[21:22], 3, v[25:26]
	v_ashrrev_i32_e32 v28, 31, v27
	v_add_co_u32 v25, vcc_lo, s2, v29
	s_delay_alu instid0(VALU_DEP_4)
	v_add_nc_u32_e32 v76, s5, v74
	s_clause 0x3
	global_load_b64 v[45:46], v[13:14], off
	global_load_b64 v[47:48], v[15:16], off
	;; [unrolled: 1-line block ×4, first 2 shown]
	v_add_co_ci_u32_e32 v26, vcc_lo, s3, v30, vcc_lo
	v_add_nc_u32_e32 v78, s5, v76
	v_lshlrev_b64 v[29:30], 3, v[27:28]
	v_add_co_u32 v27, vcc_lo, s2, v21
	v_add_co_ci_u32_e32 v28, vcc_lo, s3, v22, vcc_lo
	s_delay_alu instid0(VALU_DEP_4)
	v_add_nc_u32_e32 v80, s5, v78
	v_ashrrev_i32_e32 v44, 31, v43
	v_ashrrev_i32_e32 v62, 31, v61
	;; [unrolled: 1-line block ×4, first 2 shown]
	v_add_nc_u32_e32 v82, s5, v80
	v_ashrrev_i32_e32 v75, 31, v74
	v_ashrrev_i32_e32 v77, 31, v76
	;; [unrolled: 1-line block ×4, first 2 shown]
	v_add_nc_u32_e32 v84, s5, v82
	v_ashrrev_i32_e32 v83, 31, v82
	s_delay_alu instid0(VALU_DEP_2) | instskip(SKIP_1) | instid1(VALU_DEP_2)
	v_add_nc_u32_e32 v86, s5, v84
	v_ashrrev_i32_e32 v85, 31, v84
	v_add_nc_u32_e32 v88, s5, v86
	v_ashrrev_i32_e32 v87, 31, v86
	s_delay_alu instid0(VALU_DEP_2) | instskip(SKIP_1) | instid1(VALU_DEP_2)
	v_add_nc_u32_e32 v90, s5, v88
	v_ashrrev_i32_e32 v89, 31, v88
	v_add_nc_u32_e32 v92, s5, v90
	v_ashrrev_i32_e32 v91, 31, v90
	s_delay_alu instid0(VALU_DEP_2) | instskip(SKIP_1) | instid1(VALU_DEP_2)
	v_add_nc_u32_e32 v94, s5, v92
	v_ashrrev_i32_e32 v93, 31, v92
	v_add_nc_u32_e32 v53, s5, v94
	v_ashrrev_i32_e32 v95, 31, v94
	s_delay_alu instid0(VALU_DEP_2) | instskip(NEXT) | instid1(VALU_DEP_1)
	v_ashrrev_i32_e32 v54, 31, v53
	v_lshlrev_b64 v[53:54], 3, v[53:54]
	s_delay_alu instid0(VALU_DEP_1) | instskip(NEXT) | instid1(VALU_DEP_2)
	v_add_co_u32 v21, vcc_lo, s2, v53
	v_add_co_ci_u32_e32 v22, vcc_lo, s3, v54, vcc_lo
	v_add_co_u32 v29, vcc_lo, s2, v29
	v_add_co_ci_u32_e32 v30, vcc_lo, s3, v30, vcc_lo
	global_load_b64 v[66:67], v[21:22], off
	s_waitcnt vmcnt(9)
	scratch_store_b128 off, v[31:34], off
	v_lshlrev_b64 v[31:32], 3, v[43:44]
	s_clause 0x3
	global_load_b64 v[53:54], v[23:24], off
	global_load_b64 v[55:56], v[25:26], off
	;; [unrolled: 1-line block ×4, first 2 shown]
	v_lshlrev_b64 v[33:34], 3, v[61:62]
	v_lshlrev_b64 v[43:44], 3, v[74:75]
	;; [unrolled: 1-line block ×3, first 2 shown]
	v_add_co_u32 v31, vcc_lo, s2, v31
	v_add_co_ci_u32_e32 v32, vcc_lo, s3, v32, vcc_lo
	v_add_co_u32 v33, vcc_lo, s2, v33
	v_add_co_ci_u32_e32 v34, vcc_lo, s3, v34, vcc_lo
	s_waitcnt vmcnt(11)
	scratch_store_b128 off, v[35:38], off offset:16
	s_clause 0x1
	global_load_b64 v[68:69], v[31:32], off
	global_load_b64 v[70:71], v[33:34], off
	v_lshlrev_b64 v[35:36], 3, v[64:65]
	v_lshlrev_b64 v[37:38], 3, v[72:73]
	;; [unrolled: 1-line block ×3, first 2 shown]
	s_delay_alu instid0(VALU_DEP_3) | instskip(NEXT) | instid1(VALU_DEP_4)
	v_add_co_u32 v35, vcc_lo, s2, v35
	v_add_co_ci_u32_e32 v36, vcc_lo, s3, v36, vcc_lo
	s_delay_alu instid0(VALU_DEP_4)
	v_add_co_u32 v37, vcc_lo, s2, v37
	v_add_co_ci_u32_e32 v38, vcc_lo, s3, v38, vcc_lo
	global_load_b64 v[72:73], v[35:36], off
	s_waitcnt vmcnt(12)
	scratch_store_b128 off, v[39:42], off offset:32
	v_lshlrev_b64 v[41:42], 3, v[76:77]
	v_add_co_u32 v39, vcc_lo, s2, v43
	v_add_co_ci_u32_e32 v40, vcc_lo, s3, v44, vcc_lo
	v_lshlrev_b64 v[43:44], 3, v[78:79]
	s_delay_alu instid0(VALU_DEP_4)
	v_add_co_u32 v41, vcc_lo, s2, v41
	v_add_co_ci_u32_e32 v42, vcc_lo, s3, v42, vcc_lo
	s_waitcnt vmcnt(10)
	scratch_store_b128 off, v[45:48], off offset:48
	s_waitcnt vmcnt(8)
	scratch_store_b128 off, v[49:52], off offset:64
	v_add_co_u32 v43, vcc_lo, s2, v43
	v_add_co_ci_u32_e32 v44, vcc_lo, s3, v44, vcc_lo
	v_add_co_u32 v45, vcc_lo, s2, v61
	v_lshlrev_b64 v[49:50], 3, v[84:85]
	v_add_co_ci_u32_e32 v46, vcc_lo, s3, v62, vcc_lo
	v_add_co_u32 v47, vcc_lo, s2, v64
	v_lshlrev_b64 v[51:52], 3, v[86:87]
	;; [unrolled: 3-line block ×4, first 2 shown]
	v_add_co_ci_u32_e32 v52, vcc_lo, s3, v52, vcc_lo
	s_clause 0x3
	global_load_b64 v[74:75], v[37:38], off
	global_load_b64 v[76:77], v[39:40], off
	;; [unrolled: 1-line block ×4, first 2 shown]
	s_waitcnt vmcnt(9)
	scratch_store_b128 off, v[53:56], off offset:80
	s_waitcnt vmcnt(7)
	scratch_store_b128 off, v[57:60], off offset:96
	v_add_co_u32 v55, vcc_lo, s2, v61
	v_lshlrev_b64 v[53:54], 3, v[92:93]
	v_add_co_ci_u32_e32 v56, vcc_lo, s3, v62, vcc_lo
	v_add_co_u32 v57, vcc_lo, s2, v64
	v_lshlrev_b64 v[61:62], 3, v[94:95]
	v_add_co_ci_u32_e32 v58, vcc_lo, s3, v65, vcc_lo
	v_add_co_u32 v59, vcc_lo, s2, v53
	v_add_co_ci_u32_e32 v60, vcc_lo, s3, v54, vcc_lo
	s_delay_alu instid0(VALU_DEP_4)
	v_add_co_u32 v53, vcc_lo, s2, v61
	v_add_co_ci_u32_e32 v54, vcc_lo, s3, v62, vcc_lo
	s_clause 0x3
	global_load_b64 v[82:83], v[45:46], off
	global_load_b64 v[84:85], v[47:48], off
	;; [unrolled: 1-line block ×4, first 2 shown]
	s_waitcnt vmcnt(9)
	scratch_store_b128 off, v[68:71], off offset:112
	s_clause 0x3
	global_load_b64 v[90:91], v[55:56], off
	global_load_b64 v[68:69], v[57:58], off
	;; [unrolled: 1-line block ×4, first 2 shown]
	v_mov_b32_e32 v61, 0
	v_mov_b32_e32 v62, 0xbff00000
	s_cselect_b32 s2, -1, 0
	s_cmpk_eq_i32 s1, 0x84
	s_waitcnt vmcnt(11)
	scratch_store_b128 off, v[72:75], off offset:128
	s_waitcnt vmcnt(9)
	scratch_store_b128 off, v[76:79], off offset:144
	;; [unrolled: 2-line block ×7, first 2 shown]
	s_cbranch_scc1 .LBB93_3
; %bb.2:
	scratch_load_b64 v[61:62], v63, off
	s_waitcnt vmcnt(0)
	v_div_scale_f64 v[64:65], null, v[61:62], v[61:62], 1.0
	v_div_scale_f64 v[70:71], vcc_lo, 1.0, v[61:62], 1.0
	s_delay_alu instid0(VALU_DEP_2) | instskip(SKIP_2) | instid1(VALU_DEP_1)
	v_rcp_f64_e32 v[66:67], v[64:65]
	s_waitcnt_depctr 0xfff
	v_fma_f64 v[68:69], -v[64:65], v[66:67], 1.0
	v_fma_f64 v[66:67], v[66:67], v[68:69], v[66:67]
	s_delay_alu instid0(VALU_DEP_1) | instskip(NEXT) | instid1(VALU_DEP_1)
	v_fma_f64 v[68:69], -v[64:65], v[66:67], 1.0
	v_fma_f64 v[66:67], v[66:67], v[68:69], v[66:67]
	s_delay_alu instid0(VALU_DEP_1) | instskip(NEXT) | instid1(VALU_DEP_1)
	v_mul_f64 v[68:69], v[70:71], v[66:67]
	v_fma_f64 v[64:65], -v[64:65], v[68:69], v[70:71]
	s_delay_alu instid0(VALU_DEP_1) | instskip(NEXT) | instid1(VALU_DEP_1)
	v_div_fmas_f64 v[64:65], v[64:65], v[66:67], v[68:69]
	v_div_fixup_f64 v[61:62], v[64:65], v[61:62], 1.0
	scratch_store_b64 v63, v[61:62], off
	v_xor_b32_e32 v62, 0x80000000, v62
.LBB93_3:
	v_add_nc_u32_e32 v64, 0xf0, v63
	v_add_nc_u32_e32 v65, 0, v63
	s_cmpk_eq_i32 s0, 0x79
	s_mov_b32 s0, -1
	ds_store_b64 v63, v[61:62]
	s_cbranch_scc1 .LBB93_289
; %bb.4:
	scratch_load_b64 v[61:62], off, off offset:224
	v_cmp_eq_u32_e64 s0, 29, v0
	s_movk_i32 s1, 0x50
	s_movk_i32 s3, 0x60
	;; [unrolled: 1-line block ×9, first 2 shown]
	s_waitcnt vmcnt(0)
	ds_store_b64 v64, v[61:62]
	s_waitcnt lgkmcnt(0)
	s_waitcnt_vscnt null, 0x0
	s_barrier
	buffer_gl0_inv
	s_and_saveexec_b32 s11, s0
	s_cbranch_execz .LBB93_10
; %bb.5:
	s_and_b32 vcc_lo, exec_lo, s2
	s_cbranch_vccz .LBB93_7
; %bb.6:
	scratch_load_b64 v[61:62], v65, off
	ds_load_b64 v[66:67], v64
	s_waitcnt vmcnt(0) lgkmcnt(0)
	v_mul_f64 v[61:62], v[61:62], v[66:67]
	s_cbranch_execz .LBB93_8
	s_branch .LBB93_9
.LBB93_7:
                                        ; implicit-def: $vgpr61_vgpr62
.LBB93_8:
	ds_load_b64 v[61:62], v64
.LBB93_9:
	v_mov_b32_e32 v66, 0
	ds_load_b64 v[66:67], v66 offset:224
	s_waitcnt lgkmcnt(0)
	v_mul_f64 v[61:62], v[61:62], v[66:67]
	scratch_store_b64 off, v[61:62], off offset:224
.LBB93_10:
	s_or_b32 exec_lo, exec_lo, s11
	scratch_load_b64 v[61:62], off, off offset:216
	v_add_nc_u32_e64 v66, 0, 16
	v_add_nc_u32_e64 v67, 0, 32
	v_add_nc_u32_e64 v68, 0, 48
	v_add_nc_u32_e64 v69, 0, 64
	v_add_nc_u32_e64 v70, s1, 0
	v_add_nc_u32_e64 v71, s3, 0
	v_add_nc_u32_e64 v72, s4, 0
	v_add_nc_u32_e64 v73, s5, 0
	v_add_nc_u32_e64 v74, s6, 0
	v_add_nc_u32_e64 v75, s7, 0
	v_add_nc_u32_e64 v76, s8, 0
	v_add_nc_u32_e64 v77, s9, 0
	v_add_nc_u32_e64 v78, s10, 0
	v_cmp_lt_u32_e64 s1, 27, v0
	s_waitcnt vmcnt(0)
	ds_store_b64 v64, v[61:62]
	s_waitcnt lgkmcnt(0)
	s_waitcnt_vscnt null, 0x0
	s_barrier
	buffer_gl0_inv
	s_and_saveexec_b32 s3, s1
	s_cbranch_execz .LBB93_18
; %bb.11:
	s_and_not1_b32 vcc_lo, exec_lo, s2
	s_cbranch_vccnz .LBB93_13
; %bb.12:
	scratch_load_b64 v[61:62], v65, off
	ds_load_b64 v[79:80], v64
	s_waitcnt vmcnt(0) lgkmcnt(0)
	v_mul_f64 v[61:62], v[61:62], v[79:80]
	s_cbranch_execz .LBB93_14
	s_branch .LBB93_15
.LBB93_13:
                                        ; implicit-def: $vgpr61_vgpr62
.LBB93_14:
	ds_load_b64 v[61:62], v64
.LBB93_15:
	s_and_saveexec_b32 s4, s0
	s_cbranch_execz .LBB93_17
; %bb.16:
	scratch_load_b64 v[79:80], off, off offset:224
	v_mov_b32_e32 v81, 0
	ds_load_b64 v[81:82], v81 offset:464
	s_waitcnt vmcnt(0) lgkmcnt(0)
	v_fma_f64 v[61:62], v[79:80], v[81:82], v[61:62]
.LBB93_17:
	s_or_b32 exec_lo, exec_lo, s4
	v_mov_b32_e32 v79, 0
	ds_load_b64 v[79:80], v79 offset:216
	s_waitcnt lgkmcnt(0)
	v_mul_f64 v[61:62], v[61:62], v[79:80]
	scratch_store_b64 off, v[61:62], off offset:216
.LBB93_18:
	s_or_b32 exec_lo, exec_lo, s3
	scratch_load_b64 v[61:62], off, off offset:208
	v_cmp_lt_u32_e64 s0, 26, v0
	s_waitcnt vmcnt(0)
	ds_store_b64 v64, v[61:62]
	s_waitcnt lgkmcnt(0)
	s_waitcnt_vscnt null, 0x0
	s_barrier
	buffer_gl0_inv
	s_and_saveexec_b32 s3, s0
	s_cbranch_execz .LBB93_28
; %bb.19:
	s_and_not1_b32 vcc_lo, exec_lo, s2
	s_cbranch_vccnz .LBB93_21
; %bb.20:
	scratch_load_b64 v[61:62], v65, off
	ds_load_b64 v[79:80], v64
	s_waitcnt vmcnt(0) lgkmcnt(0)
	v_mul_f64 v[61:62], v[61:62], v[79:80]
	s_cbranch_execz .LBB93_22
	s_branch .LBB93_23
.LBB93_21:
                                        ; implicit-def: $vgpr61_vgpr62
.LBB93_22:
	ds_load_b64 v[61:62], v64
.LBB93_23:
	s_and_saveexec_b32 s4, s1
	s_cbranch_execz .LBB93_27
; %bb.24:
	v_mov_b32_e32 v79, 0
	v_subrev_nc_u32_e32 v80, 27, v0
	s_movk_i32 s5, 0x1c8
	s_mov_b32 s1, 0
	s_delay_alu instid0(VALU_DEP_2)
	v_add_nc_u32_e32 v79, 0xd8, v79
.LBB93_25:                              ; =>This Inner Loop Header: Depth=1
	scratch_load_b64 v[81:82], v79, off
	v_dual_mov_b32 v83, s5 :: v_dual_add_nc_u32 v80, -1, v80
	v_add_nc_u32_e32 v79, 8, v79
	s_add_i32 s5, s5, 8
	ds_load_b64 v[83:84], v83
	v_cmp_eq_u32_e32 vcc_lo, 0, v80
	s_or_b32 s1, vcc_lo, s1
	s_waitcnt vmcnt(0) lgkmcnt(0)
	v_fma_f64 v[61:62], v[81:82], v[83:84], v[61:62]
	s_and_not1_b32 exec_lo, exec_lo, s1
	s_cbranch_execnz .LBB93_25
; %bb.26:
	s_or_b32 exec_lo, exec_lo, s1
.LBB93_27:
	s_delay_alu instid0(SALU_CYCLE_1)
	s_or_b32 exec_lo, exec_lo, s4
	v_mov_b32_e32 v79, 0
	ds_load_b64 v[79:80], v79 offset:208
	s_waitcnt lgkmcnt(0)
	v_mul_f64 v[61:62], v[61:62], v[79:80]
	scratch_store_b64 off, v[61:62], off offset:208
.LBB93_28:
	s_or_b32 exec_lo, exec_lo, s3
	scratch_load_b64 v[61:62], off, off offset:200
	v_cmp_lt_u32_e64 s1, 25, v0
	s_waitcnt vmcnt(0)
	ds_store_b64 v64, v[61:62]
	s_waitcnt lgkmcnt(0)
	s_waitcnt_vscnt null, 0x0
	s_barrier
	buffer_gl0_inv
	s_and_saveexec_b32 s3, s1
	s_cbranch_execz .LBB93_38
; %bb.29:
	s_and_not1_b32 vcc_lo, exec_lo, s2
	s_cbranch_vccnz .LBB93_31
; %bb.30:
	scratch_load_b64 v[61:62], v65, off
	ds_load_b64 v[79:80], v64
	s_waitcnt vmcnt(0) lgkmcnt(0)
	v_mul_f64 v[61:62], v[61:62], v[79:80]
	s_cbranch_execz .LBB93_32
	s_branch .LBB93_33
.LBB93_31:
                                        ; implicit-def: $vgpr61_vgpr62
.LBB93_32:
	ds_load_b64 v[61:62], v64
.LBB93_33:
	s_and_saveexec_b32 s4, s0
	s_cbranch_execz .LBB93_37
; %bb.34:
	v_subrev_nc_u32_e32 v79, 26, v0
	s_movk_i32 s5, 0x1c0
	s_mov_b32 s0, 0
.LBB93_35:                              ; =>This Inner Loop Header: Depth=1
	scratch_load_b64 v[80:81], v78, off
	v_dual_mov_b32 v82, s5 :: v_dual_add_nc_u32 v79, -1, v79
	v_add_nc_u32_e32 v78, 8, v78
	s_add_i32 s5, s5, 8
	ds_load_b64 v[82:83], v82
	v_cmp_eq_u32_e32 vcc_lo, 0, v79
	s_or_b32 s0, vcc_lo, s0
	s_waitcnt vmcnt(0) lgkmcnt(0)
	v_fma_f64 v[61:62], v[80:81], v[82:83], v[61:62]
	s_and_not1_b32 exec_lo, exec_lo, s0
	s_cbranch_execnz .LBB93_35
; %bb.36:
	s_or_b32 exec_lo, exec_lo, s0
.LBB93_37:
	s_delay_alu instid0(SALU_CYCLE_1)
	s_or_b32 exec_lo, exec_lo, s4
	v_mov_b32_e32 v78, 0
	ds_load_b64 v[78:79], v78 offset:200
	s_waitcnt lgkmcnt(0)
	v_mul_f64 v[61:62], v[61:62], v[78:79]
	scratch_store_b64 off, v[61:62], off offset:200
.LBB93_38:
	s_or_b32 exec_lo, exec_lo, s3
	scratch_load_b64 v[61:62], off, off offset:192
	v_cmp_lt_u32_e64 s0, 24, v0
	s_waitcnt vmcnt(0)
	ds_store_b64 v64, v[61:62]
	s_waitcnt lgkmcnt(0)
	s_waitcnt_vscnt null, 0x0
	s_barrier
	buffer_gl0_inv
	s_and_saveexec_b32 s3, s0
	s_cbranch_execz .LBB93_48
; %bb.39:
	s_and_not1_b32 vcc_lo, exec_lo, s2
	s_cbranch_vccnz .LBB93_41
; %bb.40:
	scratch_load_b64 v[61:62], v65, off
	ds_load_b64 v[78:79], v64
	s_waitcnt vmcnt(0) lgkmcnt(0)
	v_mul_f64 v[61:62], v[61:62], v[78:79]
	s_cbranch_execz .LBB93_42
	s_branch .LBB93_43
.LBB93_41:
                                        ; implicit-def: $vgpr61_vgpr62
.LBB93_42:
	ds_load_b64 v[61:62], v64
.LBB93_43:
	s_and_saveexec_b32 s4, s1
	s_cbranch_execz .LBB93_47
; %bb.44:
	v_mov_b32_e32 v78, 0
	v_subrev_nc_u32_e32 v79, 25, v0
	s_movk_i32 s5, 0x1b8
	s_mov_b32 s1, 0
	s_delay_alu instid0(VALU_DEP_2)
	v_add_nc_u32_e32 v78, 0xc8, v78
.LBB93_45:                              ; =>This Inner Loop Header: Depth=1
	scratch_load_b64 v[80:81], v78, off
	v_dual_mov_b32 v82, s5 :: v_dual_add_nc_u32 v79, -1, v79
	v_add_nc_u32_e32 v78, 8, v78
	s_add_i32 s5, s5, 8
	ds_load_b64 v[82:83], v82
	v_cmp_eq_u32_e32 vcc_lo, 0, v79
	s_or_b32 s1, vcc_lo, s1
	s_waitcnt vmcnt(0) lgkmcnt(0)
	v_fma_f64 v[61:62], v[80:81], v[82:83], v[61:62]
	s_and_not1_b32 exec_lo, exec_lo, s1
	s_cbranch_execnz .LBB93_45
; %bb.46:
	s_or_b32 exec_lo, exec_lo, s1
.LBB93_47:
	s_delay_alu instid0(SALU_CYCLE_1)
	s_or_b32 exec_lo, exec_lo, s4
	v_mov_b32_e32 v78, 0
	ds_load_b64 v[78:79], v78 offset:192
	s_waitcnt lgkmcnt(0)
	v_mul_f64 v[61:62], v[61:62], v[78:79]
	scratch_store_b64 off, v[61:62], off offset:192
.LBB93_48:
	s_or_b32 exec_lo, exec_lo, s3
	scratch_load_b64 v[61:62], off, off offset:184
	v_cmp_lt_u32_e64 s1, 23, v0
	s_waitcnt vmcnt(0)
	ds_store_b64 v64, v[61:62]
	s_waitcnt lgkmcnt(0)
	s_waitcnt_vscnt null, 0x0
	s_barrier
	buffer_gl0_inv
	s_and_saveexec_b32 s3, s1
	s_cbranch_execz .LBB93_58
; %bb.49:
	s_and_not1_b32 vcc_lo, exec_lo, s2
	s_cbranch_vccnz .LBB93_51
; %bb.50:
	scratch_load_b64 v[61:62], v65, off
	ds_load_b64 v[78:79], v64
	s_waitcnt vmcnt(0) lgkmcnt(0)
	v_mul_f64 v[61:62], v[61:62], v[78:79]
	s_cbranch_execz .LBB93_52
	s_branch .LBB93_53
.LBB93_51:
                                        ; implicit-def: $vgpr61_vgpr62
.LBB93_52:
	ds_load_b64 v[61:62], v64
.LBB93_53:
	s_and_saveexec_b32 s4, s0
	s_cbranch_execz .LBB93_57
; %bb.54:
	v_subrev_nc_u32_e32 v78, 24, v0
	s_movk_i32 s5, 0x1b0
	s_mov_b32 s0, 0
.LBB93_55:                              ; =>This Inner Loop Header: Depth=1
	scratch_load_b64 v[79:80], v77, off
	v_dual_mov_b32 v81, s5 :: v_dual_add_nc_u32 v78, -1, v78
	v_add_nc_u32_e32 v77, 8, v77
	s_add_i32 s5, s5, 8
	ds_load_b64 v[81:82], v81
	v_cmp_eq_u32_e32 vcc_lo, 0, v78
	s_or_b32 s0, vcc_lo, s0
	s_waitcnt vmcnt(0) lgkmcnt(0)
	v_fma_f64 v[61:62], v[79:80], v[81:82], v[61:62]
	s_and_not1_b32 exec_lo, exec_lo, s0
	s_cbranch_execnz .LBB93_55
; %bb.56:
	s_or_b32 exec_lo, exec_lo, s0
.LBB93_57:
	s_delay_alu instid0(SALU_CYCLE_1)
	s_or_b32 exec_lo, exec_lo, s4
	v_mov_b32_e32 v77, 0
	ds_load_b64 v[77:78], v77 offset:184
	s_waitcnt lgkmcnt(0)
	v_mul_f64 v[61:62], v[61:62], v[77:78]
	scratch_store_b64 off, v[61:62], off offset:184
.LBB93_58:
	s_or_b32 exec_lo, exec_lo, s3
	scratch_load_b64 v[61:62], off, off offset:176
	v_cmp_lt_u32_e64 s0, 22, v0
	s_waitcnt vmcnt(0)
	ds_store_b64 v64, v[61:62]
	s_waitcnt lgkmcnt(0)
	s_waitcnt_vscnt null, 0x0
	s_barrier
	buffer_gl0_inv
	s_and_saveexec_b32 s3, s0
	s_cbranch_execz .LBB93_68
; %bb.59:
	s_and_not1_b32 vcc_lo, exec_lo, s2
	s_cbranch_vccnz .LBB93_61
; %bb.60:
	scratch_load_b64 v[61:62], v65, off
	ds_load_b64 v[77:78], v64
	s_waitcnt vmcnt(0) lgkmcnt(0)
	v_mul_f64 v[61:62], v[61:62], v[77:78]
	s_cbranch_execz .LBB93_62
	s_branch .LBB93_63
.LBB93_61:
                                        ; implicit-def: $vgpr61_vgpr62
.LBB93_62:
	ds_load_b64 v[61:62], v64
.LBB93_63:
	s_and_saveexec_b32 s4, s1
	s_cbranch_execz .LBB93_67
; %bb.64:
	v_mov_b32_e32 v77, 0
	v_subrev_nc_u32_e32 v78, 23, v0
	s_movk_i32 s5, 0x1a8
	s_mov_b32 s1, 0
	s_delay_alu instid0(VALU_DEP_2)
	v_add_nc_u32_e32 v77, 0xb8, v77
.LBB93_65:                              ; =>This Inner Loop Header: Depth=1
	scratch_load_b64 v[79:80], v77, off
	v_dual_mov_b32 v81, s5 :: v_dual_add_nc_u32 v78, -1, v78
	v_add_nc_u32_e32 v77, 8, v77
	s_add_i32 s5, s5, 8
	ds_load_b64 v[81:82], v81
	v_cmp_eq_u32_e32 vcc_lo, 0, v78
	s_or_b32 s1, vcc_lo, s1
	s_waitcnt vmcnt(0) lgkmcnt(0)
	v_fma_f64 v[61:62], v[79:80], v[81:82], v[61:62]
	s_and_not1_b32 exec_lo, exec_lo, s1
	s_cbranch_execnz .LBB93_65
; %bb.66:
	s_or_b32 exec_lo, exec_lo, s1
.LBB93_67:
	s_delay_alu instid0(SALU_CYCLE_1)
	s_or_b32 exec_lo, exec_lo, s4
	v_mov_b32_e32 v77, 0
	ds_load_b64 v[77:78], v77 offset:176
	s_waitcnt lgkmcnt(0)
	v_mul_f64 v[61:62], v[61:62], v[77:78]
	scratch_store_b64 off, v[61:62], off offset:176
.LBB93_68:
	s_or_b32 exec_lo, exec_lo, s3
	scratch_load_b64 v[61:62], off, off offset:168
	v_cmp_lt_u32_e64 s1, 21, v0
	s_waitcnt vmcnt(0)
	ds_store_b64 v64, v[61:62]
	s_waitcnt lgkmcnt(0)
	s_waitcnt_vscnt null, 0x0
	s_barrier
	buffer_gl0_inv
	s_and_saveexec_b32 s3, s1
	s_cbranch_execz .LBB93_78
; %bb.69:
	s_and_not1_b32 vcc_lo, exec_lo, s2
	s_cbranch_vccnz .LBB93_71
; %bb.70:
	scratch_load_b64 v[61:62], v65, off
	ds_load_b64 v[77:78], v64
	s_waitcnt vmcnt(0) lgkmcnt(0)
	v_mul_f64 v[61:62], v[61:62], v[77:78]
	s_cbranch_execz .LBB93_72
	s_branch .LBB93_73
.LBB93_71:
                                        ; implicit-def: $vgpr61_vgpr62
.LBB93_72:
	ds_load_b64 v[61:62], v64
.LBB93_73:
	s_and_saveexec_b32 s4, s0
	s_cbranch_execz .LBB93_77
; %bb.74:
	v_subrev_nc_u32_e32 v77, 22, v0
	s_movk_i32 s5, 0x1a0
	s_mov_b32 s0, 0
.LBB93_75:                              ; =>This Inner Loop Header: Depth=1
	scratch_load_b64 v[78:79], v76, off
	v_dual_mov_b32 v80, s5 :: v_dual_add_nc_u32 v77, -1, v77
	v_add_nc_u32_e32 v76, 8, v76
	s_add_i32 s5, s5, 8
	ds_load_b64 v[80:81], v80
	v_cmp_eq_u32_e32 vcc_lo, 0, v77
	s_or_b32 s0, vcc_lo, s0
	s_waitcnt vmcnt(0) lgkmcnt(0)
	v_fma_f64 v[61:62], v[78:79], v[80:81], v[61:62]
	s_and_not1_b32 exec_lo, exec_lo, s0
	s_cbranch_execnz .LBB93_75
; %bb.76:
	s_or_b32 exec_lo, exec_lo, s0
.LBB93_77:
	s_delay_alu instid0(SALU_CYCLE_1)
	s_or_b32 exec_lo, exec_lo, s4
	v_mov_b32_e32 v76, 0
	ds_load_b64 v[76:77], v76 offset:168
	s_waitcnt lgkmcnt(0)
	v_mul_f64 v[61:62], v[61:62], v[76:77]
	scratch_store_b64 off, v[61:62], off offset:168
.LBB93_78:
	s_or_b32 exec_lo, exec_lo, s3
	scratch_load_b64 v[61:62], off, off offset:160
	v_cmp_lt_u32_e64 s0, 20, v0
	s_waitcnt vmcnt(0)
	ds_store_b64 v64, v[61:62]
	s_waitcnt lgkmcnt(0)
	s_waitcnt_vscnt null, 0x0
	s_barrier
	buffer_gl0_inv
	s_and_saveexec_b32 s3, s0
	s_cbranch_execz .LBB93_88
; %bb.79:
	s_and_not1_b32 vcc_lo, exec_lo, s2
	s_cbranch_vccnz .LBB93_81
; %bb.80:
	scratch_load_b64 v[61:62], v65, off
	ds_load_b64 v[76:77], v64
	s_waitcnt vmcnt(0) lgkmcnt(0)
	v_mul_f64 v[61:62], v[61:62], v[76:77]
	s_cbranch_execz .LBB93_82
	s_branch .LBB93_83
.LBB93_81:
                                        ; implicit-def: $vgpr61_vgpr62
.LBB93_82:
	ds_load_b64 v[61:62], v64
.LBB93_83:
	s_and_saveexec_b32 s4, s1
	s_cbranch_execz .LBB93_87
; %bb.84:
	v_mov_b32_e32 v76, 0
	v_subrev_nc_u32_e32 v77, 21, v0
	s_movk_i32 s5, 0x198
	s_mov_b32 s1, 0
	s_delay_alu instid0(VALU_DEP_2)
	v_add_nc_u32_e32 v76, 0xa8, v76
.LBB93_85:                              ; =>This Inner Loop Header: Depth=1
	scratch_load_b64 v[78:79], v76, off
	v_dual_mov_b32 v80, s5 :: v_dual_add_nc_u32 v77, -1, v77
	v_add_nc_u32_e32 v76, 8, v76
	s_add_i32 s5, s5, 8
	ds_load_b64 v[80:81], v80
	v_cmp_eq_u32_e32 vcc_lo, 0, v77
	s_or_b32 s1, vcc_lo, s1
	s_waitcnt vmcnt(0) lgkmcnt(0)
	v_fma_f64 v[61:62], v[78:79], v[80:81], v[61:62]
	s_and_not1_b32 exec_lo, exec_lo, s1
	s_cbranch_execnz .LBB93_85
; %bb.86:
	s_or_b32 exec_lo, exec_lo, s1
.LBB93_87:
	s_delay_alu instid0(SALU_CYCLE_1)
	s_or_b32 exec_lo, exec_lo, s4
	v_mov_b32_e32 v76, 0
	ds_load_b64 v[76:77], v76 offset:160
	s_waitcnt lgkmcnt(0)
	v_mul_f64 v[61:62], v[61:62], v[76:77]
	scratch_store_b64 off, v[61:62], off offset:160
.LBB93_88:
	s_or_b32 exec_lo, exec_lo, s3
	scratch_load_b64 v[61:62], off, off offset:152
	v_cmp_lt_u32_e64 s1, 19, v0
	s_waitcnt vmcnt(0)
	ds_store_b64 v64, v[61:62]
	s_waitcnt lgkmcnt(0)
	s_waitcnt_vscnt null, 0x0
	s_barrier
	buffer_gl0_inv
	s_and_saveexec_b32 s3, s1
	s_cbranch_execz .LBB93_98
; %bb.89:
	s_and_not1_b32 vcc_lo, exec_lo, s2
	s_cbranch_vccnz .LBB93_91
; %bb.90:
	scratch_load_b64 v[61:62], v65, off
	ds_load_b64 v[76:77], v64
	s_waitcnt vmcnt(0) lgkmcnt(0)
	v_mul_f64 v[61:62], v[61:62], v[76:77]
	s_cbranch_execz .LBB93_92
	s_branch .LBB93_93
.LBB93_91:
                                        ; implicit-def: $vgpr61_vgpr62
.LBB93_92:
	ds_load_b64 v[61:62], v64
.LBB93_93:
	s_and_saveexec_b32 s4, s0
	s_cbranch_execz .LBB93_97
; %bb.94:
	v_subrev_nc_u32_e32 v76, 20, v0
	s_movk_i32 s5, 0x190
	s_mov_b32 s0, 0
.LBB93_95:                              ; =>This Inner Loop Header: Depth=1
	scratch_load_b64 v[77:78], v75, off
	v_dual_mov_b32 v79, s5 :: v_dual_add_nc_u32 v76, -1, v76
	v_add_nc_u32_e32 v75, 8, v75
	s_add_i32 s5, s5, 8
	ds_load_b64 v[79:80], v79
	v_cmp_eq_u32_e32 vcc_lo, 0, v76
	s_or_b32 s0, vcc_lo, s0
	s_waitcnt vmcnt(0) lgkmcnt(0)
	v_fma_f64 v[61:62], v[77:78], v[79:80], v[61:62]
	s_and_not1_b32 exec_lo, exec_lo, s0
	s_cbranch_execnz .LBB93_95
; %bb.96:
	s_or_b32 exec_lo, exec_lo, s0
.LBB93_97:
	s_delay_alu instid0(SALU_CYCLE_1)
	s_or_b32 exec_lo, exec_lo, s4
	v_mov_b32_e32 v75, 0
	ds_load_b64 v[75:76], v75 offset:152
	s_waitcnt lgkmcnt(0)
	v_mul_f64 v[61:62], v[61:62], v[75:76]
	scratch_store_b64 off, v[61:62], off offset:152
.LBB93_98:
	s_or_b32 exec_lo, exec_lo, s3
	scratch_load_b64 v[61:62], off, off offset:144
	v_cmp_lt_u32_e64 s0, 18, v0
	s_waitcnt vmcnt(0)
	ds_store_b64 v64, v[61:62]
	s_waitcnt lgkmcnt(0)
	s_waitcnt_vscnt null, 0x0
	s_barrier
	buffer_gl0_inv
	s_and_saveexec_b32 s3, s0
	s_cbranch_execz .LBB93_108
; %bb.99:
	s_and_not1_b32 vcc_lo, exec_lo, s2
	s_cbranch_vccnz .LBB93_101
; %bb.100:
	scratch_load_b64 v[61:62], v65, off
	ds_load_b64 v[75:76], v64
	s_waitcnt vmcnt(0) lgkmcnt(0)
	v_mul_f64 v[61:62], v[61:62], v[75:76]
	s_cbranch_execz .LBB93_102
	s_branch .LBB93_103
.LBB93_101:
                                        ; implicit-def: $vgpr61_vgpr62
.LBB93_102:
	ds_load_b64 v[61:62], v64
.LBB93_103:
	s_and_saveexec_b32 s4, s1
	s_cbranch_execz .LBB93_107
; %bb.104:
	v_mov_b32_e32 v75, 0
	v_subrev_nc_u32_e32 v76, 19, v0
	s_movk_i32 s5, 0x188
	s_mov_b32 s1, 0
	s_delay_alu instid0(VALU_DEP_2)
	v_add_nc_u32_e32 v75, 0x98, v75
.LBB93_105:                             ; =>This Inner Loop Header: Depth=1
	scratch_load_b64 v[77:78], v75, off
	v_dual_mov_b32 v79, s5 :: v_dual_add_nc_u32 v76, -1, v76
	v_add_nc_u32_e32 v75, 8, v75
	s_add_i32 s5, s5, 8
	ds_load_b64 v[79:80], v79
	v_cmp_eq_u32_e32 vcc_lo, 0, v76
	s_or_b32 s1, vcc_lo, s1
	s_waitcnt vmcnt(0) lgkmcnt(0)
	v_fma_f64 v[61:62], v[77:78], v[79:80], v[61:62]
	s_and_not1_b32 exec_lo, exec_lo, s1
	s_cbranch_execnz .LBB93_105
; %bb.106:
	s_or_b32 exec_lo, exec_lo, s1
.LBB93_107:
	s_delay_alu instid0(SALU_CYCLE_1)
	s_or_b32 exec_lo, exec_lo, s4
	v_mov_b32_e32 v75, 0
	ds_load_b64 v[75:76], v75 offset:144
	s_waitcnt lgkmcnt(0)
	v_mul_f64 v[61:62], v[61:62], v[75:76]
	scratch_store_b64 off, v[61:62], off offset:144
.LBB93_108:
	s_or_b32 exec_lo, exec_lo, s3
	scratch_load_b64 v[61:62], off, off offset:136
	v_cmp_lt_u32_e64 s1, 17, v0
	s_waitcnt vmcnt(0)
	ds_store_b64 v64, v[61:62]
	s_waitcnt lgkmcnt(0)
	s_waitcnt_vscnt null, 0x0
	s_barrier
	buffer_gl0_inv
	s_and_saveexec_b32 s3, s1
	s_cbranch_execz .LBB93_118
; %bb.109:
	s_and_not1_b32 vcc_lo, exec_lo, s2
	s_cbranch_vccnz .LBB93_111
; %bb.110:
	scratch_load_b64 v[61:62], v65, off
	ds_load_b64 v[75:76], v64
	s_waitcnt vmcnt(0) lgkmcnt(0)
	v_mul_f64 v[61:62], v[61:62], v[75:76]
	s_cbranch_execz .LBB93_112
	s_branch .LBB93_113
.LBB93_111:
                                        ; implicit-def: $vgpr61_vgpr62
.LBB93_112:
	ds_load_b64 v[61:62], v64
.LBB93_113:
	s_and_saveexec_b32 s4, s0
	s_cbranch_execz .LBB93_117
; %bb.114:
	v_subrev_nc_u32_e32 v75, 18, v0
	s_movk_i32 s5, 0x180
	s_mov_b32 s0, 0
.LBB93_115:                             ; =>This Inner Loop Header: Depth=1
	scratch_load_b64 v[76:77], v74, off
	v_dual_mov_b32 v78, s5 :: v_dual_add_nc_u32 v75, -1, v75
	v_add_nc_u32_e32 v74, 8, v74
	s_add_i32 s5, s5, 8
	ds_load_b64 v[78:79], v78
	v_cmp_eq_u32_e32 vcc_lo, 0, v75
	s_or_b32 s0, vcc_lo, s0
	s_waitcnt vmcnt(0) lgkmcnt(0)
	v_fma_f64 v[61:62], v[76:77], v[78:79], v[61:62]
	s_and_not1_b32 exec_lo, exec_lo, s0
	s_cbranch_execnz .LBB93_115
; %bb.116:
	s_or_b32 exec_lo, exec_lo, s0
.LBB93_117:
	s_delay_alu instid0(SALU_CYCLE_1)
	s_or_b32 exec_lo, exec_lo, s4
	v_mov_b32_e32 v74, 0
	ds_load_b64 v[74:75], v74 offset:136
	s_waitcnt lgkmcnt(0)
	v_mul_f64 v[61:62], v[61:62], v[74:75]
	scratch_store_b64 off, v[61:62], off offset:136
.LBB93_118:
	s_or_b32 exec_lo, exec_lo, s3
	scratch_load_b64 v[61:62], off, off offset:128
	v_cmp_lt_u32_e64 s0, 16, v0
	s_waitcnt vmcnt(0)
	ds_store_b64 v64, v[61:62]
	s_waitcnt lgkmcnt(0)
	s_waitcnt_vscnt null, 0x0
	s_barrier
	buffer_gl0_inv
	s_and_saveexec_b32 s3, s0
	s_cbranch_execz .LBB93_128
; %bb.119:
	s_and_not1_b32 vcc_lo, exec_lo, s2
	s_cbranch_vccnz .LBB93_121
; %bb.120:
	scratch_load_b64 v[61:62], v65, off
	ds_load_b64 v[74:75], v64
	s_waitcnt vmcnt(0) lgkmcnt(0)
	v_mul_f64 v[61:62], v[61:62], v[74:75]
	s_cbranch_execz .LBB93_122
	s_branch .LBB93_123
.LBB93_121:
                                        ; implicit-def: $vgpr61_vgpr62
.LBB93_122:
	ds_load_b64 v[61:62], v64
.LBB93_123:
	s_and_saveexec_b32 s4, s1
	s_cbranch_execz .LBB93_127
; %bb.124:
	v_mov_b32_e32 v74, 0
	v_subrev_nc_u32_e32 v75, 17, v0
	s_movk_i32 s5, 0x178
	s_mov_b32 s1, 0
	s_delay_alu instid0(VALU_DEP_2)
	v_add_nc_u32_e32 v74, 0x88, v74
.LBB93_125:                             ; =>This Inner Loop Header: Depth=1
	scratch_load_b64 v[76:77], v74, off
	v_dual_mov_b32 v78, s5 :: v_dual_add_nc_u32 v75, -1, v75
	v_add_nc_u32_e32 v74, 8, v74
	s_add_i32 s5, s5, 8
	ds_load_b64 v[78:79], v78
	v_cmp_eq_u32_e32 vcc_lo, 0, v75
	s_or_b32 s1, vcc_lo, s1
	s_waitcnt vmcnt(0) lgkmcnt(0)
	v_fma_f64 v[61:62], v[76:77], v[78:79], v[61:62]
	s_and_not1_b32 exec_lo, exec_lo, s1
	s_cbranch_execnz .LBB93_125
; %bb.126:
	s_or_b32 exec_lo, exec_lo, s1
.LBB93_127:
	s_delay_alu instid0(SALU_CYCLE_1)
	s_or_b32 exec_lo, exec_lo, s4
	v_mov_b32_e32 v74, 0
	ds_load_b64 v[74:75], v74 offset:128
	s_waitcnt lgkmcnt(0)
	v_mul_f64 v[61:62], v[61:62], v[74:75]
	scratch_store_b64 off, v[61:62], off offset:128
.LBB93_128:
	s_or_b32 exec_lo, exec_lo, s3
	scratch_load_b64 v[61:62], off, off offset:120
	v_cmp_lt_u32_e64 s1, 15, v0
	s_waitcnt vmcnt(0)
	ds_store_b64 v64, v[61:62]
	s_waitcnt lgkmcnt(0)
	s_waitcnt_vscnt null, 0x0
	s_barrier
	buffer_gl0_inv
	s_and_saveexec_b32 s3, s1
	s_cbranch_execz .LBB93_138
; %bb.129:
	s_and_not1_b32 vcc_lo, exec_lo, s2
	s_cbranch_vccnz .LBB93_131
; %bb.130:
	scratch_load_b64 v[61:62], v65, off
	ds_load_b64 v[74:75], v64
	s_waitcnt vmcnt(0) lgkmcnt(0)
	v_mul_f64 v[61:62], v[61:62], v[74:75]
	s_cbranch_execz .LBB93_132
	s_branch .LBB93_133
.LBB93_131:
                                        ; implicit-def: $vgpr61_vgpr62
.LBB93_132:
	ds_load_b64 v[61:62], v64
.LBB93_133:
	s_and_saveexec_b32 s4, s0
	s_cbranch_execz .LBB93_137
; %bb.134:
	v_add_nc_u32_e32 v74, -16, v0
	s_movk_i32 s5, 0x170
	s_mov_b32 s0, 0
.LBB93_135:                             ; =>This Inner Loop Header: Depth=1
	scratch_load_b64 v[75:76], v73, off
	v_dual_mov_b32 v77, s5 :: v_dual_add_nc_u32 v74, -1, v74
	v_add_nc_u32_e32 v73, 8, v73
	s_add_i32 s5, s5, 8
	ds_load_b64 v[77:78], v77
	v_cmp_eq_u32_e32 vcc_lo, 0, v74
	s_or_b32 s0, vcc_lo, s0
	s_waitcnt vmcnt(0) lgkmcnt(0)
	v_fma_f64 v[61:62], v[75:76], v[77:78], v[61:62]
	s_and_not1_b32 exec_lo, exec_lo, s0
	s_cbranch_execnz .LBB93_135
; %bb.136:
	s_or_b32 exec_lo, exec_lo, s0
.LBB93_137:
	s_delay_alu instid0(SALU_CYCLE_1)
	s_or_b32 exec_lo, exec_lo, s4
	v_mov_b32_e32 v73, 0
	ds_load_b64 v[73:74], v73 offset:120
	s_waitcnt lgkmcnt(0)
	v_mul_f64 v[61:62], v[61:62], v[73:74]
	scratch_store_b64 off, v[61:62], off offset:120
.LBB93_138:
	s_or_b32 exec_lo, exec_lo, s3
	scratch_load_b64 v[61:62], off, off offset:112
	v_cmp_lt_u32_e64 s0, 14, v0
	s_waitcnt vmcnt(0)
	ds_store_b64 v64, v[61:62]
	s_waitcnt lgkmcnt(0)
	s_waitcnt_vscnt null, 0x0
	s_barrier
	buffer_gl0_inv
	s_and_saveexec_b32 s3, s0
	s_cbranch_execz .LBB93_148
; %bb.139:
	s_and_not1_b32 vcc_lo, exec_lo, s2
	s_cbranch_vccnz .LBB93_141
; %bb.140:
	scratch_load_b64 v[61:62], v65, off
	ds_load_b64 v[73:74], v64
	s_waitcnt vmcnt(0) lgkmcnt(0)
	v_mul_f64 v[61:62], v[61:62], v[73:74]
	s_cbranch_execz .LBB93_142
	s_branch .LBB93_143
.LBB93_141:
                                        ; implicit-def: $vgpr61_vgpr62
.LBB93_142:
	ds_load_b64 v[61:62], v64
.LBB93_143:
	s_and_saveexec_b32 s4, s1
	s_cbranch_execz .LBB93_147
; %bb.144:
	v_dual_mov_b32 v73, 0 :: v_dual_add_nc_u32 v74, -15, v0
	s_movk_i32 s5, 0x168
	s_mov_b32 s1, 0
	s_delay_alu instid0(VALU_DEP_1)
	v_add_nc_u32_e32 v73, 0x78, v73
.LBB93_145:                             ; =>This Inner Loop Header: Depth=1
	scratch_load_b64 v[75:76], v73, off
	v_dual_mov_b32 v77, s5 :: v_dual_add_nc_u32 v74, -1, v74
	v_add_nc_u32_e32 v73, 8, v73
	s_add_i32 s5, s5, 8
	ds_load_b64 v[77:78], v77
	v_cmp_eq_u32_e32 vcc_lo, 0, v74
	s_or_b32 s1, vcc_lo, s1
	s_waitcnt vmcnt(0) lgkmcnt(0)
	v_fma_f64 v[61:62], v[75:76], v[77:78], v[61:62]
	s_and_not1_b32 exec_lo, exec_lo, s1
	s_cbranch_execnz .LBB93_145
; %bb.146:
	s_or_b32 exec_lo, exec_lo, s1
.LBB93_147:
	s_delay_alu instid0(SALU_CYCLE_1)
	s_or_b32 exec_lo, exec_lo, s4
	v_mov_b32_e32 v73, 0
	ds_load_b64 v[73:74], v73 offset:112
	s_waitcnt lgkmcnt(0)
	v_mul_f64 v[61:62], v[61:62], v[73:74]
	scratch_store_b64 off, v[61:62], off offset:112
.LBB93_148:
	s_or_b32 exec_lo, exec_lo, s3
	scratch_load_b64 v[61:62], off, off offset:104
	v_cmp_lt_u32_e64 s1, 13, v0
	s_waitcnt vmcnt(0)
	ds_store_b64 v64, v[61:62]
	s_waitcnt lgkmcnt(0)
	s_waitcnt_vscnt null, 0x0
	s_barrier
	buffer_gl0_inv
	s_and_saveexec_b32 s3, s1
	s_cbranch_execz .LBB93_158
; %bb.149:
	s_and_not1_b32 vcc_lo, exec_lo, s2
	s_cbranch_vccnz .LBB93_151
; %bb.150:
	scratch_load_b64 v[61:62], v65, off
	ds_load_b64 v[73:74], v64
	s_waitcnt vmcnt(0) lgkmcnt(0)
	v_mul_f64 v[61:62], v[61:62], v[73:74]
	s_cbranch_execz .LBB93_152
	s_branch .LBB93_153
.LBB93_151:
                                        ; implicit-def: $vgpr61_vgpr62
.LBB93_152:
	ds_load_b64 v[61:62], v64
.LBB93_153:
	s_and_saveexec_b32 s4, s0
	s_cbranch_execz .LBB93_157
; %bb.154:
	v_add_nc_u32_e32 v73, -14, v0
	s_movk_i32 s5, 0x160
	s_mov_b32 s0, 0
.LBB93_155:                             ; =>This Inner Loop Header: Depth=1
	scratch_load_b64 v[74:75], v72, off
	v_dual_mov_b32 v76, s5 :: v_dual_add_nc_u32 v73, -1, v73
	v_add_nc_u32_e32 v72, 8, v72
	s_add_i32 s5, s5, 8
	ds_load_b64 v[76:77], v76
	v_cmp_eq_u32_e32 vcc_lo, 0, v73
	s_or_b32 s0, vcc_lo, s0
	s_waitcnt vmcnt(0) lgkmcnt(0)
	v_fma_f64 v[61:62], v[74:75], v[76:77], v[61:62]
	s_and_not1_b32 exec_lo, exec_lo, s0
	s_cbranch_execnz .LBB93_155
; %bb.156:
	s_or_b32 exec_lo, exec_lo, s0
.LBB93_157:
	s_delay_alu instid0(SALU_CYCLE_1)
	s_or_b32 exec_lo, exec_lo, s4
	v_mov_b32_e32 v72, 0
	ds_load_b64 v[72:73], v72 offset:104
	s_waitcnt lgkmcnt(0)
	v_mul_f64 v[61:62], v[61:62], v[72:73]
	scratch_store_b64 off, v[61:62], off offset:104
.LBB93_158:
	s_or_b32 exec_lo, exec_lo, s3
	scratch_load_b64 v[61:62], off, off offset:96
	v_cmp_lt_u32_e64 s0, 12, v0
	s_waitcnt vmcnt(0)
	ds_store_b64 v64, v[61:62]
	s_waitcnt lgkmcnt(0)
	s_waitcnt_vscnt null, 0x0
	s_barrier
	buffer_gl0_inv
	s_and_saveexec_b32 s3, s0
	s_cbranch_execz .LBB93_168
; %bb.159:
	s_and_not1_b32 vcc_lo, exec_lo, s2
	s_cbranch_vccnz .LBB93_161
; %bb.160:
	scratch_load_b64 v[61:62], v65, off
	ds_load_b64 v[72:73], v64
	s_waitcnt vmcnt(0) lgkmcnt(0)
	v_mul_f64 v[61:62], v[61:62], v[72:73]
	s_cbranch_execz .LBB93_162
	s_branch .LBB93_163
.LBB93_161:
                                        ; implicit-def: $vgpr61_vgpr62
.LBB93_162:
	ds_load_b64 v[61:62], v64
.LBB93_163:
	s_and_saveexec_b32 s4, s1
	s_cbranch_execz .LBB93_167
; %bb.164:
	v_dual_mov_b32 v72, 0 :: v_dual_add_nc_u32 v73, -13, v0
	s_movk_i32 s5, 0x158
	s_mov_b32 s1, 0
	s_delay_alu instid0(VALU_DEP_1)
	v_add_nc_u32_e32 v72, 0x68, v72
.LBB93_165:                             ; =>This Inner Loop Header: Depth=1
	scratch_load_b64 v[74:75], v72, off
	v_dual_mov_b32 v76, s5 :: v_dual_add_nc_u32 v73, -1, v73
	v_add_nc_u32_e32 v72, 8, v72
	s_add_i32 s5, s5, 8
	ds_load_b64 v[76:77], v76
	v_cmp_eq_u32_e32 vcc_lo, 0, v73
	s_or_b32 s1, vcc_lo, s1
	s_waitcnt vmcnt(0) lgkmcnt(0)
	v_fma_f64 v[61:62], v[74:75], v[76:77], v[61:62]
	s_and_not1_b32 exec_lo, exec_lo, s1
	s_cbranch_execnz .LBB93_165
; %bb.166:
	s_or_b32 exec_lo, exec_lo, s1
.LBB93_167:
	s_delay_alu instid0(SALU_CYCLE_1)
	s_or_b32 exec_lo, exec_lo, s4
	v_mov_b32_e32 v72, 0
	ds_load_b64 v[72:73], v72 offset:96
	s_waitcnt lgkmcnt(0)
	v_mul_f64 v[61:62], v[61:62], v[72:73]
	scratch_store_b64 off, v[61:62], off offset:96
.LBB93_168:
	s_or_b32 exec_lo, exec_lo, s3
	scratch_load_b64 v[61:62], off, off offset:88
	v_cmp_lt_u32_e64 s1, 11, v0
	s_waitcnt vmcnt(0)
	ds_store_b64 v64, v[61:62]
	s_waitcnt lgkmcnt(0)
	s_waitcnt_vscnt null, 0x0
	s_barrier
	buffer_gl0_inv
	s_and_saveexec_b32 s3, s1
	s_cbranch_execz .LBB93_178
; %bb.169:
	s_and_not1_b32 vcc_lo, exec_lo, s2
	s_cbranch_vccnz .LBB93_171
; %bb.170:
	scratch_load_b64 v[61:62], v65, off
	ds_load_b64 v[72:73], v64
	s_waitcnt vmcnt(0) lgkmcnt(0)
	v_mul_f64 v[61:62], v[61:62], v[72:73]
	s_cbranch_execz .LBB93_172
	s_branch .LBB93_173
.LBB93_171:
                                        ; implicit-def: $vgpr61_vgpr62
.LBB93_172:
	ds_load_b64 v[61:62], v64
.LBB93_173:
	s_and_saveexec_b32 s4, s0
	s_cbranch_execz .LBB93_177
; %bb.174:
	v_add_nc_u32_e32 v72, -12, v0
	s_movk_i32 s5, 0x150
	s_mov_b32 s0, 0
.LBB93_175:                             ; =>This Inner Loop Header: Depth=1
	scratch_load_b64 v[73:74], v71, off
	v_dual_mov_b32 v75, s5 :: v_dual_add_nc_u32 v72, -1, v72
	v_add_nc_u32_e32 v71, 8, v71
	s_add_i32 s5, s5, 8
	ds_load_b64 v[75:76], v75
	v_cmp_eq_u32_e32 vcc_lo, 0, v72
	s_or_b32 s0, vcc_lo, s0
	s_waitcnt vmcnt(0) lgkmcnt(0)
	v_fma_f64 v[61:62], v[73:74], v[75:76], v[61:62]
	s_and_not1_b32 exec_lo, exec_lo, s0
	s_cbranch_execnz .LBB93_175
; %bb.176:
	s_or_b32 exec_lo, exec_lo, s0
.LBB93_177:
	s_delay_alu instid0(SALU_CYCLE_1)
	s_or_b32 exec_lo, exec_lo, s4
	v_mov_b32_e32 v71, 0
	ds_load_b64 v[71:72], v71 offset:88
	s_waitcnt lgkmcnt(0)
	v_mul_f64 v[61:62], v[61:62], v[71:72]
	scratch_store_b64 off, v[61:62], off offset:88
.LBB93_178:
	s_or_b32 exec_lo, exec_lo, s3
	scratch_load_b64 v[61:62], off, off offset:80
	v_cmp_lt_u32_e64 s0, 10, v0
	s_waitcnt vmcnt(0)
	ds_store_b64 v64, v[61:62]
	s_waitcnt lgkmcnt(0)
	s_waitcnt_vscnt null, 0x0
	s_barrier
	buffer_gl0_inv
	s_and_saveexec_b32 s3, s0
	s_cbranch_execz .LBB93_188
; %bb.179:
	s_and_not1_b32 vcc_lo, exec_lo, s2
	s_cbranch_vccnz .LBB93_181
; %bb.180:
	scratch_load_b64 v[61:62], v65, off
	ds_load_b64 v[71:72], v64
	s_waitcnt vmcnt(0) lgkmcnt(0)
	v_mul_f64 v[61:62], v[61:62], v[71:72]
	s_cbranch_execz .LBB93_182
	s_branch .LBB93_183
.LBB93_181:
                                        ; implicit-def: $vgpr61_vgpr62
.LBB93_182:
	ds_load_b64 v[61:62], v64
.LBB93_183:
	s_and_saveexec_b32 s4, s1
	s_cbranch_execz .LBB93_187
; %bb.184:
	v_dual_mov_b32 v71, 0 :: v_dual_add_nc_u32 v72, -11, v0
	s_movk_i32 s5, 0x148
	s_mov_b32 s1, 0
	s_delay_alu instid0(VALU_DEP_1)
	v_add_nc_u32_e32 v71, 0x58, v71
.LBB93_185:                             ; =>This Inner Loop Header: Depth=1
	scratch_load_b64 v[73:74], v71, off
	v_dual_mov_b32 v75, s5 :: v_dual_add_nc_u32 v72, -1, v72
	v_add_nc_u32_e32 v71, 8, v71
	s_add_i32 s5, s5, 8
	ds_load_b64 v[75:76], v75
	v_cmp_eq_u32_e32 vcc_lo, 0, v72
	s_or_b32 s1, vcc_lo, s1
	s_waitcnt vmcnt(0) lgkmcnt(0)
	v_fma_f64 v[61:62], v[73:74], v[75:76], v[61:62]
	s_and_not1_b32 exec_lo, exec_lo, s1
	s_cbranch_execnz .LBB93_185
; %bb.186:
	s_or_b32 exec_lo, exec_lo, s1
.LBB93_187:
	s_delay_alu instid0(SALU_CYCLE_1)
	s_or_b32 exec_lo, exec_lo, s4
	v_mov_b32_e32 v71, 0
	ds_load_b64 v[71:72], v71 offset:80
	s_waitcnt lgkmcnt(0)
	v_mul_f64 v[61:62], v[61:62], v[71:72]
	scratch_store_b64 off, v[61:62], off offset:80
.LBB93_188:
	s_or_b32 exec_lo, exec_lo, s3
	scratch_load_b64 v[61:62], off, off offset:72
	v_cmp_lt_u32_e64 s1, 9, v0
	s_waitcnt vmcnt(0)
	ds_store_b64 v64, v[61:62]
	s_waitcnt lgkmcnt(0)
	s_waitcnt_vscnt null, 0x0
	s_barrier
	buffer_gl0_inv
	s_and_saveexec_b32 s3, s1
	s_cbranch_execz .LBB93_198
; %bb.189:
	s_and_not1_b32 vcc_lo, exec_lo, s2
	s_cbranch_vccnz .LBB93_191
; %bb.190:
	scratch_load_b64 v[61:62], v65, off
	ds_load_b64 v[71:72], v64
	s_waitcnt vmcnt(0) lgkmcnt(0)
	v_mul_f64 v[61:62], v[61:62], v[71:72]
	s_cbranch_execz .LBB93_192
	s_branch .LBB93_193
.LBB93_191:
                                        ; implicit-def: $vgpr61_vgpr62
.LBB93_192:
	ds_load_b64 v[61:62], v64
.LBB93_193:
	s_and_saveexec_b32 s4, s0
	s_cbranch_execz .LBB93_197
; %bb.194:
	v_add_nc_u32_e32 v71, -10, v0
	s_movk_i32 s5, 0x140
	s_mov_b32 s0, 0
.LBB93_195:                             ; =>This Inner Loop Header: Depth=1
	scratch_load_b64 v[72:73], v70, off
	v_dual_mov_b32 v74, s5 :: v_dual_add_nc_u32 v71, -1, v71
	v_add_nc_u32_e32 v70, 8, v70
	s_add_i32 s5, s5, 8
	ds_load_b64 v[74:75], v74
	v_cmp_eq_u32_e32 vcc_lo, 0, v71
	s_or_b32 s0, vcc_lo, s0
	s_waitcnt vmcnt(0) lgkmcnt(0)
	v_fma_f64 v[61:62], v[72:73], v[74:75], v[61:62]
	s_and_not1_b32 exec_lo, exec_lo, s0
	s_cbranch_execnz .LBB93_195
; %bb.196:
	s_or_b32 exec_lo, exec_lo, s0
.LBB93_197:
	s_delay_alu instid0(SALU_CYCLE_1)
	s_or_b32 exec_lo, exec_lo, s4
	v_mov_b32_e32 v70, 0
	ds_load_b64 v[70:71], v70 offset:72
	s_waitcnt lgkmcnt(0)
	v_mul_f64 v[61:62], v[61:62], v[70:71]
	scratch_store_b64 off, v[61:62], off offset:72
.LBB93_198:
	s_or_b32 exec_lo, exec_lo, s3
	scratch_load_b64 v[61:62], off, off offset:64
	v_cmp_lt_u32_e64 s0, 8, v0
	s_waitcnt vmcnt(0)
	ds_store_b64 v64, v[61:62]
	s_waitcnt lgkmcnt(0)
	s_waitcnt_vscnt null, 0x0
	s_barrier
	buffer_gl0_inv
	s_and_saveexec_b32 s3, s0
	s_cbranch_execz .LBB93_208
; %bb.199:
	s_and_not1_b32 vcc_lo, exec_lo, s2
	s_cbranch_vccnz .LBB93_201
; %bb.200:
	scratch_load_b64 v[61:62], v65, off
	ds_load_b64 v[70:71], v64
	s_waitcnt vmcnt(0) lgkmcnt(0)
	v_mul_f64 v[61:62], v[61:62], v[70:71]
	s_cbranch_execz .LBB93_202
	s_branch .LBB93_203
.LBB93_201:
                                        ; implicit-def: $vgpr61_vgpr62
.LBB93_202:
	ds_load_b64 v[61:62], v64
.LBB93_203:
	s_and_saveexec_b32 s4, s1
	s_cbranch_execz .LBB93_207
; %bb.204:
	v_dual_mov_b32 v70, 0 :: v_dual_add_nc_u32 v71, -9, v0
	s_movk_i32 s5, 0x138
	s_mov_b32 s1, 0
	s_delay_alu instid0(VALU_DEP_1)
	v_add_nc_u32_e32 v70, 0x48, v70
.LBB93_205:                             ; =>This Inner Loop Header: Depth=1
	scratch_load_b64 v[72:73], v70, off
	v_dual_mov_b32 v74, s5 :: v_dual_add_nc_u32 v71, -1, v71
	v_add_nc_u32_e32 v70, 8, v70
	s_add_i32 s5, s5, 8
	ds_load_b64 v[74:75], v74
	v_cmp_eq_u32_e32 vcc_lo, 0, v71
	s_or_b32 s1, vcc_lo, s1
	s_waitcnt vmcnt(0) lgkmcnt(0)
	v_fma_f64 v[61:62], v[72:73], v[74:75], v[61:62]
	s_and_not1_b32 exec_lo, exec_lo, s1
	s_cbranch_execnz .LBB93_205
; %bb.206:
	s_or_b32 exec_lo, exec_lo, s1
.LBB93_207:
	s_delay_alu instid0(SALU_CYCLE_1)
	s_or_b32 exec_lo, exec_lo, s4
	v_mov_b32_e32 v70, 0
	ds_load_b64 v[70:71], v70 offset:64
	s_waitcnt lgkmcnt(0)
	v_mul_f64 v[61:62], v[61:62], v[70:71]
	scratch_store_b64 off, v[61:62], off offset:64
.LBB93_208:
	s_or_b32 exec_lo, exec_lo, s3
	scratch_load_b64 v[61:62], off, off offset:56
	v_cmp_lt_u32_e64 s1, 7, v0
	s_waitcnt vmcnt(0)
	ds_store_b64 v64, v[61:62]
	s_waitcnt lgkmcnt(0)
	s_waitcnt_vscnt null, 0x0
	s_barrier
	buffer_gl0_inv
	s_and_saveexec_b32 s3, s1
	s_cbranch_execz .LBB93_218
; %bb.209:
	s_and_not1_b32 vcc_lo, exec_lo, s2
	s_cbranch_vccnz .LBB93_211
; %bb.210:
	scratch_load_b64 v[61:62], v65, off
	ds_load_b64 v[70:71], v64
	s_waitcnt vmcnt(0) lgkmcnt(0)
	v_mul_f64 v[61:62], v[61:62], v[70:71]
	s_cbranch_execz .LBB93_212
	s_branch .LBB93_213
.LBB93_211:
                                        ; implicit-def: $vgpr61_vgpr62
.LBB93_212:
	ds_load_b64 v[61:62], v64
.LBB93_213:
	s_and_saveexec_b32 s4, s0
	s_cbranch_execz .LBB93_217
; %bb.214:
	v_add_nc_u32_e32 v70, -8, v0
	s_movk_i32 s5, 0x130
	s_mov_b32 s0, 0
.LBB93_215:                             ; =>This Inner Loop Header: Depth=1
	scratch_load_b64 v[71:72], v69, off
	v_dual_mov_b32 v73, s5 :: v_dual_add_nc_u32 v70, -1, v70
	v_add_nc_u32_e32 v69, 8, v69
	s_add_i32 s5, s5, 8
	ds_load_b64 v[73:74], v73
	v_cmp_eq_u32_e32 vcc_lo, 0, v70
	s_or_b32 s0, vcc_lo, s0
	s_waitcnt vmcnt(0) lgkmcnt(0)
	v_fma_f64 v[61:62], v[71:72], v[73:74], v[61:62]
	s_and_not1_b32 exec_lo, exec_lo, s0
	s_cbranch_execnz .LBB93_215
; %bb.216:
	s_or_b32 exec_lo, exec_lo, s0
.LBB93_217:
	s_delay_alu instid0(SALU_CYCLE_1)
	s_or_b32 exec_lo, exec_lo, s4
	v_mov_b32_e32 v69, 0
	ds_load_b64 v[69:70], v69 offset:56
	s_waitcnt lgkmcnt(0)
	v_mul_f64 v[61:62], v[61:62], v[69:70]
	scratch_store_b64 off, v[61:62], off offset:56
.LBB93_218:
	s_or_b32 exec_lo, exec_lo, s3
	scratch_load_b64 v[61:62], off, off offset:48
	v_cmp_lt_u32_e64 s0, 6, v0
	s_waitcnt vmcnt(0)
	ds_store_b64 v64, v[61:62]
	s_waitcnt lgkmcnt(0)
	s_waitcnt_vscnt null, 0x0
	s_barrier
	buffer_gl0_inv
	s_and_saveexec_b32 s3, s0
	s_cbranch_execz .LBB93_228
; %bb.219:
	s_and_not1_b32 vcc_lo, exec_lo, s2
	s_cbranch_vccnz .LBB93_221
; %bb.220:
	scratch_load_b64 v[61:62], v65, off
	ds_load_b64 v[69:70], v64
	s_waitcnt vmcnt(0) lgkmcnt(0)
	v_mul_f64 v[61:62], v[61:62], v[69:70]
	s_cbranch_execz .LBB93_222
	s_branch .LBB93_223
.LBB93_221:
                                        ; implicit-def: $vgpr61_vgpr62
.LBB93_222:
	ds_load_b64 v[61:62], v64
.LBB93_223:
	s_and_saveexec_b32 s4, s1
	s_cbranch_execz .LBB93_227
; %bb.224:
	v_add_nc_u32_e64 v69, 0, 56
	v_add_nc_u32_e32 v70, -7, v0
	s_movk_i32 s5, 0x128
	s_mov_b32 s1, 0
.LBB93_225:                             ; =>This Inner Loop Header: Depth=1
	scratch_load_b64 v[71:72], v69, off
	v_dual_mov_b32 v73, s5 :: v_dual_add_nc_u32 v70, -1, v70
	v_add_nc_u32_e32 v69, 8, v69
	s_add_i32 s5, s5, 8
	ds_load_b64 v[73:74], v73
	v_cmp_eq_u32_e32 vcc_lo, 0, v70
	s_or_b32 s1, vcc_lo, s1
	s_waitcnt vmcnt(0) lgkmcnt(0)
	v_fma_f64 v[61:62], v[71:72], v[73:74], v[61:62]
	s_and_not1_b32 exec_lo, exec_lo, s1
	s_cbranch_execnz .LBB93_225
; %bb.226:
	s_or_b32 exec_lo, exec_lo, s1
.LBB93_227:
	s_delay_alu instid0(SALU_CYCLE_1)
	s_or_b32 exec_lo, exec_lo, s4
	v_mov_b32_e32 v69, 0
	ds_load_b64 v[69:70], v69 offset:48
	s_waitcnt lgkmcnt(0)
	v_mul_f64 v[61:62], v[61:62], v[69:70]
	scratch_store_b64 off, v[61:62], off offset:48
.LBB93_228:
	s_or_b32 exec_lo, exec_lo, s3
	scratch_load_b64 v[61:62], off, off offset:40
	v_cmp_lt_u32_e64 s1, 5, v0
	s_waitcnt vmcnt(0)
	ds_store_b64 v64, v[61:62]
	s_waitcnt lgkmcnt(0)
	s_waitcnt_vscnt null, 0x0
	s_barrier
	buffer_gl0_inv
	s_and_saveexec_b32 s3, s1
	s_cbranch_execz .LBB93_238
; %bb.229:
	s_and_not1_b32 vcc_lo, exec_lo, s2
	s_cbranch_vccnz .LBB93_231
; %bb.230:
	scratch_load_b64 v[61:62], v65, off
	ds_load_b64 v[69:70], v64
	s_waitcnt vmcnt(0) lgkmcnt(0)
	v_mul_f64 v[61:62], v[61:62], v[69:70]
	s_cbranch_execz .LBB93_232
	s_branch .LBB93_233
.LBB93_231:
                                        ; implicit-def: $vgpr61_vgpr62
.LBB93_232:
	ds_load_b64 v[61:62], v64
.LBB93_233:
	s_and_saveexec_b32 s4, s0
	s_cbranch_execz .LBB93_237
; %bb.234:
	v_add_nc_u32_e32 v69, -6, v0
	s_movk_i32 s5, 0x120
	s_mov_b32 s0, 0
.LBB93_235:                             ; =>This Inner Loop Header: Depth=1
	scratch_load_b64 v[70:71], v68, off
	v_dual_mov_b32 v72, s5 :: v_dual_add_nc_u32 v69, -1, v69
	v_add_nc_u32_e32 v68, 8, v68
	s_add_i32 s5, s5, 8
	ds_load_b64 v[72:73], v72
	v_cmp_eq_u32_e32 vcc_lo, 0, v69
	s_or_b32 s0, vcc_lo, s0
	s_waitcnt vmcnt(0) lgkmcnt(0)
	v_fma_f64 v[61:62], v[70:71], v[72:73], v[61:62]
	s_and_not1_b32 exec_lo, exec_lo, s0
	s_cbranch_execnz .LBB93_235
; %bb.236:
	s_or_b32 exec_lo, exec_lo, s0
.LBB93_237:
	s_delay_alu instid0(SALU_CYCLE_1)
	s_or_b32 exec_lo, exec_lo, s4
	v_mov_b32_e32 v68, 0
	ds_load_b64 v[68:69], v68 offset:40
	s_waitcnt lgkmcnt(0)
	v_mul_f64 v[61:62], v[61:62], v[68:69]
	scratch_store_b64 off, v[61:62], off offset:40
.LBB93_238:
	s_or_b32 exec_lo, exec_lo, s3
	scratch_load_b64 v[61:62], off, off offset:32
	v_cmp_lt_u32_e64 s0, 4, v0
	s_waitcnt vmcnt(0)
	ds_store_b64 v64, v[61:62]
	s_waitcnt lgkmcnt(0)
	s_waitcnt_vscnt null, 0x0
	s_barrier
	buffer_gl0_inv
	s_and_saveexec_b32 s3, s0
	s_cbranch_execz .LBB93_248
; %bb.239:
	s_and_not1_b32 vcc_lo, exec_lo, s2
	s_cbranch_vccnz .LBB93_241
; %bb.240:
	scratch_load_b64 v[61:62], v65, off
	ds_load_b64 v[68:69], v64
	s_waitcnt vmcnt(0) lgkmcnt(0)
	v_mul_f64 v[61:62], v[61:62], v[68:69]
	s_cbranch_execz .LBB93_242
	s_branch .LBB93_243
.LBB93_241:
                                        ; implicit-def: $vgpr61_vgpr62
.LBB93_242:
	ds_load_b64 v[61:62], v64
.LBB93_243:
	s_and_saveexec_b32 s4, s1
	s_cbranch_execz .LBB93_247
; %bb.244:
	v_add_nc_u32_e64 v68, 0, 40
	v_add_nc_u32_e32 v69, -5, v0
	s_movk_i32 s5, 0x118
	s_mov_b32 s1, 0
.LBB93_245:                             ; =>This Inner Loop Header: Depth=1
	scratch_load_b64 v[70:71], v68, off
	v_dual_mov_b32 v72, s5 :: v_dual_add_nc_u32 v69, -1, v69
	v_add_nc_u32_e32 v68, 8, v68
	s_add_i32 s5, s5, 8
	ds_load_b64 v[72:73], v72
	v_cmp_eq_u32_e32 vcc_lo, 0, v69
	s_or_b32 s1, vcc_lo, s1
	s_waitcnt vmcnt(0) lgkmcnt(0)
	v_fma_f64 v[61:62], v[70:71], v[72:73], v[61:62]
	s_and_not1_b32 exec_lo, exec_lo, s1
	s_cbranch_execnz .LBB93_245
; %bb.246:
	s_or_b32 exec_lo, exec_lo, s1
.LBB93_247:
	s_delay_alu instid0(SALU_CYCLE_1)
	s_or_b32 exec_lo, exec_lo, s4
	v_mov_b32_e32 v68, 0
	ds_load_b64 v[68:69], v68 offset:32
	s_waitcnt lgkmcnt(0)
	v_mul_f64 v[61:62], v[61:62], v[68:69]
	scratch_store_b64 off, v[61:62], off offset:32
.LBB93_248:
	s_or_b32 exec_lo, exec_lo, s3
	scratch_load_b64 v[61:62], off, off offset:24
	v_cmp_lt_u32_e64 s1, 3, v0
	s_waitcnt vmcnt(0)
	ds_store_b64 v64, v[61:62]
	s_waitcnt lgkmcnt(0)
	s_waitcnt_vscnt null, 0x0
	s_barrier
	buffer_gl0_inv
	s_and_saveexec_b32 s3, s1
	s_cbranch_execz .LBB93_258
; %bb.249:
	s_and_not1_b32 vcc_lo, exec_lo, s2
	s_cbranch_vccnz .LBB93_251
; %bb.250:
	scratch_load_b64 v[61:62], v65, off
	ds_load_b64 v[68:69], v64
	s_waitcnt vmcnt(0) lgkmcnt(0)
	v_mul_f64 v[61:62], v[61:62], v[68:69]
	s_cbranch_execz .LBB93_252
	s_branch .LBB93_253
.LBB93_251:
                                        ; implicit-def: $vgpr61_vgpr62
.LBB93_252:
	ds_load_b64 v[61:62], v64
.LBB93_253:
	s_and_saveexec_b32 s4, s0
	s_cbranch_execz .LBB93_257
; %bb.254:
	v_add_nc_u32_e32 v68, -4, v0
	s_movk_i32 s5, 0x110
	s_mov_b32 s0, 0
.LBB93_255:                             ; =>This Inner Loop Header: Depth=1
	scratch_load_b64 v[69:70], v67, off
	v_dual_mov_b32 v71, s5 :: v_dual_add_nc_u32 v68, -1, v68
	v_add_nc_u32_e32 v67, 8, v67
	s_add_i32 s5, s5, 8
	ds_load_b64 v[71:72], v71
	v_cmp_eq_u32_e32 vcc_lo, 0, v68
	s_or_b32 s0, vcc_lo, s0
	s_waitcnt vmcnt(0) lgkmcnt(0)
	v_fma_f64 v[61:62], v[69:70], v[71:72], v[61:62]
	s_and_not1_b32 exec_lo, exec_lo, s0
	s_cbranch_execnz .LBB93_255
; %bb.256:
	s_or_b32 exec_lo, exec_lo, s0
.LBB93_257:
	s_delay_alu instid0(SALU_CYCLE_1)
	s_or_b32 exec_lo, exec_lo, s4
	v_mov_b32_e32 v67, 0
	ds_load_b64 v[67:68], v67 offset:24
	s_waitcnt lgkmcnt(0)
	v_mul_f64 v[61:62], v[61:62], v[67:68]
	scratch_store_b64 off, v[61:62], off offset:24
.LBB93_258:
	s_or_b32 exec_lo, exec_lo, s3
	scratch_load_b64 v[61:62], off, off offset:16
	v_cmp_lt_u32_e64 s0, 2, v0
	s_waitcnt vmcnt(0)
	ds_store_b64 v64, v[61:62]
	s_waitcnt lgkmcnt(0)
	s_waitcnt_vscnt null, 0x0
	s_barrier
	buffer_gl0_inv
	s_and_saveexec_b32 s3, s0
	s_cbranch_execz .LBB93_268
; %bb.259:
	s_and_not1_b32 vcc_lo, exec_lo, s2
	s_cbranch_vccnz .LBB93_261
; %bb.260:
	scratch_load_b64 v[61:62], v65, off
	ds_load_b64 v[67:68], v64
	s_waitcnt vmcnt(0) lgkmcnt(0)
	v_mul_f64 v[61:62], v[61:62], v[67:68]
	s_cbranch_execz .LBB93_262
	s_branch .LBB93_263
.LBB93_261:
                                        ; implicit-def: $vgpr61_vgpr62
.LBB93_262:
	ds_load_b64 v[61:62], v64
.LBB93_263:
	s_and_saveexec_b32 s4, s1
	s_cbranch_execz .LBB93_267
; %bb.264:
	v_add_nc_u32_e64 v67, 0, 24
	v_add_nc_u32_e32 v68, -3, v0
	s_movk_i32 s5, 0x108
	s_mov_b32 s1, 0
.LBB93_265:                             ; =>This Inner Loop Header: Depth=1
	scratch_load_b64 v[69:70], v67, off
	v_dual_mov_b32 v71, s5 :: v_dual_add_nc_u32 v68, -1, v68
	v_add_nc_u32_e32 v67, 8, v67
	s_add_i32 s5, s5, 8
	ds_load_b64 v[71:72], v71
	v_cmp_eq_u32_e32 vcc_lo, 0, v68
	s_or_b32 s1, vcc_lo, s1
	s_waitcnt vmcnt(0) lgkmcnt(0)
	v_fma_f64 v[61:62], v[69:70], v[71:72], v[61:62]
	s_and_not1_b32 exec_lo, exec_lo, s1
	s_cbranch_execnz .LBB93_265
; %bb.266:
	s_or_b32 exec_lo, exec_lo, s1
.LBB93_267:
	s_delay_alu instid0(SALU_CYCLE_1)
	s_or_b32 exec_lo, exec_lo, s4
	v_mov_b32_e32 v67, 0
	ds_load_b64 v[67:68], v67 offset:16
	s_waitcnt lgkmcnt(0)
	v_mul_f64 v[61:62], v[61:62], v[67:68]
	scratch_store_b64 off, v[61:62], off offset:16
.LBB93_268:
	s_or_b32 exec_lo, exec_lo, s3
	scratch_load_b64 v[61:62], off, off offset:8
	v_cmp_lt_u32_e64 s1, 1, v0
	s_waitcnt vmcnt(0)
	ds_store_b64 v64, v[61:62]
	s_waitcnt lgkmcnt(0)
	s_waitcnt_vscnt null, 0x0
	s_barrier
	buffer_gl0_inv
	s_and_saveexec_b32 s3, s1
	s_cbranch_execz .LBB93_278
; %bb.269:
	s_and_not1_b32 vcc_lo, exec_lo, s2
	s_cbranch_vccnz .LBB93_271
; %bb.270:
	scratch_load_b64 v[61:62], v65, off
	ds_load_b64 v[67:68], v64
	s_waitcnt vmcnt(0) lgkmcnt(0)
	v_mul_f64 v[61:62], v[61:62], v[67:68]
	s_cbranch_execz .LBB93_272
	s_branch .LBB93_273
.LBB93_271:
                                        ; implicit-def: $vgpr61_vgpr62
.LBB93_272:
	ds_load_b64 v[61:62], v64
.LBB93_273:
	s_and_saveexec_b32 s4, s0
	s_cbranch_execz .LBB93_277
; %bb.274:
	v_add_nc_u32_e32 v67, -2, v0
	s_movk_i32 s5, 0x100
	s_mov_b32 s0, 0
.LBB93_275:                             ; =>This Inner Loop Header: Depth=1
	scratch_load_b64 v[68:69], v66, off
	v_dual_mov_b32 v70, s5 :: v_dual_add_nc_u32 v67, -1, v67
	v_add_nc_u32_e32 v66, 8, v66
	s_add_i32 s5, s5, 8
	ds_load_b64 v[70:71], v70
	v_cmp_eq_u32_e32 vcc_lo, 0, v67
	s_or_b32 s0, vcc_lo, s0
	s_waitcnt vmcnt(0) lgkmcnt(0)
	v_fma_f64 v[61:62], v[68:69], v[70:71], v[61:62]
	s_and_not1_b32 exec_lo, exec_lo, s0
	s_cbranch_execnz .LBB93_275
; %bb.276:
	s_or_b32 exec_lo, exec_lo, s0
.LBB93_277:
	s_delay_alu instid0(SALU_CYCLE_1)
	s_or_b32 exec_lo, exec_lo, s4
	v_mov_b32_e32 v66, 0
	ds_load_b64 v[66:67], v66 offset:8
	s_waitcnt lgkmcnt(0)
	v_mul_f64 v[61:62], v[61:62], v[66:67]
	scratch_store_b64 off, v[61:62], off offset:8
.LBB93_278:
	s_or_b32 exec_lo, exec_lo, s3
	scratch_load_b64 v[61:62], off, off
	s_mov_b32 s0, 0
	s_mov_b32 s3, exec_lo
	s_waitcnt vmcnt(0)
	ds_store_b64 v64, v[61:62]
	s_waitcnt lgkmcnt(0)
	s_waitcnt_vscnt null, 0x0
	s_barrier
	buffer_gl0_inv
	v_cmpx_ne_u32_e32 0, v0
	s_cbranch_execz .LBB93_288
; %bb.279:
	s_and_not1_b32 vcc_lo, exec_lo, s2
	s_cbranch_vccnz .LBB93_281
; %bb.280:
	scratch_load_b64 v[61:62], v65, off
	ds_load_b64 v[66:67], v64
	s_waitcnt vmcnt(0) lgkmcnt(0)
	v_mul_f64 v[61:62], v[61:62], v[66:67]
	s_cbranch_execz .LBB93_282
	s_branch .LBB93_283
.LBB93_281:
                                        ; implicit-def: $vgpr61_vgpr62
.LBB93_282:
	ds_load_b64 v[61:62], v64
.LBB93_283:
	s_and_saveexec_b32 s4, s1
	s_cbranch_execz .LBB93_287
; %bb.284:
	v_or_b32_e64 v66, 0, 8
	v_add_nc_u32_e32 v67, -1, v0
	s_movk_i32 s5, 0xf8
	s_mov_b32 s1, 0
.LBB93_285:                             ; =>This Inner Loop Header: Depth=1
	scratch_load_b64 v[68:69], v66, off
	v_dual_mov_b32 v70, s5 :: v_dual_add_nc_u32 v67, -1, v67
	v_add_nc_u32_e32 v66, 8, v66
	s_add_i32 s5, s5, 8
	ds_load_b64 v[70:71], v70
	v_cmp_eq_u32_e32 vcc_lo, 0, v67
	s_or_b32 s1, vcc_lo, s1
	s_waitcnt vmcnt(0) lgkmcnt(0)
	v_fma_f64 v[61:62], v[68:69], v[70:71], v[61:62]
	s_and_not1_b32 exec_lo, exec_lo, s1
	s_cbranch_execnz .LBB93_285
; %bb.286:
	s_or_b32 exec_lo, exec_lo, s1
.LBB93_287:
	s_delay_alu instid0(SALU_CYCLE_1)
	s_or_b32 exec_lo, exec_lo, s4
	v_mov_b32_e32 v66, 0
	ds_load_b64 v[66:67], v66
	s_waitcnt lgkmcnt(0)
	v_mul_f64 v[61:62], v[61:62], v[66:67]
	scratch_store_b64 off, v[61:62], off
.LBB93_288:
	s_or_b32 exec_lo, exec_lo, s3
.LBB93_289:
	s_delay_alu instid0(SALU_CYCLE_1)
	s_and_b32 vcc_lo, exec_lo, s0
	s_cbranch_vccz .LBB93_575
; %bb.290:
	scratch_load_b64 v[61:62], off, off offset:8
	v_cmp_eq_u32_e64 s0, 0, v0
	s_waitcnt vmcnt(0)
	ds_store_b64 v64, v[61:62]
	s_waitcnt lgkmcnt(0)
	s_waitcnt_vscnt null, 0x0
	s_barrier
	buffer_gl0_inv
	s_and_saveexec_b32 s1, s0
	s_cbranch_execz .LBB93_296
; %bb.291:
	s_and_b32 vcc_lo, exec_lo, s2
	s_cbranch_vccz .LBB93_293
; %bb.292:
	scratch_load_b64 v[61:62], v65, off
	ds_load_b64 v[66:67], v64
	s_waitcnt vmcnt(0) lgkmcnt(0)
	v_mul_f64 v[61:62], v[61:62], v[66:67]
	s_cbranch_execz .LBB93_294
	s_branch .LBB93_295
.LBB93_293:
                                        ; implicit-def: $vgpr61_vgpr62
.LBB93_294:
	ds_load_b64 v[61:62], v64
.LBB93_295:
	v_mov_b32_e32 v66, 0
	ds_load_b64 v[66:67], v66 offset:8
	s_waitcnt lgkmcnt(0)
	v_mul_f64 v[61:62], v[61:62], v[66:67]
	scratch_store_b64 off, v[61:62], off offset:8
.LBB93_296:
	s_or_b32 exec_lo, exec_lo, s1
	scratch_load_b64 v[61:62], off, off offset:16
	v_cndmask_b32_e64 v66, 0, 1, s2
	s_mov_b32 s1, exec_lo
	s_waitcnt vmcnt(0)
	ds_store_b64 v64, v[61:62]
	s_waitcnt lgkmcnt(0)
	s_waitcnt_vscnt null, 0x0
	s_barrier
	buffer_gl0_inv
	v_cmpx_gt_u32_e32 2, v0
	s_cbranch_execz .LBB93_304
; %bb.297:
	s_and_not1_b32 vcc_lo, exec_lo, s2
	s_cbranch_vccnz .LBB93_299
; %bb.298:
	scratch_load_b64 v[61:62], v65, off
	ds_load_b64 v[67:68], v64
	s_waitcnt vmcnt(0) lgkmcnt(0)
	v_mul_f64 v[61:62], v[61:62], v[67:68]
	s_cbranch_execz .LBB93_300
	s_branch .LBB93_301
.LBB93_299:
                                        ; implicit-def: $vgpr61_vgpr62
.LBB93_300:
	ds_load_b64 v[61:62], v64
.LBB93_301:
	s_and_saveexec_b32 s2, s0
	s_cbranch_execz .LBB93_303
; %bb.302:
	scratch_load_b64 v[67:68], v65, off offset:8
	ds_load_b64 v[69:70], v64 offset:8
	s_waitcnt vmcnt(0) lgkmcnt(0)
	v_fma_f64 v[61:62], v[67:68], v[69:70], v[61:62]
.LBB93_303:
	s_or_b32 exec_lo, exec_lo, s2
	v_mov_b32_e32 v67, 0
	ds_load_b64 v[67:68], v67 offset:16
	s_waitcnt lgkmcnt(0)
	v_mul_f64 v[61:62], v[61:62], v[67:68]
	scratch_store_b64 off, v[61:62], off offset:16
.LBB93_304:
	s_or_b32 exec_lo, exec_lo, s1
	scratch_load_b64 v[61:62], off, off offset:24
	s_mov_b32 s1, exec_lo
	s_waitcnt vmcnt(0)
	ds_store_b64 v64, v[61:62]
	s_waitcnt lgkmcnt(0)
	s_waitcnt_vscnt null, 0x0
	s_barrier
	buffer_gl0_inv
	v_cmpx_gt_u32_e32 3, v0
	s_cbranch_execz .LBB93_314
; %bb.305:
	v_cmp_ne_u32_e32 vcc_lo, 1, v66
	s_cbranch_vccnz .LBB93_307
; %bb.306:
	scratch_load_b64 v[61:62], v65, off
	ds_load_b64 v[67:68], v64
	s_waitcnt vmcnt(0) lgkmcnt(0)
	v_mul_f64 v[61:62], v[61:62], v[67:68]
	s_cbranch_execz .LBB93_308
	s_branch .LBB93_309
.LBB93_307:
                                        ; implicit-def: $vgpr61_vgpr62
.LBB93_308:
	ds_load_b64 v[61:62], v64
.LBB93_309:
	s_mov_b32 s2, exec_lo
	v_cmpx_ne_u32_e32 2, v0
	s_cbranch_execz .LBB93_313
; %bb.310:
	scratch_load_b64 v[67:68], v65, off offset:8
	ds_load_b64 v[69:70], v64 offset:8
	s_waitcnt vmcnt(0) lgkmcnt(0)
	v_fma_f64 v[61:62], v[67:68], v[69:70], v[61:62]
	s_and_saveexec_b32 s3, s0
	s_cbranch_execz .LBB93_312
; %bb.311:
	scratch_load_b64 v[67:68], off, off offset:16
	v_mov_b32_e32 v69, 0
	ds_load_b64 v[69:70], v69 offset:256
	s_waitcnt vmcnt(0) lgkmcnt(0)
	v_fma_f64 v[61:62], v[67:68], v[69:70], v[61:62]
.LBB93_312:
	s_or_b32 exec_lo, exec_lo, s3
.LBB93_313:
	s_delay_alu instid0(SALU_CYCLE_1)
	s_or_b32 exec_lo, exec_lo, s2
	v_mov_b32_e32 v67, 0
	ds_load_b64 v[67:68], v67 offset:24
	s_waitcnt lgkmcnt(0)
	v_mul_f64 v[61:62], v[61:62], v[67:68]
	scratch_store_b64 off, v[61:62], off offset:24
.LBB93_314:
	s_or_b32 exec_lo, exec_lo, s1
	scratch_load_b64 v[61:62], off, off offset:32
	s_mov_b32 s0, exec_lo
	s_waitcnt vmcnt(0)
	ds_store_b64 v64, v[61:62]
	s_waitcnt lgkmcnt(0)
	s_waitcnt_vscnt null, 0x0
	s_barrier
	buffer_gl0_inv
	v_cmpx_gt_u32_e32 4, v0
	s_cbranch_execz .LBB93_324
; %bb.315:
	v_cmp_ne_u32_e32 vcc_lo, 1, v66
	s_cbranch_vccnz .LBB93_317
; %bb.316:
	scratch_load_b64 v[61:62], v65, off
	ds_load_b64 v[67:68], v64
	s_waitcnt vmcnt(0) lgkmcnt(0)
	v_mul_f64 v[61:62], v[61:62], v[67:68]
	s_cbranch_execz .LBB93_318
	s_branch .LBB93_319
.LBB93_317:
                                        ; implicit-def: $vgpr61_vgpr62
.LBB93_318:
	ds_load_b64 v[61:62], v64
.LBB93_319:
	s_mov_b32 s1, exec_lo
	v_cmpx_ne_u32_e32 3, v0
	s_cbranch_execz .LBB93_323
; %bb.320:
	v_add_nc_u32_e32 v67, 0xf8, v63
	v_add3_u32 v68, 0, v63, 8
	v_mov_b32_e32 v69, v0
	s_mov_b32 s2, 0
.LBB93_321:                             ; =>This Inner Loop Header: Depth=1
	scratch_load_b64 v[70:71], v68, off
	ds_load_b64 v[72:73], v67
	v_add_nc_u32_e32 v69, 1, v69
	v_add_nc_u32_e32 v67, 8, v67
	v_add_nc_u32_e32 v68, 8, v68
	s_delay_alu instid0(VALU_DEP_3)
	v_cmp_lt_u32_e32 vcc_lo, 2, v69
	s_or_b32 s2, vcc_lo, s2
	s_waitcnt vmcnt(0) lgkmcnt(0)
	v_fma_f64 v[61:62], v[70:71], v[72:73], v[61:62]
	s_and_not1_b32 exec_lo, exec_lo, s2
	s_cbranch_execnz .LBB93_321
; %bb.322:
	s_or_b32 exec_lo, exec_lo, s2
.LBB93_323:
	s_delay_alu instid0(SALU_CYCLE_1)
	s_or_b32 exec_lo, exec_lo, s1
	v_mov_b32_e32 v67, 0
	ds_load_b64 v[67:68], v67 offset:32
	s_waitcnt lgkmcnt(0)
	v_mul_f64 v[61:62], v[61:62], v[67:68]
	scratch_store_b64 off, v[61:62], off offset:32
.LBB93_324:
	s_or_b32 exec_lo, exec_lo, s0
	scratch_load_b64 v[61:62], off, off offset:40
	s_mov_b32 s0, exec_lo
	s_waitcnt vmcnt(0)
	ds_store_b64 v64, v[61:62]
	s_waitcnt lgkmcnt(0)
	s_waitcnt_vscnt null, 0x0
	s_barrier
	buffer_gl0_inv
	v_cmpx_gt_u32_e32 5, v0
	s_cbranch_execz .LBB93_334
; %bb.325:
	v_cmp_ne_u32_e32 vcc_lo, 1, v66
	s_cbranch_vccnz .LBB93_327
; %bb.326:
	scratch_load_b64 v[61:62], v65, off
	ds_load_b64 v[67:68], v64
	s_waitcnt vmcnt(0) lgkmcnt(0)
	v_mul_f64 v[61:62], v[61:62], v[67:68]
	s_cbranch_execz .LBB93_328
	s_branch .LBB93_329
.LBB93_327:
                                        ; implicit-def: $vgpr61_vgpr62
.LBB93_328:
	ds_load_b64 v[61:62], v64
.LBB93_329:
	s_mov_b32 s1, exec_lo
	v_cmpx_ne_u32_e32 4, v0
	s_cbranch_execz .LBB93_333
; %bb.330:
	v_add_nc_u32_e32 v67, 0xf8, v63
	v_add3_u32 v68, 0, v63, 8
	v_mov_b32_e32 v69, v0
	s_mov_b32 s2, 0
.LBB93_331:                             ; =>This Inner Loop Header: Depth=1
	scratch_load_b64 v[70:71], v68, off
	ds_load_b64 v[72:73], v67
	v_add_nc_u32_e32 v69, 1, v69
	v_add_nc_u32_e32 v67, 8, v67
	v_add_nc_u32_e32 v68, 8, v68
	s_delay_alu instid0(VALU_DEP_3)
	v_cmp_lt_u32_e32 vcc_lo, 3, v69
	s_or_b32 s2, vcc_lo, s2
	s_waitcnt vmcnt(0) lgkmcnt(0)
	v_fma_f64 v[61:62], v[70:71], v[72:73], v[61:62]
	s_and_not1_b32 exec_lo, exec_lo, s2
	s_cbranch_execnz .LBB93_331
; %bb.332:
	s_or_b32 exec_lo, exec_lo, s2
.LBB93_333:
	s_delay_alu instid0(SALU_CYCLE_1)
	s_or_b32 exec_lo, exec_lo, s1
	v_mov_b32_e32 v67, 0
	ds_load_b64 v[67:68], v67 offset:40
	s_waitcnt lgkmcnt(0)
	v_mul_f64 v[61:62], v[61:62], v[67:68]
	scratch_store_b64 off, v[61:62], off offset:40
.LBB93_334:
	s_or_b32 exec_lo, exec_lo, s0
	scratch_load_b64 v[61:62], off, off offset:48
	s_mov_b32 s0, exec_lo
	s_waitcnt vmcnt(0)
	ds_store_b64 v64, v[61:62]
	s_waitcnt lgkmcnt(0)
	s_waitcnt_vscnt null, 0x0
	s_barrier
	buffer_gl0_inv
	v_cmpx_gt_u32_e32 6, v0
	s_cbranch_execz .LBB93_344
; %bb.335:
	v_cmp_ne_u32_e32 vcc_lo, 1, v66
	s_cbranch_vccnz .LBB93_337
; %bb.336:
	scratch_load_b64 v[61:62], v65, off
	ds_load_b64 v[67:68], v64
	s_waitcnt vmcnt(0) lgkmcnt(0)
	v_mul_f64 v[61:62], v[61:62], v[67:68]
	s_cbranch_execz .LBB93_338
	s_branch .LBB93_339
.LBB93_337:
                                        ; implicit-def: $vgpr61_vgpr62
.LBB93_338:
	ds_load_b64 v[61:62], v64
.LBB93_339:
	s_mov_b32 s1, exec_lo
	v_cmpx_ne_u32_e32 5, v0
	s_cbranch_execz .LBB93_343
; %bb.340:
	v_add_nc_u32_e32 v67, 0xf8, v63
	v_add3_u32 v68, 0, v63, 8
	v_mov_b32_e32 v69, v0
	s_mov_b32 s2, 0
.LBB93_341:                             ; =>This Inner Loop Header: Depth=1
	scratch_load_b64 v[70:71], v68, off
	ds_load_b64 v[72:73], v67
	v_add_nc_u32_e32 v69, 1, v69
	v_add_nc_u32_e32 v67, 8, v67
	v_add_nc_u32_e32 v68, 8, v68
	s_delay_alu instid0(VALU_DEP_3)
	v_cmp_lt_u32_e32 vcc_lo, 4, v69
	s_or_b32 s2, vcc_lo, s2
	s_waitcnt vmcnt(0) lgkmcnt(0)
	v_fma_f64 v[61:62], v[70:71], v[72:73], v[61:62]
	s_and_not1_b32 exec_lo, exec_lo, s2
	s_cbranch_execnz .LBB93_341
; %bb.342:
	s_or_b32 exec_lo, exec_lo, s2
.LBB93_343:
	s_delay_alu instid0(SALU_CYCLE_1)
	s_or_b32 exec_lo, exec_lo, s1
	v_mov_b32_e32 v67, 0
	ds_load_b64 v[67:68], v67 offset:48
	s_waitcnt lgkmcnt(0)
	v_mul_f64 v[61:62], v[61:62], v[67:68]
	scratch_store_b64 off, v[61:62], off offset:48
.LBB93_344:
	s_or_b32 exec_lo, exec_lo, s0
	scratch_load_b64 v[61:62], off, off offset:56
	s_mov_b32 s0, exec_lo
	s_waitcnt vmcnt(0)
	ds_store_b64 v64, v[61:62]
	s_waitcnt lgkmcnt(0)
	s_waitcnt_vscnt null, 0x0
	s_barrier
	buffer_gl0_inv
	v_cmpx_gt_u32_e32 7, v0
	s_cbranch_execz .LBB93_354
; %bb.345:
	v_cmp_ne_u32_e32 vcc_lo, 1, v66
	s_cbranch_vccnz .LBB93_347
; %bb.346:
	scratch_load_b64 v[61:62], v65, off
	ds_load_b64 v[67:68], v64
	s_waitcnt vmcnt(0) lgkmcnt(0)
	v_mul_f64 v[61:62], v[61:62], v[67:68]
	s_cbranch_execz .LBB93_348
	s_branch .LBB93_349
.LBB93_347:
                                        ; implicit-def: $vgpr61_vgpr62
.LBB93_348:
	ds_load_b64 v[61:62], v64
.LBB93_349:
	s_mov_b32 s1, exec_lo
	v_cmpx_ne_u32_e32 6, v0
	s_cbranch_execz .LBB93_353
; %bb.350:
	v_add_nc_u32_e32 v67, 0xf8, v63
	v_add3_u32 v68, 0, v63, 8
	v_mov_b32_e32 v69, v0
	s_mov_b32 s2, 0
.LBB93_351:                             ; =>This Inner Loop Header: Depth=1
	scratch_load_b64 v[70:71], v68, off
	ds_load_b64 v[72:73], v67
	v_add_nc_u32_e32 v69, 1, v69
	v_add_nc_u32_e32 v67, 8, v67
	v_add_nc_u32_e32 v68, 8, v68
	s_delay_alu instid0(VALU_DEP_3)
	v_cmp_lt_u32_e32 vcc_lo, 5, v69
	s_or_b32 s2, vcc_lo, s2
	s_waitcnt vmcnt(0) lgkmcnt(0)
	v_fma_f64 v[61:62], v[70:71], v[72:73], v[61:62]
	s_and_not1_b32 exec_lo, exec_lo, s2
	s_cbranch_execnz .LBB93_351
; %bb.352:
	s_or_b32 exec_lo, exec_lo, s2
.LBB93_353:
	s_delay_alu instid0(SALU_CYCLE_1)
	s_or_b32 exec_lo, exec_lo, s1
	v_mov_b32_e32 v67, 0
	ds_load_b64 v[67:68], v67 offset:56
	s_waitcnt lgkmcnt(0)
	v_mul_f64 v[61:62], v[61:62], v[67:68]
	scratch_store_b64 off, v[61:62], off offset:56
.LBB93_354:
	s_or_b32 exec_lo, exec_lo, s0
	scratch_load_b64 v[61:62], off, off offset:64
	s_mov_b32 s0, exec_lo
	s_waitcnt vmcnt(0)
	ds_store_b64 v64, v[61:62]
	s_waitcnt lgkmcnt(0)
	s_waitcnt_vscnt null, 0x0
	s_barrier
	buffer_gl0_inv
	v_cmpx_gt_u32_e32 8, v0
	s_cbranch_execz .LBB93_364
; %bb.355:
	v_cmp_ne_u32_e32 vcc_lo, 1, v66
	s_cbranch_vccnz .LBB93_357
; %bb.356:
	scratch_load_b64 v[61:62], v65, off
	ds_load_b64 v[67:68], v64
	s_waitcnt vmcnt(0) lgkmcnt(0)
	v_mul_f64 v[61:62], v[61:62], v[67:68]
	s_cbranch_execz .LBB93_358
	s_branch .LBB93_359
.LBB93_357:
                                        ; implicit-def: $vgpr61_vgpr62
.LBB93_358:
	ds_load_b64 v[61:62], v64
.LBB93_359:
	s_mov_b32 s1, exec_lo
	v_cmpx_ne_u32_e32 7, v0
	s_cbranch_execz .LBB93_363
; %bb.360:
	v_add_nc_u32_e32 v67, 0xf8, v63
	v_add3_u32 v68, 0, v63, 8
	v_mov_b32_e32 v69, v0
	s_mov_b32 s2, 0
.LBB93_361:                             ; =>This Inner Loop Header: Depth=1
	scratch_load_b64 v[70:71], v68, off
	ds_load_b64 v[72:73], v67
	v_add_nc_u32_e32 v69, 1, v69
	v_add_nc_u32_e32 v67, 8, v67
	v_add_nc_u32_e32 v68, 8, v68
	s_delay_alu instid0(VALU_DEP_3)
	v_cmp_lt_u32_e32 vcc_lo, 6, v69
	s_or_b32 s2, vcc_lo, s2
	s_waitcnt vmcnt(0) lgkmcnt(0)
	v_fma_f64 v[61:62], v[70:71], v[72:73], v[61:62]
	s_and_not1_b32 exec_lo, exec_lo, s2
	s_cbranch_execnz .LBB93_361
; %bb.362:
	s_or_b32 exec_lo, exec_lo, s2
.LBB93_363:
	s_delay_alu instid0(SALU_CYCLE_1)
	s_or_b32 exec_lo, exec_lo, s1
	v_mov_b32_e32 v67, 0
	ds_load_b64 v[67:68], v67 offset:64
	s_waitcnt lgkmcnt(0)
	v_mul_f64 v[61:62], v[61:62], v[67:68]
	scratch_store_b64 off, v[61:62], off offset:64
.LBB93_364:
	s_or_b32 exec_lo, exec_lo, s0
	scratch_load_b64 v[61:62], off, off offset:72
	s_mov_b32 s0, exec_lo
	s_waitcnt vmcnt(0)
	ds_store_b64 v64, v[61:62]
	s_waitcnt lgkmcnt(0)
	s_waitcnt_vscnt null, 0x0
	s_barrier
	buffer_gl0_inv
	v_cmpx_gt_u32_e32 9, v0
	s_cbranch_execz .LBB93_374
; %bb.365:
	v_cmp_ne_u32_e32 vcc_lo, 1, v66
	s_cbranch_vccnz .LBB93_367
; %bb.366:
	scratch_load_b64 v[61:62], v65, off
	ds_load_b64 v[67:68], v64
	s_waitcnt vmcnt(0) lgkmcnt(0)
	v_mul_f64 v[61:62], v[61:62], v[67:68]
	s_cbranch_execz .LBB93_368
	s_branch .LBB93_369
.LBB93_367:
                                        ; implicit-def: $vgpr61_vgpr62
.LBB93_368:
	ds_load_b64 v[61:62], v64
.LBB93_369:
	s_mov_b32 s1, exec_lo
	v_cmpx_ne_u32_e32 8, v0
	s_cbranch_execz .LBB93_373
; %bb.370:
	v_add_nc_u32_e32 v67, 0xf8, v63
	v_add3_u32 v68, 0, v63, 8
	v_mov_b32_e32 v69, v0
	s_mov_b32 s2, 0
.LBB93_371:                             ; =>This Inner Loop Header: Depth=1
	scratch_load_b64 v[70:71], v68, off
	ds_load_b64 v[72:73], v67
	v_add_nc_u32_e32 v69, 1, v69
	v_add_nc_u32_e32 v67, 8, v67
	v_add_nc_u32_e32 v68, 8, v68
	s_delay_alu instid0(VALU_DEP_3)
	v_cmp_lt_u32_e32 vcc_lo, 7, v69
	s_or_b32 s2, vcc_lo, s2
	s_waitcnt vmcnt(0) lgkmcnt(0)
	v_fma_f64 v[61:62], v[70:71], v[72:73], v[61:62]
	s_and_not1_b32 exec_lo, exec_lo, s2
	s_cbranch_execnz .LBB93_371
; %bb.372:
	s_or_b32 exec_lo, exec_lo, s2
.LBB93_373:
	s_delay_alu instid0(SALU_CYCLE_1)
	s_or_b32 exec_lo, exec_lo, s1
	v_mov_b32_e32 v67, 0
	ds_load_b64 v[67:68], v67 offset:72
	s_waitcnt lgkmcnt(0)
	v_mul_f64 v[61:62], v[61:62], v[67:68]
	scratch_store_b64 off, v[61:62], off offset:72
.LBB93_374:
	s_or_b32 exec_lo, exec_lo, s0
	scratch_load_b64 v[61:62], off, off offset:80
	s_mov_b32 s0, exec_lo
	s_waitcnt vmcnt(0)
	ds_store_b64 v64, v[61:62]
	s_waitcnt lgkmcnt(0)
	s_waitcnt_vscnt null, 0x0
	s_barrier
	buffer_gl0_inv
	v_cmpx_gt_u32_e32 10, v0
	s_cbranch_execz .LBB93_384
; %bb.375:
	v_cmp_ne_u32_e32 vcc_lo, 1, v66
	s_cbranch_vccnz .LBB93_377
; %bb.376:
	scratch_load_b64 v[61:62], v65, off
	ds_load_b64 v[67:68], v64
	s_waitcnt vmcnt(0) lgkmcnt(0)
	v_mul_f64 v[61:62], v[61:62], v[67:68]
	s_cbranch_execz .LBB93_378
	s_branch .LBB93_379
.LBB93_377:
                                        ; implicit-def: $vgpr61_vgpr62
.LBB93_378:
	ds_load_b64 v[61:62], v64
.LBB93_379:
	s_mov_b32 s1, exec_lo
	v_cmpx_ne_u32_e32 9, v0
	s_cbranch_execz .LBB93_383
; %bb.380:
	v_add_nc_u32_e32 v67, 0xf8, v63
	v_add3_u32 v68, 0, v63, 8
	v_mov_b32_e32 v69, v0
	s_mov_b32 s2, 0
.LBB93_381:                             ; =>This Inner Loop Header: Depth=1
	scratch_load_b64 v[70:71], v68, off
	ds_load_b64 v[72:73], v67
	v_add_nc_u32_e32 v69, 1, v69
	v_add_nc_u32_e32 v67, 8, v67
	v_add_nc_u32_e32 v68, 8, v68
	s_delay_alu instid0(VALU_DEP_3)
	v_cmp_lt_u32_e32 vcc_lo, 8, v69
	s_or_b32 s2, vcc_lo, s2
	s_waitcnt vmcnt(0) lgkmcnt(0)
	v_fma_f64 v[61:62], v[70:71], v[72:73], v[61:62]
	s_and_not1_b32 exec_lo, exec_lo, s2
	s_cbranch_execnz .LBB93_381
; %bb.382:
	s_or_b32 exec_lo, exec_lo, s2
.LBB93_383:
	s_delay_alu instid0(SALU_CYCLE_1)
	s_or_b32 exec_lo, exec_lo, s1
	v_mov_b32_e32 v67, 0
	ds_load_b64 v[67:68], v67 offset:80
	s_waitcnt lgkmcnt(0)
	v_mul_f64 v[61:62], v[61:62], v[67:68]
	scratch_store_b64 off, v[61:62], off offset:80
.LBB93_384:
	s_or_b32 exec_lo, exec_lo, s0
	scratch_load_b64 v[61:62], off, off offset:88
	s_mov_b32 s0, exec_lo
	s_waitcnt vmcnt(0)
	ds_store_b64 v64, v[61:62]
	s_waitcnt lgkmcnt(0)
	s_waitcnt_vscnt null, 0x0
	s_barrier
	buffer_gl0_inv
	v_cmpx_gt_u32_e32 11, v0
	s_cbranch_execz .LBB93_394
; %bb.385:
	v_cmp_ne_u32_e32 vcc_lo, 1, v66
	s_cbranch_vccnz .LBB93_387
; %bb.386:
	scratch_load_b64 v[61:62], v65, off
	ds_load_b64 v[67:68], v64
	s_waitcnt vmcnt(0) lgkmcnt(0)
	v_mul_f64 v[61:62], v[61:62], v[67:68]
	s_cbranch_execz .LBB93_388
	s_branch .LBB93_389
.LBB93_387:
                                        ; implicit-def: $vgpr61_vgpr62
.LBB93_388:
	ds_load_b64 v[61:62], v64
.LBB93_389:
	s_mov_b32 s1, exec_lo
	v_cmpx_ne_u32_e32 10, v0
	s_cbranch_execz .LBB93_393
; %bb.390:
	v_add_nc_u32_e32 v67, 0xf8, v63
	v_add3_u32 v68, 0, v63, 8
	v_mov_b32_e32 v69, v0
	s_mov_b32 s2, 0
.LBB93_391:                             ; =>This Inner Loop Header: Depth=1
	scratch_load_b64 v[70:71], v68, off
	ds_load_b64 v[72:73], v67
	v_add_nc_u32_e32 v69, 1, v69
	v_add_nc_u32_e32 v67, 8, v67
	v_add_nc_u32_e32 v68, 8, v68
	s_delay_alu instid0(VALU_DEP_3)
	v_cmp_lt_u32_e32 vcc_lo, 9, v69
	s_or_b32 s2, vcc_lo, s2
	s_waitcnt vmcnt(0) lgkmcnt(0)
	v_fma_f64 v[61:62], v[70:71], v[72:73], v[61:62]
	s_and_not1_b32 exec_lo, exec_lo, s2
	s_cbranch_execnz .LBB93_391
; %bb.392:
	s_or_b32 exec_lo, exec_lo, s2
.LBB93_393:
	s_delay_alu instid0(SALU_CYCLE_1)
	s_or_b32 exec_lo, exec_lo, s1
	v_mov_b32_e32 v67, 0
	ds_load_b64 v[67:68], v67 offset:88
	s_waitcnt lgkmcnt(0)
	v_mul_f64 v[61:62], v[61:62], v[67:68]
	scratch_store_b64 off, v[61:62], off offset:88
.LBB93_394:
	s_or_b32 exec_lo, exec_lo, s0
	scratch_load_b64 v[61:62], off, off offset:96
	s_mov_b32 s0, exec_lo
	s_waitcnt vmcnt(0)
	ds_store_b64 v64, v[61:62]
	s_waitcnt lgkmcnt(0)
	s_waitcnt_vscnt null, 0x0
	s_barrier
	buffer_gl0_inv
	v_cmpx_gt_u32_e32 12, v0
	s_cbranch_execz .LBB93_404
; %bb.395:
	v_cmp_ne_u32_e32 vcc_lo, 1, v66
	s_cbranch_vccnz .LBB93_397
; %bb.396:
	scratch_load_b64 v[61:62], v65, off
	ds_load_b64 v[67:68], v64
	s_waitcnt vmcnt(0) lgkmcnt(0)
	v_mul_f64 v[61:62], v[61:62], v[67:68]
	s_cbranch_execz .LBB93_398
	s_branch .LBB93_399
.LBB93_397:
                                        ; implicit-def: $vgpr61_vgpr62
.LBB93_398:
	ds_load_b64 v[61:62], v64
.LBB93_399:
	s_mov_b32 s1, exec_lo
	v_cmpx_ne_u32_e32 11, v0
	s_cbranch_execz .LBB93_403
; %bb.400:
	v_add_nc_u32_e32 v67, 0xf8, v63
	v_add3_u32 v68, 0, v63, 8
	v_mov_b32_e32 v69, v0
	s_mov_b32 s2, 0
.LBB93_401:                             ; =>This Inner Loop Header: Depth=1
	scratch_load_b64 v[70:71], v68, off
	ds_load_b64 v[72:73], v67
	v_add_nc_u32_e32 v69, 1, v69
	v_add_nc_u32_e32 v67, 8, v67
	v_add_nc_u32_e32 v68, 8, v68
	s_delay_alu instid0(VALU_DEP_3)
	v_cmp_lt_u32_e32 vcc_lo, 10, v69
	s_or_b32 s2, vcc_lo, s2
	s_waitcnt vmcnt(0) lgkmcnt(0)
	v_fma_f64 v[61:62], v[70:71], v[72:73], v[61:62]
	s_and_not1_b32 exec_lo, exec_lo, s2
	s_cbranch_execnz .LBB93_401
; %bb.402:
	s_or_b32 exec_lo, exec_lo, s2
.LBB93_403:
	s_delay_alu instid0(SALU_CYCLE_1)
	s_or_b32 exec_lo, exec_lo, s1
	v_mov_b32_e32 v67, 0
	ds_load_b64 v[67:68], v67 offset:96
	s_waitcnt lgkmcnt(0)
	v_mul_f64 v[61:62], v[61:62], v[67:68]
	scratch_store_b64 off, v[61:62], off offset:96
.LBB93_404:
	s_or_b32 exec_lo, exec_lo, s0
	scratch_load_b64 v[61:62], off, off offset:104
	s_mov_b32 s0, exec_lo
	s_waitcnt vmcnt(0)
	ds_store_b64 v64, v[61:62]
	s_waitcnt lgkmcnt(0)
	s_waitcnt_vscnt null, 0x0
	s_barrier
	buffer_gl0_inv
	v_cmpx_gt_u32_e32 13, v0
	s_cbranch_execz .LBB93_414
; %bb.405:
	v_cmp_ne_u32_e32 vcc_lo, 1, v66
	s_cbranch_vccnz .LBB93_407
; %bb.406:
	scratch_load_b64 v[61:62], v65, off
	ds_load_b64 v[67:68], v64
	s_waitcnt vmcnt(0) lgkmcnt(0)
	v_mul_f64 v[61:62], v[61:62], v[67:68]
	s_cbranch_execz .LBB93_408
	s_branch .LBB93_409
.LBB93_407:
                                        ; implicit-def: $vgpr61_vgpr62
.LBB93_408:
	ds_load_b64 v[61:62], v64
.LBB93_409:
	s_mov_b32 s1, exec_lo
	v_cmpx_ne_u32_e32 12, v0
	s_cbranch_execz .LBB93_413
; %bb.410:
	v_add_nc_u32_e32 v67, 0xf8, v63
	v_add3_u32 v68, 0, v63, 8
	v_mov_b32_e32 v69, v0
	s_mov_b32 s2, 0
.LBB93_411:                             ; =>This Inner Loop Header: Depth=1
	scratch_load_b64 v[70:71], v68, off
	ds_load_b64 v[72:73], v67
	v_add_nc_u32_e32 v69, 1, v69
	v_add_nc_u32_e32 v67, 8, v67
	v_add_nc_u32_e32 v68, 8, v68
	s_delay_alu instid0(VALU_DEP_3)
	v_cmp_lt_u32_e32 vcc_lo, 11, v69
	s_or_b32 s2, vcc_lo, s2
	s_waitcnt vmcnt(0) lgkmcnt(0)
	v_fma_f64 v[61:62], v[70:71], v[72:73], v[61:62]
	s_and_not1_b32 exec_lo, exec_lo, s2
	s_cbranch_execnz .LBB93_411
; %bb.412:
	s_or_b32 exec_lo, exec_lo, s2
.LBB93_413:
	s_delay_alu instid0(SALU_CYCLE_1)
	s_or_b32 exec_lo, exec_lo, s1
	v_mov_b32_e32 v67, 0
	ds_load_b64 v[67:68], v67 offset:104
	s_waitcnt lgkmcnt(0)
	v_mul_f64 v[61:62], v[61:62], v[67:68]
	scratch_store_b64 off, v[61:62], off offset:104
.LBB93_414:
	s_or_b32 exec_lo, exec_lo, s0
	scratch_load_b64 v[61:62], off, off offset:112
	s_mov_b32 s0, exec_lo
	s_waitcnt vmcnt(0)
	ds_store_b64 v64, v[61:62]
	s_waitcnt lgkmcnt(0)
	s_waitcnt_vscnt null, 0x0
	s_barrier
	buffer_gl0_inv
	v_cmpx_gt_u32_e32 14, v0
	s_cbranch_execz .LBB93_424
; %bb.415:
	v_cmp_ne_u32_e32 vcc_lo, 1, v66
	s_cbranch_vccnz .LBB93_417
; %bb.416:
	scratch_load_b64 v[61:62], v65, off
	ds_load_b64 v[67:68], v64
	s_waitcnt vmcnt(0) lgkmcnt(0)
	v_mul_f64 v[61:62], v[61:62], v[67:68]
	s_cbranch_execz .LBB93_418
	s_branch .LBB93_419
.LBB93_417:
                                        ; implicit-def: $vgpr61_vgpr62
.LBB93_418:
	ds_load_b64 v[61:62], v64
.LBB93_419:
	s_mov_b32 s1, exec_lo
	v_cmpx_ne_u32_e32 13, v0
	s_cbranch_execz .LBB93_423
; %bb.420:
	v_add_nc_u32_e32 v67, 0xf8, v63
	v_add3_u32 v68, 0, v63, 8
	v_mov_b32_e32 v69, v0
	s_mov_b32 s2, 0
.LBB93_421:                             ; =>This Inner Loop Header: Depth=1
	scratch_load_b64 v[70:71], v68, off
	ds_load_b64 v[72:73], v67
	v_add_nc_u32_e32 v69, 1, v69
	v_add_nc_u32_e32 v67, 8, v67
	v_add_nc_u32_e32 v68, 8, v68
	s_delay_alu instid0(VALU_DEP_3)
	v_cmp_lt_u32_e32 vcc_lo, 12, v69
	s_or_b32 s2, vcc_lo, s2
	s_waitcnt vmcnt(0) lgkmcnt(0)
	v_fma_f64 v[61:62], v[70:71], v[72:73], v[61:62]
	s_and_not1_b32 exec_lo, exec_lo, s2
	s_cbranch_execnz .LBB93_421
; %bb.422:
	s_or_b32 exec_lo, exec_lo, s2
.LBB93_423:
	s_delay_alu instid0(SALU_CYCLE_1)
	s_or_b32 exec_lo, exec_lo, s1
	v_mov_b32_e32 v67, 0
	ds_load_b64 v[67:68], v67 offset:112
	s_waitcnt lgkmcnt(0)
	v_mul_f64 v[61:62], v[61:62], v[67:68]
	scratch_store_b64 off, v[61:62], off offset:112
.LBB93_424:
	s_or_b32 exec_lo, exec_lo, s0
	scratch_load_b64 v[61:62], off, off offset:120
	s_mov_b32 s0, exec_lo
	s_waitcnt vmcnt(0)
	ds_store_b64 v64, v[61:62]
	s_waitcnt lgkmcnt(0)
	s_waitcnt_vscnt null, 0x0
	s_barrier
	buffer_gl0_inv
	v_cmpx_gt_u32_e32 15, v0
	s_cbranch_execz .LBB93_434
; %bb.425:
	v_cmp_ne_u32_e32 vcc_lo, 1, v66
	s_cbranch_vccnz .LBB93_427
; %bb.426:
	scratch_load_b64 v[61:62], v65, off
	ds_load_b64 v[67:68], v64
	s_waitcnt vmcnt(0) lgkmcnt(0)
	v_mul_f64 v[61:62], v[61:62], v[67:68]
	s_cbranch_execz .LBB93_428
	s_branch .LBB93_429
.LBB93_427:
                                        ; implicit-def: $vgpr61_vgpr62
.LBB93_428:
	ds_load_b64 v[61:62], v64
.LBB93_429:
	s_mov_b32 s1, exec_lo
	v_cmpx_ne_u32_e32 14, v0
	s_cbranch_execz .LBB93_433
; %bb.430:
	v_add_nc_u32_e32 v67, 0xf8, v63
	v_add3_u32 v68, 0, v63, 8
	v_mov_b32_e32 v69, v0
	s_mov_b32 s2, 0
.LBB93_431:                             ; =>This Inner Loop Header: Depth=1
	scratch_load_b64 v[70:71], v68, off
	ds_load_b64 v[72:73], v67
	v_add_nc_u32_e32 v69, 1, v69
	v_add_nc_u32_e32 v67, 8, v67
	v_add_nc_u32_e32 v68, 8, v68
	s_delay_alu instid0(VALU_DEP_3)
	v_cmp_lt_u32_e32 vcc_lo, 13, v69
	s_or_b32 s2, vcc_lo, s2
	s_waitcnt vmcnt(0) lgkmcnt(0)
	v_fma_f64 v[61:62], v[70:71], v[72:73], v[61:62]
	s_and_not1_b32 exec_lo, exec_lo, s2
	s_cbranch_execnz .LBB93_431
; %bb.432:
	s_or_b32 exec_lo, exec_lo, s2
.LBB93_433:
	s_delay_alu instid0(SALU_CYCLE_1)
	s_or_b32 exec_lo, exec_lo, s1
	v_mov_b32_e32 v67, 0
	ds_load_b64 v[67:68], v67 offset:120
	s_waitcnt lgkmcnt(0)
	v_mul_f64 v[61:62], v[61:62], v[67:68]
	scratch_store_b64 off, v[61:62], off offset:120
.LBB93_434:
	s_or_b32 exec_lo, exec_lo, s0
	scratch_load_b64 v[61:62], off, off offset:128
	s_mov_b32 s0, exec_lo
	s_waitcnt vmcnt(0)
	ds_store_b64 v64, v[61:62]
	s_waitcnt lgkmcnt(0)
	s_waitcnt_vscnt null, 0x0
	s_barrier
	buffer_gl0_inv
	v_cmpx_gt_u32_e32 16, v0
	s_cbranch_execz .LBB93_444
; %bb.435:
	v_cmp_ne_u32_e32 vcc_lo, 1, v66
	s_cbranch_vccnz .LBB93_437
; %bb.436:
	scratch_load_b64 v[61:62], v65, off
	ds_load_b64 v[67:68], v64
	s_waitcnt vmcnt(0) lgkmcnt(0)
	v_mul_f64 v[61:62], v[61:62], v[67:68]
	s_cbranch_execz .LBB93_438
	s_branch .LBB93_439
.LBB93_437:
                                        ; implicit-def: $vgpr61_vgpr62
.LBB93_438:
	ds_load_b64 v[61:62], v64
.LBB93_439:
	s_mov_b32 s1, exec_lo
	v_cmpx_ne_u32_e32 15, v0
	s_cbranch_execz .LBB93_443
; %bb.440:
	v_add_nc_u32_e32 v67, 0xf8, v63
	v_add3_u32 v68, 0, v63, 8
	v_mov_b32_e32 v69, v0
	s_mov_b32 s2, 0
.LBB93_441:                             ; =>This Inner Loop Header: Depth=1
	scratch_load_b64 v[70:71], v68, off
	ds_load_b64 v[72:73], v67
	v_add_nc_u32_e32 v69, 1, v69
	v_add_nc_u32_e32 v67, 8, v67
	v_add_nc_u32_e32 v68, 8, v68
	s_delay_alu instid0(VALU_DEP_3)
	v_cmp_lt_u32_e32 vcc_lo, 14, v69
	s_or_b32 s2, vcc_lo, s2
	s_waitcnt vmcnt(0) lgkmcnt(0)
	v_fma_f64 v[61:62], v[70:71], v[72:73], v[61:62]
	s_and_not1_b32 exec_lo, exec_lo, s2
	s_cbranch_execnz .LBB93_441
; %bb.442:
	s_or_b32 exec_lo, exec_lo, s2
.LBB93_443:
	s_delay_alu instid0(SALU_CYCLE_1)
	s_or_b32 exec_lo, exec_lo, s1
	v_mov_b32_e32 v67, 0
	ds_load_b64 v[67:68], v67 offset:128
	s_waitcnt lgkmcnt(0)
	v_mul_f64 v[61:62], v[61:62], v[67:68]
	scratch_store_b64 off, v[61:62], off offset:128
.LBB93_444:
	s_or_b32 exec_lo, exec_lo, s0
	scratch_load_b64 v[61:62], off, off offset:136
	s_mov_b32 s0, exec_lo
	s_waitcnt vmcnt(0)
	ds_store_b64 v64, v[61:62]
	s_waitcnt lgkmcnt(0)
	s_waitcnt_vscnt null, 0x0
	s_barrier
	buffer_gl0_inv
	v_cmpx_gt_u32_e32 17, v0
	s_cbranch_execz .LBB93_454
; %bb.445:
	v_cmp_ne_u32_e32 vcc_lo, 1, v66
	s_cbranch_vccnz .LBB93_447
; %bb.446:
	scratch_load_b64 v[61:62], v65, off
	ds_load_b64 v[67:68], v64
	s_waitcnt vmcnt(0) lgkmcnt(0)
	v_mul_f64 v[61:62], v[61:62], v[67:68]
	s_cbranch_execz .LBB93_448
	s_branch .LBB93_449
.LBB93_447:
                                        ; implicit-def: $vgpr61_vgpr62
.LBB93_448:
	ds_load_b64 v[61:62], v64
.LBB93_449:
	s_mov_b32 s1, exec_lo
	v_cmpx_ne_u32_e32 16, v0
	s_cbranch_execz .LBB93_453
; %bb.450:
	v_add_nc_u32_e32 v67, 0xf8, v63
	v_add3_u32 v68, 0, v63, 8
	v_mov_b32_e32 v69, v0
	s_mov_b32 s2, 0
.LBB93_451:                             ; =>This Inner Loop Header: Depth=1
	scratch_load_b64 v[70:71], v68, off
	ds_load_b64 v[72:73], v67
	v_add_nc_u32_e32 v69, 1, v69
	v_add_nc_u32_e32 v67, 8, v67
	v_add_nc_u32_e32 v68, 8, v68
	s_delay_alu instid0(VALU_DEP_3)
	v_cmp_lt_u32_e32 vcc_lo, 15, v69
	s_or_b32 s2, vcc_lo, s2
	s_waitcnt vmcnt(0) lgkmcnt(0)
	v_fma_f64 v[61:62], v[70:71], v[72:73], v[61:62]
	s_and_not1_b32 exec_lo, exec_lo, s2
	s_cbranch_execnz .LBB93_451
; %bb.452:
	s_or_b32 exec_lo, exec_lo, s2
.LBB93_453:
	s_delay_alu instid0(SALU_CYCLE_1)
	s_or_b32 exec_lo, exec_lo, s1
	v_mov_b32_e32 v67, 0
	ds_load_b64 v[67:68], v67 offset:136
	s_waitcnt lgkmcnt(0)
	v_mul_f64 v[61:62], v[61:62], v[67:68]
	scratch_store_b64 off, v[61:62], off offset:136
.LBB93_454:
	s_or_b32 exec_lo, exec_lo, s0
	scratch_load_b64 v[61:62], off, off offset:144
	s_mov_b32 s0, exec_lo
	s_waitcnt vmcnt(0)
	ds_store_b64 v64, v[61:62]
	s_waitcnt lgkmcnt(0)
	s_waitcnt_vscnt null, 0x0
	s_barrier
	buffer_gl0_inv
	v_cmpx_gt_u32_e32 18, v0
	s_cbranch_execz .LBB93_464
; %bb.455:
	v_cmp_ne_u32_e32 vcc_lo, 1, v66
	s_cbranch_vccnz .LBB93_457
; %bb.456:
	scratch_load_b64 v[61:62], v65, off
	ds_load_b64 v[67:68], v64
	s_waitcnt vmcnt(0) lgkmcnt(0)
	v_mul_f64 v[61:62], v[61:62], v[67:68]
	s_cbranch_execz .LBB93_458
	s_branch .LBB93_459
.LBB93_457:
                                        ; implicit-def: $vgpr61_vgpr62
.LBB93_458:
	ds_load_b64 v[61:62], v64
.LBB93_459:
	s_mov_b32 s1, exec_lo
	v_cmpx_ne_u32_e32 17, v0
	s_cbranch_execz .LBB93_463
; %bb.460:
	v_add_nc_u32_e32 v67, 0xf8, v63
	v_add3_u32 v68, 0, v63, 8
	v_mov_b32_e32 v69, v0
	s_mov_b32 s2, 0
.LBB93_461:                             ; =>This Inner Loop Header: Depth=1
	scratch_load_b64 v[70:71], v68, off
	ds_load_b64 v[72:73], v67
	v_add_nc_u32_e32 v69, 1, v69
	v_add_nc_u32_e32 v67, 8, v67
	v_add_nc_u32_e32 v68, 8, v68
	s_delay_alu instid0(VALU_DEP_3)
	v_cmp_lt_u32_e32 vcc_lo, 16, v69
	s_or_b32 s2, vcc_lo, s2
	s_waitcnt vmcnt(0) lgkmcnt(0)
	v_fma_f64 v[61:62], v[70:71], v[72:73], v[61:62]
	s_and_not1_b32 exec_lo, exec_lo, s2
	s_cbranch_execnz .LBB93_461
; %bb.462:
	s_or_b32 exec_lo, exec_lo, s2
.LBB93_463:
	s_delay_alu instid0(SALU_CYCLE_1)
	s_or_b32 exec_lo, exec_lo, s1
	v_mov_b32_e32 v67, 0
	ds_load_b64 v[67:68], v67 offset:144
	s_waitcnt lgkmcnt(0)
	v_mul_f64 v[61:62], v[61:62], v[67:68]
	scratch_store_b64 off, v[61:62], off offset:144
.LBB93_464:
	s_or_b32 exec_lo, exec_lo, s0
	scratch_load_b64 v[61:62], off, off offset:152
	s_mov_b32 s0, exec_lo
	s_waitcnt vmcnt(0)
	ds_store_b64 v64, v[61:62]
	s_waitcnt lgkmcnt(0)
	s_waitcnt_vscnt null, 0x0
	s_barrier
	buffer_gl0_inv
	v_cmpx_gt_u32_e32 19, v0
	s_cbranch_execz .LBB93_474
; %bb.465:
	v_cmp_ne_u32_e32 vcc_lo, 1, v66
	s_cbranch_vccnz .LBB93_467
; %bb.466:
	scratch_load_b64 v[61:62], v65, off
	ds_load_b64 v[67:68], v64
	s_waitcnt vmcnt(0) lgkmcnt(0)
	v_mul_f64 v[61:62], v[61:62], v[67:68]
	s_cbranch_execz .LBB93_468
	s_branch .LBB93_469
.LBB93_467:
                                        ; implicit-def: $vgpr61_vgpr62
.LBB93_468:
	ds_load_b64 v[61:62], v64
.LBB93_469:
	s_mov_b32 s1, exec_lo
	v_cmpx_ne_u32_e32 18, v0
	s_cbranch_execz .LBB93_473
; %bb.470:
	v_add_nc_u32_e32 v67, 0xf8, v63
	v_add3_u32 v68, 0, v63, 8
	v_mov_b32_e32 v69, v0
	s_mov_b32 s2, 0
.LBB93_471:                             ; =>This Inner Loop Header: Depth=1
	scratch_load_b64 v[70:71], v68, off
	ds_load_b64 v[72:73], v67
	v_add_nc_u32_e32 v69, 1, v69
	v_add_nc_u32_e32 v67, 8, v67
	v_add_nc_u32_e32 v68, 8, v68
	s_delay_alu instid0(VALU_DEP_3)
	v_cmp_lt_u32_e32 vcc_lo, 17, v69
	s_or_b32 s2, vcc_lo, s2
	s_waitcnt vmcnt(0) lgkmcnt(0)
	v_fma_f64 v[61:62], v[70:71], v[72:73], v[61:62]
	s_and_not1_b32 exec_lo, exec_lo, s2
	s_cbranch_execnz .LBB93_471
; %bb.472:
	s_or_b32 exec_lo, exec_lo, s2
.LBB93_473:
	s_delay_alu instid0(SALU_CYCLE_1)
	s_or_b32 exec_lo, exec_lo, s1
	v_mov_b32_e32 v67, 0
	ds_load_b64 v[67:68], v67 offset:152
	s_waitcnt lgkmcnt(0)
	v_mul_f64 v[61:62], v[61:62], v[67:68]
	scratch_store_b64 off, v[61:62], off offset:152
.LBB93_474:
	s_or_b32 exec_lo, exec_lo, s0
	scratch_load_b64 v[61:62], off, off offset:160
	s_mov_b32 s0, exec_lo
	s_waitcnt vmcnt(0)
	ds_store_b64 v64, v[61:62]
	s_waitcnt lgkmcnt(0)
	s_waitcnt_vscnt null, 0x0
	s_barrier
	buffer_gl0_inv
	v_cmpx_gt_u32_e32 20, v0
	s_cbranch_execz .LBB93_484
; %bb.475:
	v_cmp_ne_u32_e32 vcc_lo, 1, v66
	s_cbranch_vccnz .LBB93_477
; %bb.476:
	scratch_load_b64 v[61:62], v65, off
	ds_load_b64 v[67:68], v64
	s_waitcnt vmcnt(0) lgkmcnt(0)
	v_mul_f64 v[61:62], v[61:62], v[67:68]
	s_cbranch_execz .LBB93_478
	s_branch .LBB93_479
.LBB93_477:
                                        ; implicit-def: $vgpr61_vgpr62
.LBB93_478:
	ds_load_b64 v[61:62], v64
.LBB93_479:
	s_mov_b32 s1, exec_lo
	v_cmpx_ne_u32_e32 19, v0
	s_cbranch_execz .LBB93_483
; %bb.480:
	v_add_nc_u32_e32 v67, 0xf8, v63
	v_add3_u32 v68, 0, v63, 8
	v_mov_b32_e32 v69, v0
	s_mov_b32 s2, 0
.LBB93_481:                             ; =>This Inner Loop Header: Depth=1
	scratch_load_b64 v[70:71], v68, off
	ds_load_b64 v[72:73], v67
	v_add_nc_u32_e32 v69, 1, v69
	v_add_nc_u32_e32 v67, 8, v67
	v_add_nc_u32_e32 v68, 8, v68
	s_delay_alu instid0(VALU_DEP_3)
	v_cmp_lt_u32_e32 vcc_lo, 18, v69
	s_or_b32 s2, vcc_lo, s2
	s_waitcnt vmcnt(0) lgkmcnt(0)
	v_fma_f64 v[61:62], v[70:71], v[72:73], v[61:62]
	s_and_not1_b32 exec_lo, exec_lo, s2
	s_cbranch_execnz .LBB93_481
; %bb.482:
	s_or_b32 exec_lo, exec_lo, s2
.LBB93_483:
	s_delay_alu instid0(SALU_CYCLE_1)
	s_or_b32 exec_lo, exec_lo, s1
	v_mov_b32_e32 v67, 0
	ds_load_b64 v[67:68], v67 offset:160
	s_waitcnt lgkmcnt(0)
	v_mul_f64 v[61:62], v[61:62], v[67:68]
	scratch_store_b64 off, v[61:62], off offset:160
.LBB93_484:
	s_or_b32 exec_lo, exec_lo, s0
	scratch_load_b64 v[61:62], off, off offset:168
	s_mov_b32 s0, exec_lo
	s_waitcnt vmcnt(0)
	ds_store_b64 v64, v[61:62]
	s_waitcnt lgkmcnt(0)
	s_waitcnt_vscnt null, 0x0
	s_barrier
	buffer_gl0_inv
	v_cmpx_gt_u32_e32 21, v0
	s_cbranch_execz .LBB93_494
; %bb.485:
	v_cmp_ne_u32_e32 vcc_lo, 1, v66
	s_cbranch_vccnz .LBB93_487
; %bb.486:
	scratch_load_b64 v[61:62], v65, off
	ds_load_b64 v[67:68], v64
	s_waitcnt vmcnt(0) lgkmcnt(0)
	v_mul_f64 v[61:62], v[61:62], v[67:68]
	s_cbranch_execz .LBB93_488
	s_branch .LBB93_489
.LBB93_487:
                                        ; implicit-def: $vgpr61_vgpr62
.LBB93_488:
	ds_load_b64 v[61:62], v64
.LBB93_489:
	s_mov_b32 s1, exec_lo
	v_cmpx_ne_u32_e32 20, v0
	s_cbranch_execz .LBB93_493
; %bb.490:
	v_add_nc_u32_e32 v67, 0xf8, v63
	v_add3_u32 v68, 0, v63, 8
	v_mov_b32_e32 v69, v0
	s_mov_b32 s2, 0
.LBB93_491:                             ; =>This Inner Loop Header: Depth=1
	scratch_load_b64 v[70:71], v68, off
	ds_load_b64 v[72:73], v67
	v_add_nc_u32_e32 v69, 1, v69
	v_add_nc_u32_e32 v67, 8, v67
	v_add_nc_u32_e32 v68, 8, v68
	s_delay_alu instid0(VALU_DEP_3)
	v_cmp_lt_u32_e32 vcc_lo, 19, v69
	s_or_b32 s2, vcc_lo, s2
	s_waitcnt vmcnt(0) lgkmcnt(0)
	v_fma_f64 v[61:62], v[70:71], v[72:73], v[61:62]
	s_and_not1_b32 exec_lo, exec_lo, s2
	s_cbranch_execnz .LBB93_491
; %bb.492:
	s_or_b32 exec_lo, exec_lo, s2
.LBB93_493:
	s_delay_alu instid0(SALU_CYCLE_1)
	s_or_b32 exec_lo, exec_lo, s1
	v_mov_b32_e32 v67, 0
	ds_load_b64 v[67:68], v67 offset:168
	s_waitcnt lgkmcnt(0)
	v_mul_f64 v[61:62], v[61:62], v[67:68]
	scratch_store_b64 off, v[61:62], off offset:168
.LBB93_494:
	s_or_b32 exec_lo, exec_lo, s0
	scratch_load_b64 v[61:62], off, off offset:176
	s_mov_b32 s0, exec_lo
	s_waitcnt vmcnt(0)
	ds_store_b64 v64, v[61:62]
	s_waitcnt lgkmcnt(0)
	s_waitcnt_vscnt null, 0x0
	s_barrier
	buffer_gl0_inv
	v_cmpx_gt_u32_e32 22, v0
	s_cbranch_execz .LBB93_504
; %bb.495:
	v_cmp_ne_u32_e32 vcc_lo, 1, v66
	s_cbranch_vccnz .LBB93_497
; %bb.496:
	scratch_load_b64 v[61:62], v65, off
	ds_load_b64 v[67:68], v64
	s_waitcnt vmcnt(0) lgkmcnt(0)
	v_mul_f64 v[61:62], v[61:62], v[67:68]
	s_cbranch_execz .LBB93_498
	s_branch .LBB93_499
.LBB93_497:
                                        ; implicit-def: $vgpr61_vgpr62
.LBB93_498:
	ds_load_b64 v[61:62], v64
.LBB93_499:
	s_mov_b32 s1, exec_lo
	v_cmpx_ne_u32_e32 21, v0
	s_cbranch_execz .LBB93_503
; %bb.500:
	v_add_nc_u32_e32 v67, 0xf8, v63
	v_add3_u32 v68, 0, v63, 8
	v_mov_b32_e32 v69, v0
	s_mov_b32 s2, 0
.LBB93_501:                             ; =>This Inner Loop Header: Depth=1
	scratch_load_b64 v[70:71], v68, off
	ds_load_b64 v[72:73], v67
	v_add_nc_u32_e32 v69, 1, v69
	v_add_nc_u32_e32 v67, 8, v67
	v_add_nc_u32_e32 v68, 8, v68
	s_delay_alu instid0(VALU_DEP_3)
	v_cmp_lt_u32_e32 vcc_lo, 20, v69
	s_or_b32 s2, vcc_lo, s2
	s_waitcnt vmcnt(0) lgkmcnt(0)
	v_fma_f64 v[61:62], v[70:71], v[72:73], v[61:62]
	s_and_not1_b32 exec_lo, exec_lo, s2
	s_cbranch_execnz .LBB93_501
; %bb.502:
	s_or_b32 exec_lo, exec_lo, s2
.LBB93_503:
	s_delay_alu instid0(SALU_CYCLE_1)
	s_or_b32 exec_lo, exec_lo, s1
	v_mov_b32_e32 v67, 0
	ds_load_b64 v[67:68], v67 offset:176
	s_waitcnt lgkmcnt(0)
	v_mul_f64 v[61:62], v[61:62], v[67:68]
	scratch_store_b64 off, v[61:62], off offset:176
.LBB93_504:
	s_or_b32 exec_lo, exec_lo, s0
	scratch_load_b64 v[61:62], off, off offset:184
	s_mov_b32 s0, exec_lo
	s_waitcnt vmcnt(0)
	ds_store_b64 v64, v[61:62]
	s_waitcnt lgkmcnt(0)
	s_waitcnt_vscnt null, 0x0
	s_barrier
	buffer_gl0_inv
	v_cmpx_gt_u32_e32 23, v0
	s_cbranch_execz .LBB93_514
; %bb.505:
	v_cmp_ne_u32_e32 vcc_lo, 1, v66
	s_cbranch_vccnz .LBB93_507
; %bb.506:
	scratch_load_b64 v[61:62], v65, off
	ds_load_b64 v[67:68], v64
	s_waitcnt vmcnt(0) lgkmcnt(0)
	v_mul_f64 v[61:62], v[61:62], v[67:68]
	s_cbranch_execz .LBB93_508
	s_branch .LBB93_509
.LBB93_507:
                                        ; implicit-def: $vgpr61_vgpr62
.LBB93_508:
	ds_load_b64 v[61:62], v64
.LBB93_509:
	s_mov_b32 s1, exec_lo
	v_cmpx_ne_u32_e32 22, v0
	s_cbranch_execz .LBB93_513
; %bb.510:
	v_add_nc_u32_e32 v67, 0xf8, v63
	v_add3_u32 v68, 0, v63, 8
	v_mov_b32_e32 v69, v0
	s_mov_b32 s2, 0
.LBB93_511:                             ; =>This Inner Loop Header: Depth=1
	scratch_load_b64 v[70:71], v68, off
	ds_load_b64 v[72:73], v67
	v_add_nc_u32_e32 v69, 1, v69
	v_add_nc_u32_e32 v67, 8, v67
	v_add_nc_u32_e32 v68, 8, v68
	s_delay_alu instid0(VALU_DEP_3)
	v_cmp_lt_u32_e32 vcc_lo, 21, v69
	s_or_b32 s2, vcc_lo, s2
	s_waitcnt vmcnt(0) lgkmcnt(0)
	v_fma_f64 v[61:62], v[70:71], v[72:73], v[61:62]
	s_and_not1_b32 exec_lo, exec_lo, s2
	s_cbranch_execnz .LBB93_511
; %bb.512:
	s_or_b32 exec_lo, exec_lo, s2
.LBB93_513:
	s_delay_alu instid0(SALU_CYCLE_1)
	s_or_b32 exec_lo, exec_lo, s1
	v_mov_b32_e32 v67, 0
	ds_load_b64 v[67:68], v67 offset:184
	s_waitcnt lgkmcnt(0)
	v_mul_f64 v[61:62], v[61:62], v[67:68]
	scratch_store_b64 off, v[61:62], off offset:184
.LBB93_514:
	s_or_b32 exec_lo, exec_lo, s0
	scratch_load_b64 v[61:62], off, off offset:192
	s_mov_b32 s0, exec_lo
	s_waitcnt vmcnt(0)
	ds_store_b64 v64, v[61:62]
	s_waitcnt lgkmcnt(0)
	s_waitcnt_vscnt null, 0x0
	s_barrier
	buffer_gl0_inv
	v_cmpx_gt_u32_e32 24, v0
	s_cbranch_execz .LBB93_524
; %bb.515:
	v_cmp_ne_u32_e32 vcc_lo, 1, v66
	s_cbranch_vccnz .LBB93_517
; %bb.516:
	scratch_load_b64 v[61:62], v65, off
	ds_load_b64 v[67:68], v64
	s_waitcnt vmcnt(0) lgkmcnt(0)
	v_mul_f64 v[61:62], v[61:62], v[67:68]
	s_cbranch_execz .LBB93_518
	s_branch .LBB93_519
.LBB93_517:
                                        ; implicit-def: $vgpr61_vgpr62
.LBB93_518:
	ds_load_b64 v[61:62], v64
.LBB93_519:
	s_mov_b32 s1, exec_lo
	v_cmpx_ne_u32_e32 23, v0
	s_cbranch_execz .LBB93_523
; %bb.520:
	v_add_nc_u32_e32 v67, 0xf8, v63
	v_add3_u32 v68, 0, v63, 8
	v_mov_b32_e32 v69, v0
	s_mov_b32 s2, 0
.LBB93_521:                             ; =>This Inner Loop Header: Depth=1
	scratch_load_b64 v[70:71], v68, off
	ds_load_b64 v[72:73], v67
	v_add_nc_u32_e32 v69, 1, v69
	v_add_nc_u32_e32 v67, 8, v67
	v_add_nc_u32_e32 v68, 8, v68
	s_delay_alu instid0(VALU_DEP_3)
	v_cmp_lt_u32_e32 vcc_lo, 22, v69
	s_or_b32 s2, vcc_lo, s2
	s_waitcnt vmcnt(0) lgkmcnt(0)
	v_fma_f64 v[61:62], v[70:71], v[72:73], v[61:62]
	s_and_not1_b32 exec_lo, exec_lo, s2
	s_cbranch_execnz .LBB93_521
; %bb.522:
	s_or_b32 exec_lo, exec_lo, s2
.LBB93_523:
	s_delay_alu instid0(SALU_CYCLE_1)
	s_or_b32 exec_lo, exec_lo, s1
	v_mov_b32_e32 v67, 0
	ds_load_b64 v[67:68], v67 offset:192
	s_waitcnt lgkmcnt(0)
	v_mul_f64 v[61:62], v[61:62], v[67:68]
	scratch_store_b64 off, v[61:62], off offset:192
.LBB93_524:
	s_or_b32 exec_lo, exec_lo, s0
	scratch_load_b64 v[61:62], off, off offset:200
	s_mov_b32 s0, exec_lo
	s_waitcnt vmcnt(0)
	ds_store_b64 v64, v[61:62]
	s_waitcnt lgkmcnt(0)
	s_waitcnt_vscnt null, 0x0
	s_barrier
	buffer_gl0_inv
	v_cmpx_gt_u32_e32 25, v0
	s_cbranch_execz .LBB93_534
; %bb.525:
	v_cmp_ne_u32_e32 vcc_lo, 1, v66
	s_cbranch_vccnz .LBB93_527
; %bb.526:
	scratch_load_b64 v[61:62], v65, off
	ds_load_b64 v[67:68], v64
	s_waitcnt vmcnt(0) lgkmcnt(0)
	v_mul_f64 v[61:62], v[61:62], v[67:68]
	s_cbranch_execz .LBB93_528
	s_branch .LBB93_529
.LBB93_527:
                                        ; implicit-def: $vgpr61_vgpr62
.LBB93_528:
	ds_load_b64 v[61:62], v64
.LBB93_529:
	s_mov_b32 s1, exec_lo
	v_cmpx_ne_u32_e32 24, v0
	s_cbranch_execz .LBB93_533
; %bb.530:
	v_add_nc_u32_e32 v67, 0xf8, v63
	v_add3_u32 v68, 0, v63, 8
	v_mov_b32_e32 v69, v0
	s_mov_b32 s2, 0
.LBB93_531:                             ; =>This Inner Loop Header: Depth=1
	scratch_load_b64 v[70:71], v68, off
	ds_load_b64 v[72:73], v67
	v_add_nc_u32_e32 v69, 1, v69
	v_add_nc_u32_e32 v67, 8, v67
	v_add_nc_u32_e32 v68, 8, v68
	s_delay_alu instid0(VALU_DEP_3)
	v_cmp_lt_u32_e32 vcc_lo, 23, v69
	s_or_b32 s2, vcc_lo, s2
	s_waitcnt vmcnt(0) lgkmcnt(0)
	v_fma_f64 v[61:62], v[70:71], v[72:73], v[61:62]
	s_and_not1_b32 exec_lo, exec_lo, s2
	s_cbranch_execnz .LBB93_531
; %bb.532:
	s_or_b32 exec_lo, exec_lo, s2
.LBB93_533:
	s_delay_alu instid0(SALU_CYCLE_1)
	s_or_b32 exec_lo, exec_lo, s1
	v_mov_b32_e32 v67, 0
	ds_load_b64 v[67:68], v67 offset:200
	s_waitcnt lgkmcnt(0)
	v_mul_f64 v[61:62], v[61:62], v[67:68]
	scratch_store_b64 off, v[61:62], off offset:200
.LBB93_534:
	s_or_b32 exec_lo, exec_lo, s0
	scratch_load_b64 v[61:62], off, off offset:208
	s_mov_b32 s0, exec_lo
	s_waitcnt vmcnt(0)
	ds_store_b64 v64, v[61:62]
	s_waitcnt lgkmcnt(0)
	s_waitcnt_vscnt null, 0x0
	s_barrier
	buffer_gl0_inv
	v_cmpx_gt_u32_e32 26, v0
	s_cbranch_execz .LBB93_544
; %bb.535:
	v_cmp_ne_u32_e32 vcc_lo, 1, v66
	s_cbranch_vccnz .LBB93_537
; %bb.536:
	scratch_load_b64 v[61:62], v65, off
	ds_load_b64 v[67:68], v64
	s_waitcnt vmcnt(0) lgkmcnt(0)
	v_mul_f64 v[61:62], v[61:62], v[67:68]
	s_cbranch_execz .LBB93_538
	s_branch .LBB93_539
.LBB93_537:
                                        ; implicit-def: $vgpr61_vgpr62
.LBB93_538:
	ds_load_b64 v[61:62], v64
.LBB93_539:
	s_mov_b32 s1, exec_lo
	v_cmpx_ne_u32_e32 25, v0
	s_cbranch_execz .LBB93_543
; %bb.540:
	v_add_nc_u32_e32 v67, 0xf8, v63
	v_add3_u32 v68, 0, v63, 8
	v_mov_b32_e32 v69, v0
	s_mov_b32 s2, 0
.LBB93_541:                             ; =>This Inner Loop Header: Depth=1
	scratch_load_b64 v[70:71], v68, off
	ds_load_b64 v[72:73], v67
	v_add_nc_u32_e32 v69, 1, v69
	v_add_nc_u32_e32 v67, 8, v67
	v_add_nc_u32_e32 v68, 8, v68
	s_delay_alu instid0(VALU_DEP_3)
	v_cmp_lt_u32_e32 vcc_lo, 24, v69
	s_or_b32 s2, vcc_lo, s2
	s_waitcnt vmcnt(0) lgkmcnt(0)
	v_fma_f64 v[61:62], v[70:71], v[72:73], v[61:62]
	s_and_not1_b32 exec_lo, exec_lo, s2
	s_cbranch_execnz .LBB93_541
; %bb.542:
	s_or_b32 exec_lo, exec_lo, s2
.LBB93_543:
	s_delay_alu instid0(SALU_CYCLE_1)
	s_or_b32 exec_lo, exec_lo, s1
	v_mov_b32_e32 v67, 0
	ds_load_b64 v[67:68], v67 offset:208
	s_waitcnt lgkmcnt(0)
	v_mul_f64 v[61:62], v[61:62], v[67:68]
	scratch_store_b64 off, v[61:62], off offset:208
.LBB93_544:
	s_or_b32 exec_lo, exec_lo, s0
	scratch_load_b64 v[61:62], off, off offset:216
	s_mov_b32 s0, exec_lo
	s_waitcnt vmcnt(0)
	ds_store_b64 v64, v[61:62]
	s_waitcnt lgkmcnt(0)
	s_waitcnt_vscnt null, 0x0
	s_barrier
	buffer_gl0_inv
	v_cmpx_gt_u32_e32 27, v0
	s_cbranch_execz .LBB93_554
; %bb.545:
	v_cmp_ne_u32_e32 vcc_lo, 1, v66
	s_cbranch_vccnz .LBB93_547
; %bb.546:
	scratch_load_b64 v[61:62], v65, off
	ds_load_b64 v[67:68], v64
	s_waitcnt vmcnt(0) lgkmcnt(0)
	v_mul_f64 v[61:62], v[61:62], v[67:68]
	s_cbranch_execz .LBB93_548
	s_branch .LBB93_549
.LBB93_547:
                                        ; implicit-def: $vgpr61_vgpr62
.LBB93_548:
	ds_load_b64 v[61:62], v64
.LBB93_549:
	s_mov_b32 s1, exec_lo
	v_cmpx_ne_u32_e32 26, v0
	s_cbranch_execz .LBB93_553
; %bb.550:
	v_add_nc_u32_e32 v67, 0xf8, v63
	v_add3_u32 v68, 0, v63, 8
	v_mov_b32_e32 v69, v0
	s_mov_b32 s2, 0
.LBB93_551:                             ; =>This Inner Loop Header: Depth=1
	scratch_load_b64 v[70:71], v68, off
	ds_load_b64 v[72:73], v67
	v_add_nc_u32_e32 v69, 1, v69
	v_add_nc_u32_e32 v67, 8, v67
	v_add_nc_u32_e32 v68, 8, v68
	s_delay_alu instid0(VALU_DEP_3)
	v_cmp_lt_u32_e32 vcc_lo, 25, v69
	s_or_b32 s2, vcc_lo, s2
	s_waitcnt vmcnt(0) lgkmcnt(0)
	v_fma_f64 v[61:62], v[70:71], v[72:73], v[61:62]
	s_and_not1_b32 exec_lo, exec_lo, s2
	s_cbranch_execnz .LBB93_551
; %bb.552:
	s_or_b32 exec_lo, exec_lo, s2
.LBB93_553:
	s_delay_alu instid0(SALU_CYCLE_1)
	s_or_b32 exec_lo, exec_lo, s1
	v_mov_b32_e32 v67, 0
	ds_load_b64 v[67:68], v67 offset:216
	s_waitcnt lgkmcnt(0)
	v_mul_f64 v[61:62], v[61:62], v[67:68]
	scratch_store_b64 off, v[61:62], off offset:216
.LBB93_554:
	s_or_b32 exec_lo, exec_lo, s0
	scratch_load_b64 v[61:62], off, off offset:224
	v_cmp_gt_u32_e64 s0, 28, v0
	s_waitcnt vmcnt(0)
	ds_store_b64 v64, v[61:62]
	s_waitcnt lgkmcnt(0)
	s_waitcnt_vscnt null, 0x0
	s_barrier
	buffer_gl0_inv
	s_and_saveexec_b32 s1, s0
	s_cbranch_execz .LBB93_564
; %bb.555:
	v_cmp_ne_u32_e32 vcc_lo, 1, v66
	s_cbranch_vccnz .LBB93_557
; %bb.556:
	scratch_load_b64 v[61:62], v65, off
	ds_load_b64 v[67:68], v64
	s_waitcnt vmcnt(0) lgkmcnt(0)
	v_mul_f64 v[61:62], v[61:62], v[67:68]
	s_cbranch_execz .LBB93_558
	s_branch .LBB93_559
.LBB93_557:
                                        ; implicit-def: $vgpr61_vgpr62
.LBB93_558:
	ds_load_b64 v[61:62], v64
.LBB93_559:
	s_mov_b32 s2, exec_lo
	v_cmpx_ne_u32_e32 27, v0
	s_cbranch_execz .LBB93_563
; %bb.560:
	v_add_nc_u32_e32 v67, 0xf8, v63
	v_add3_u32 v68, 0, v63, 8
	v_mov_b32_e32 v69, v0
	s_mov_b32 s3, 0
.LBB93_561:                             ; =>This Inner Loop Header: Depth=1
	scratch_load_b64 v[70:71], v68, off
	ds_load_b64 v[72:73], v67
	v_add_nc_u32_e32 v69, 1, v69
	v_add_nc_u32_e32 v67, 8, v67
	;; [unrolled: 1-line block ×3, first 2 shown]
	s_delay_alu instid0(VALU_DEP_3)
	v_cmp_lt_u32_e32 vcc_lo, 26, v69
	s_or_b32 s3, vcc_lo, s3
	s_waitcnt vmcnt(0) lgkmcnt(0)
	v_fma_f64 v[61:62], v[70:71], v[72:73], v[61:62]
	s_and_not1_b32 exec_lo, exec_lo, s3
	s_cbranch_execnz .LBB93_561
; %bb.562:
	s_or_b32 exec_lo, exec_lo, s3
.LBB93_563:
	s_delay_alu instid0(SALU_CYCLE_1)
	s_or_b32 exec_lo, exec_lo, s2
	v_mov_b32_e32 v67, 0
	ds_load_b64 v[67:68], v67 offset:224
	s_waitcnt lgkmcnt(0)
	v_mul_f64 v[61:62], v[61:62], v[67:68]
	scratch_store_b64 off, v[61:62], off offset:224
.LBB93_564:
	s_or_b32 exec_lo, exec_lo, s1
	scratch_load_b64 v[61:62], off, off offset:232
	s_mov_b32 s1, exec_lo
	s_waitcnt vmcnt(0)
	ds_store_b64 v64, v[61:62]
	s_waitcnt lgkmcnt(0)
	s_waitcnt_vscnt null, 0x0
	s_barrier
	buffer_gl0_inv
	v_cmpx_ne_u32_e32 29, v0
	s_cbranch_execz .LBB93_574
; %bb.565:
	v_cmp_ne_u32_e32 vcc_lo, 1, v66
	s_cbranch_vccnz .LBB93_567
; %bb.566:
	scratch_load_b64 v[61:62], v65, off
	ds_load_b64 v[65:66], v64
	s_waitcnt vmcnt(0) lgkmcnt(0)
	v_mul_f64 v[61:62], v[61:62], v[65:66]
	s_cbranch_execz .LBB93_568
	s_branch .LBB93_569
.LBB93_567:
                                        ; implicit-def: $vgpr61_vgpr62
.LBB93_568:
	ds_load_b64 v[61:62], v64
.LBB93_569:
	s_and_saveexec_b32 s2, s0
	s_cbranch_execz .LBB93_573
; %bb.570:
	v_add_nc_u32_e32 v64, 0xf8, v63
	v_add3_u32 v63, 0, v63, 8
	s_mov_b32 s0, 0
.LBB93_571:                             ; =>This Inner Loop Header: Depth=1
	scratch_load_b64 v[65:66], v63, off
	ds_load_b64 v[67:68], v64
	v_add_nc_u32_e32 v0, 1, v0
	v_add_nc_u32_e32 v64, 8, v64
	;; [unrolled: 1-line block ×3, first 2 shown]
	s_delay_alu instid0(VALU_DEP_3)
	v_cmp_lt_u32_e32 vcc_lo, 27, v0
	s_or_b32 s0, vcc_lo, s0
	s_waitcnt vmcnt(0) lgkmcnt(0)
	v_fma_f64 v[61:62], v[65:66], v[67:68], v[61:62]
	s_and_not1_b32 exec_lo, exec_lo, s0
	s_cbranch_execnz .LBB93_571
; %bb.572:
	s_or_b32 exec_lo, exec_lo, s0
.LBB93_573:
	s_delay_alu instid0(SALU_CYCLE_1)
	s_or_b32 exec_lo, exec_lo, s2
	v_mov_b32_e32 v0, 0
	ds_load_b64 v[63:64], v0 offset:232
	s_waitcnt lgkmcnt(0)
	v_mul_f64 v[61:62], v[61:62], v[63:64]
	scratch_store_b64 off, v[61:62], off offset:232
.LBB93_574:
	s_or_b32 exec_lo, exec_lo, s1
.LBB93_575:
	s_clause 0x7
	scratch_load_b128 v[61:64], off, off
	scratch_load_b128 v[65:68], off, off offset:16
	scratch_load_b128 v[69:72], off, off offset:32
	;; [unrolled: 1-line block ×7, first 2 shown]
	s_waitcnt vmcnt(7)
	s_clause 0x1
	global_store_b64 v[1:2], v[61:62], off
	global_store_b64 v[3:4], v[63:64], off
	s_clause 0x1
	scratch_load_b128 v[0:3], off, off offset:128
	scratch_load_b128 v[61:64], off, off offset:144
	s_waitcnt vmcnt(8)
	s_clause 0x1
	global_store_b64 v[5:6], v[65:66], off
	global_store_b64 v[7:8], v[67:68], off
	s_clause 0x1
	scratch_load_b128 v[4:7], off, off offset:160
	scratch_load_b128 v[65:68], off, off offset:176
	;; [unrolled: 7-line block ×3, first 2 shown]
	s_waitcnt vmcnt(10)
	s_clause 0x1
	global_store_b64 v[13:14], v[73:74], off
	global_store_b64 v[15:16], v[75:76], off
	scratch_load_b128 v[12:15], off, off offset:224
	s_waitcnt vmcnt(10)
	s_clause 0x1
	global_store_b64 v[17:18], v[77:78], off
	global_store_b64 v[19:20], v[79:80], off
	s_waitcnt vmcnt(9)
	s_clause 0x1
	global_store_b64 v[23:24], v[81:82], off
	global_store_b64 v[25:26], v[83:84], off
	;; [unrolled: 4-line block ×11, first 2 shown]
.LBB93_576:
	s_endpgm
	.section	.rodata,"a",@progbits
	.p2align	6, 0x0
	.amdhsa_kernel _ZN9rocsolver6v33100L18trti2_kernel_smallILi30EdPKPdEEv13rocblas_fill_17rocblas_diagonal_T1_iil
		.amdhsa_group_segment_fixed_size 480
		.amdhsa_private_segment_fixed_size 256
		.amdhsa_kernarg_size 32
		.amdhsa_user_sgpr_count 15
		.amdhsa_user_sgpr_dispatch_ptr 0
		.amdhsa_user_sgpr_queue_ptr 0
		.amdhsa_user_sgpr_kernarg_segment_ptr 1
		.amdhsa_user_sgpr_dispatch_id 0
		.amdhsa_user_sgpr_private_segment_size 0
		.amdhsa_wavefront_size32 1
		.amdhsa_uses_dynamic_stack 0
		.amdhsa_enable_private_segment 1
		.amdhsa_system_sgpr_workgroup_id_x 1
		.amdhsa_system_sgpr_workgroup_id_y 0
		.amdhsa_system_sgpr_workgroup_id_z 0
		.amdhsa_system_sgpr_workgroup_info 0
		.amdhsa_system_vgpr_workitem_id 0
		.amdhsa_next_free_vgpr 96
		.amdhsa_next_free_sgpr 16
		.amdhsa_reserve_vcc 1
		.amdhsa_float_round_mode_32 0
		.amdhsa_float_round_mode_16_64 0
		.amdhsa_float_denorm_mode_32 3
		.amdhsa_float_denorm_mode_16_64 3
		.amdhsa_dx10_clamp 1
		.amdhsa_ieee_mode 1
		.amdhsa_fp16_overflow 0
		.amdhsa_workgroup_processor_mode 1
		.amdhsa_memory_ordered 1
		.amdhsa_forward_progress 0
		.amdhsa_shared_vgpr_count 0
		.amdhsa_exception_fp_ieee_invalid_op 0
		.amdhsa_exception_fp_denorm_src 0
		.amdhsa_exception_fp_ieee_div_zero 0
		.amdhsa_exception_fp_ieee_overflow 0
		.amdhsa_exception_fp_ieee_underflow 0
		.amdhsa_exception_fp_ieee_inexact 0
		.amdhsa_exception_int_div_zero 0
	.end_amdhsa_kernel
	.section	.text._ZN9rocsolver6v33100L18trti2_kernel_smallILi30EdPKPdEEv13rocblas_fill_17rocblas_diagonal_T1_iil,"axG",@progbits,_ZN9rocsolver6v33100L18trti2_kernel_smallILi30EdPKPdEEv13rocblas_fill_17rocblas_diagonal_T1_iil,comdat
.Lfunc_end93:
	.size	_ZN9rocsolver6v33100L18trti2_kernel_smallILi30EdPKPdEEv13rocblas_fill_17rocblas_diagonal_T1_iil, .Lfunc_end93-_ZN9rocsolver6v33100L18trti2_kernel_smallILi30EdPKPdEEv13rocblas_fill_17rocblas_diagonal_T1_iil
                                        ; -- End function
	.section	.AMDGPU.csdata,"",@progbits
; Kernel info:
; codeLenInByte = 16204
; NumSgprs: 18
; NumVgprs: 96
; ScratchSize: 256
; MemoryBound: 0
; FloatMode: 240
; IeeeMode: 1
; LDSByteSize: 480 bytes/workgroup (compile time only)
; SGPRBlocks: 2
; VGPRBlocks: 11
; NumSGPRsForWavesPerEU: 18
; NumVGPRsForWavesPerEU: 96
; Occupancy: 16
; WaveLimiterHint : 1
; COMPUTE_PGM_RSRC2:SCRATCH_EN: 1
; COMPUTE_PGM_RSRC2:USER_SGPR: 15
; COMPUTE_PGM_RSRC2:TRAP_HANDLER: 0
; COMPUTE_PGM_RSRC2:TGID_X_EN: 1
; COMPUTE_PGM_RSRC2:TGID_Y_EN: 0
; COMPUTE_PGM_RSRC2:TGID_Z_EN: 0
; COMPUTE_PGM_RSRC2:TIDIG_COMP_CNT: 0
	.section	.text._ZN9rocsolver6v33100L18trti2_kernel_smallILi31EdPKPdEEv13rocblas_fill_17rocblas_diagonal_T1_iil,"axG",@progbits,_ZN9rocsolver6v33100L18trti2_kernel_smallILi31EdPKPdEEv13rocblas_fill_17rocblas_diagonal_T1_iil,comdat
	.globl	_ZN9rocsolver6v33100L18trti2_kernel_smallILi31EdPKPdEEv13rocblas_fill_17rocblas_diagonal_T1_iil ; -- Begin function _ZN9rocsolver6v33100L18trti2_kernel_smallILi31EdPKPdEEv13rocblas_fill_17rocblas_diagonal_T1_iil
	.p2align	8
	.type	_ZN9rocsolver6v33100L18trti2_kernel_smallILi31EdPKPdEEv13rocblas_fill_17rocblas_diagonal_T1_iil,@function
_ZN9rocsolver6v33100L18trti2_kernel_smallILi31EdPKPdEEv13rocblas_fill_17rocblas_diagonal_T1_iil: ; @_ZN9rocsolver6v33100L18trti2_kernel_smallILi31EdPKPdEEv13rocblas_fill_17rocblas_diagonal_T1_iil
; %bb.0:
	s_mov_b32 s2, exec_lo
	v_cmpx_gt_u32_e32 31, v0
	s_cbranch_execz .LBB94_596
; %bb.1:
	s_clause 0x1
	s_load_b64 s[4:5], s[0:1], 0x10
	s_load_b128 s[0:3], s[0:1], 0x0
	s_mov_b32 s6, s15
	s_ashr_i32 s7, s15, 31
	v_lshlrev_b32_e32 v65, 3, v0
	s_lshl_b64 s[6:7], s[6:7], 3
	s_waitcnt lgkmcnt(0)
	s_ashr_i32 s9, s4, 31
	s_add_u32 s2, s2, s6
	s_addc_u32 s3, s3, s7
	s_mov_b32 s8, s4
	s_load_b64 s[2:3], s[2:3], 0x0
	v_add3_u32 v3, s5, s5, v0
	s_lshl_b64 s[8:9], s[8:9], 3
	s_mov_b32 s6, s5
	s_delay_alu instid0(VALU_DEP_1) | instskip(SKIP_1) | instid1(VALU_DEP_2)
	v_add_nc_u32_e32 v7, s5, v3
	v_ashrrev_i32_e32 v4, 31, v3
	v_add_nc_u32_e32 v9, s5, v7
	v_ashrrev_i32_e32 v8, 31, v7
	s_delay_alu instid0(VALU_DEP_3) | instskip(NEXT) | instid1(VALU_DEP_3)
	v_lshlrev_b64 v[3:4], 3, v[3:4]
	v_add_nc_u32_e32 v13, s5, v9
	v_ashrrev_i32_e32 v10, 31, v9
	s_delay_alu instid0(VALU_DEP_4)
	v_lshlrev_b64 v[7:8], 3, v[7:8]
	s_waitcnt lgkmcnt(0)
	s_add_u32 s2, s2, s8
	s_addc_u32 s3, s3, s9
	v_add_co_u32 v5, s4, s2, v65
	s_ashr_i32 s7, s5, 31
	v_add_co_ci_u32_e64 v6, null, s3, 0, s4
	s_lshl_b64 s[6:7], s[6:7], 3
	v_ashrrev_i32_e32 v14, 31, v13
	v_add_co_u32 v1, vcc_lo, v5, s6
	s_delay_alu instid0(VALU_DEP_3)
	v_add_co_ci_u32_e32 v2, vcc_lo, s7, v6, vcc_lo
	s_clause 0x1
	global_load_b64 v[31:32], v65, s[2:3]
	global_load_b64 v[33:34], v[1:2], off
	v_lshlrev_b64 v[15:16], 3, v[9:10]
	v_add_co_u32 v11, vcc_lo, s2, v3
	v_add_co_ci_u32_e32 v12, vcc_lo, s3, v4, vcc_lo
	v_lshlrev_b64 v[17:18], 3, v[13:14]
	v_add_co_u32 v9, vcc_lo, s2, v7
	v_add_co_ci_u32_e32 v10, vcc_lo, s3, v8, vcc_lo
	v_add_co_u32 v7, vcc_lo, s2, v15
	v_add_co_ci_u32_e32 v8, vcc_lo, s3, v16, vcc_lo
	;; [unrolled: 2-line block ×3, first 2 shown]
	s_clause 0x3
	global_load_b64 v[39:40], v[11:12], off
	global_load_b64 v[41:42], v[9:10], off
	;; [unrolled: 1-line block ×4, first 2 shown]
	v_add_nc_u32_e32 v13, s5, v13
	s_cmpk_lg_i32 s1, 0x84
	s_delay_alu instid0(VALU_DEP_1) | instskip(SKIP_1) | instid1(VALU_DEP_2)
	v_add_nc_u32_e32 v15, s5, v13
	v_ashrrev_i32_e32 v14, 31, v13
	v_add_nc_u32_e32 v17, s5, v15
	v_ashrrev_i32_e32 v16, 31, v15
	s_delay_alu instid0(VALU_DEP_3) | instskip(NEXT) | instid1(VALU_DEP_3)
	v_lshlrev_b64 v[13:14], 3, v[13:14]
	v_add_nc_u32_e32 v19, s5, v17
	v_ashrrev_i32_e32 v18, 31, v17
	s_delay_alu instid0(VALU_DEP_4) | instskip(NEXT) | instid1(VALU_DEP_4)
	v_lshlrev_b64 v[15:16], 3, v[15:16]
	v_add_co_u32 v13, vcc_lo, s2, v13
	s_delay_alu instid0(VALU_DEP_4) | instskip(SKIP_3) | instid1(VALU_DEP_4)
	v_add_nc_u32_e32 v21, s5, v19
	v_ashrrev_i32_e32 v20, 31, v19
	v_lshlrev_b64 v[28:29], 3, v[17:18]
	v_add_co_ci_u32_e32 v14, vcc_lo, s3, v14, vcc_lo
	v_add_nc_u32_e32 v23, s5, v21
	v_ashrrev_i32_e32 v22, 31, v21
	v_add_co_u32 v17, vcc_lo, s2, v15
	v_lshlrev_b64 v[19:20], 3, v[19:20]
	s_delay_alu instid0(VALU_DEP_4) | instskip(SKIP_2) | instid1(VALU_DEP_3)
	v_add_nc_u32_e32 v25, s5, v23
	v_add_co_ci_u32_e32 v18, vcc_lo, s3, v16, vcc_lo
	v_add_co_u32 v15, vcc_lo, s2, v28
	v_add_nc_u32_e32 v27, s5, v25
	v_lshlrev_b64 v[21:22], 3, v[21:22]
	v_ashrrev_i32_e32 v24, 31, v23
	v_add_co_ci_u32_e32 v16, vcc_lo, s3, v29, vcc_lo
	s_delay_alu instid0(VALU_DEP_4) | instskip(SKIP_3) | instid1(VALU_DEP_4)
	v_add_nc_u32_e32 v35, s5, v27
	v_add_co_u32 v19, vcc_lo, s2, v19
	v_ashrrev_i32_e32 v26, 31, v25
	v_add_co_ci_u32_e32 v20, vcc_lo, s3, v20, vcc_lo
	v_add_nc_u32_e32 v37, s5, v35
	v_lshlrev_b64 v[29:30], 3, v[23:24]
	v_add_co_u32 v23, vcc_lo, s2, v21
	v_add_co_ci_u32_e32 v24, vcc_lo, s3, v22, vcc_lo
	s_delay_alu instid0(VALU_DEP_4) | instskip(SKIP_3) | instid1(VALU_DEP_4)
	v_add_nc_u32_e32 v63, s5, v37
	v_lshlrev_b64 v[21:22], 3, v[25:26]
	v_ashrrev_i32_e32 v28, 31, v27
	v_add_co_u32 v25, vcc_lo, s2, v29
	v_add_nc_u32_e32 v66, s5, v63
	s_clause 0x3
	global_load_b64 v[47:48], v[13:14], off
	global_load_b64 v[49:50], v[17:18], off
	global_load_b64 v[51:52], v[15:16], off
	global_load_b64 v[53:54], v[19:20], off
	v_add_co_ci_u32_e32 v26, vcc_lo, s3, v30, vcc_lo
	v_add_nc_u32_e32 v74, s5, v66
	v_lshlrev_b64 v[29:30], 3, v[27:28]
	v_add_co_u32 v27, vcc_lo, s2, v21
	v_ashrrev_i32_e32 v36, 31, v35
	s_delay_alu instid0(VALU_DEP_4) | instskip(SKIP_3) | instid1(VALU_DEP_4)
	v_add_nc_u32_e32 v76, s5, v74
	v_add_co_ci_u32_e32 v28, vcc_lo, s3, v22, vcc_lo
	v_ashrrev_i32_e32 v38, 31, v37
	v_ashrrev_i32_e32 v64, 31, v63
	v_add_nc_u32_e32 v78, s5, v76
	v_ashrrev_i32_e32 v67, 31, v66
	v_ashrrev_i32_e32 v75, 31, v74
	;; [unrolled: 1-line block ×3, first 2 shown]
	s_delay_alu instid0(VALU_DEP_4) | instskip(SKIP_1) | instid1(VALU_DEP_2)
	v_add_nc_u32_e32 v80, s5, v78
	v_ashrrev_i32_e32 v79, 31, v78
	v_add_nc_u32_e32 v82, s5, v80
	v_ashrrev_i32_e32 v81, 31, v80
	s_delay_alu instid0(VALU_DEP_2) | instskip(SKIP_1) | instid1(VALU_DEP_2)
	v_add_nc_u32_e32 v84, s5, v82
	v_ashrrev_i32_e32 v83, 31, v82
	v_add_nc_u32_e32 v86, s5, v84
	v_ashrrev_i32_e32 v85, 31, v84
	s_delay_alu instid0(VALU_DEP_2) | instskip(SKIP_1) | instid1(VALU_DEP_2)
	;; [unrolled: 5-line block ×4, first 2 shown]
	v_add_nc_u32_e32 v96, s5, v94
	v_ashrrev_i32_e32 v95, 31, v94
	v_add_nc_u32_e32 v55, s5, v96
	v_ashrrev_i32_e32 v97, 31, v96
	s_delay_alu instid0(VALU_DEP_2) | instskip(NEXT) | instid1(VALU_DEP_1)
	v_ashrrev_i32_e32 v56, 31, v55
	v_lshlrev_b64 v[55:56], 3, v[55:56]
	s_delay_alu instid0(VALU_DEP_1) | instskip(NEXT) | instid1(VALU_DEP_2)
	v_add_co_u32 v21, vcc_lo, s2, v55
	v_add_co_ci_u32_e32 v22, vcc_lo, s3, v56, vcc_lo
	v_add_co_u32 v29, vcc_lo, s2, v29
	v_add_co_ci_u32_e32 v30, vcc_lo, s3, v30, vcc_lo
	global_load_b64 v[98:99], v[21:22], off
	s_waitcnt vmcnt(9)
	scratch_store_b128 off, v[31:34], off
	v_lshlrev_b64 v[31:32], 3, v[35:36]
	s_clause 0x3
	global_load_b64 v[55:56], v[23:24], off
	global_load_b64 v[57:58], v[25:26], off
	;; [unrolled: 1-line block ×4, first 2 shown]
	v_lshlrev_b64 v[33:34], 3, v[37:38]
	v_lshlrev_b64 v[35:36], 3, v[63:64]
	;; [unrolled: 1-line block ×4, first 2 shown]
	v_add_co_u32 v31, vcc_lo, s2, v31
	v_add_co_ci_u32_e32 v32, vcc_lo, s3, v32, vcc_lo
	v_add_co_u32 v33, vcc_lo, s2, v33
	v_add_co_ci_u32_e32 v34, vcc_lo, s3, v34, vcc_lo
	;; [unrolled: 2-line block ×4, first 2 shown]
	s_waitcnt vmcnt(11)
	scratch_store_b128 off, v[39:42], off offset:16
	s_clause 0x1
	global_load_b64 v[66:67], v[31:32], off
	global_load_b64 v[68:69], v[33:34], off
	s_waitcnt vmcnt(11)
	scratch_store_b128 off, v[43:46], off offset:32
	s_clause 0x1
	global_load_b64 v[70:71], v[35:36], off
	global_load_b64 v[72:73], v[37:38], off
	v_lshlrev_b64 v[39:40], 3, v[74:75]
	v_lshlrev_b64 v[41:42], 3, v[76:77]
	v_lshlrev_b64 v[43:44], 3, v[78:79]
	v_lshlrev_b64 v[45:46], 3, v[80:81]
	s_waitcnt vmcnt(11)
	scratch_store_b128 off, v[47:50], off offset:48
	s_waitcnt vmcnt(9)
	scratch_store_b128 off, v[51:54], off offset:64
	v_add_co_u32 v39, vcc_lo, s2, v39
	v_add_co_ci_u32_e32 v40, vcc_lo, s3, v40, vcc_lo
	v_add_co_u32 v41, vcc_lo, s2, v41
	v_add_co_ci_u32_e32 v42, vcc_lo, s3, v42, vcc_lo
	;; [unrolled: 2-line block ×3, first 2 shown]
	v_add_co_u32 v45, vcc_lo, s2, v45
	v_lshlrev_b64 v[49:50], 3, v[84:85]
	v_add_co_ci_u32_e32 v46, vcc_lo, s3, v46, vcc_lo
	v_add_co_u32 v47, vcc_lo, s2, v63
	v_lshlrev_b64 v[51:52], 3, v[86:87]
	v_add_co_ci_u32_e32 v48, vcc_lo, s3, v64, vcc_lo
	;; [unrolled: 3-line block ×4, first 2 shown]
	s_clause 0x2
	global_load_b64 v[74:75], v[39:40], off
	global_load_b64 v[76:77], v[41:42], off
	;; [unrolled: 1-line block ×3, first 2 shown]
	v_add_co_u32 v53, vcc_lo, s2, v53
	v_add_co_ci_u32_e32 v54, vcc_lo, s3, v54, vcc_lo
	s_waitcnt vmcnt(9)
	scratch_store_b128 off, v[55:58], off offset:80
	s_waitcnt vmcnt(7)
	scratch_store_b128 off, v[59:62], off offset:96
	v_lshlrev_b64 v[57:58], 3, v[92:93]
	v_add_co_u32 v55, vcc_lo, s2, v63
	v_lshlrev_b64 v[59:60], 3, v[94:95]
	v_add_co_ci_u32_e32 v56, vcc_lo, s3, v64, vcc_lo
	s_delay_alu instid0(VALU_DEP_4) | instskip(SKIP_4) | instid1(VALU_DEP_4)
	v_add_co_u32 v57, vcc_lo, s2, v57
	v_lshlrev_b64 v[61:62], 3, v[96:97]
	v_add_co_ci_u32_e32 v58, vcc_lo, s3, v58, vcc_lo
	v_add_co_u32 v59, vcc_lo, s2, v59
	v_add_co_ci_u32_e32 v60, vcc_lo, s3, v60, vcc_lo
	v_add_co_u32 v61, vcc_lo, s2, v61
	v_add_co_ci_u32_e32 v62, vcc_lo, s3, v62, vcc_lo
	s_clause 0x3
	global_load_b64 v[80:81], v[45:46], off
	global_load_b64 v[82:83], v[47:48], off
	;; [unrolled: 1-line block ×4, first 2 shown]
	v_mov_b32_e32 v63, 0
	s_waitcnt vmcnt(9)
	scratch_store_b128 off, v[66:69], off offset:112
	s_clause 0x2
	global_load_b64 v[88:89], v[53:54], off
	global_load_b64 v[66:67], v[55:56], off
	;; [unrolled: 1-line block ×3, first 2 shown]
	s_waitcnt vmcnt(10)
	scratch_store_b128 off, v[70:73], off offset:128
	s_clause 0x1
	global_load_b64 v[72:73], v[61:62], off
	global_load_b64 v[70:71], v[59:60], off
	v_mov_b32_e32 v64, 0xbff00000
	s_cselect_b32 s2, -1, 0
	s_cmpk_eq_i32 s1, 0x84
	s_waitcnt vmcnt(10)
	scratch_store_b128 off, v[74:77], off offset:144
	s_waitcnt vmcnt(8)
	scratch_store_b128 off, v[78:81], off offset:160
	;; [unrolled: 2-line block ×5, first 2 shown]
	s_waitcnt vmcnt(0)
	s_clause 0x1
	scratch_store_b128 off, v[70:73], off offset:224
	scratch_store_b64 off, v[98:99], off offset:240
	s_cbranch_scc1 .LBB94_3
; %bb.2:
	scratch_load_b64 v[63:64], v65, off
	s_waitcnt vmcnt(0)
	v_div_scale_f64 v[66:67], null, v[63:64], v[63:64], 1.0
	v_div_scale_f64 v[72:73], vcc_lo, 1.0, v[63:64], 1.0
	s_delay_alu instid0(VALU_DEP_2) | instskip(SKIP_2) | instid1(VALU_DEP_1)
	v_rcp_f64_e32 v[68:69], v[66:67]
	s_waitcnt_depctr 0xfff
	v_fma_f64 v[70:71], -v[66:67], v[68:69], 1.0
	v_fma_f64 v[68:69], v[68:69], v[70:71], v[68:69]
	s_delay_alu instid0(VALU_DEP_1) | instskip(NEXT) | instid1(VALU_DEP_1)
	v_fma_f64 v[70:71], -v[66:67], v[68:69], 1.0
	v_fma_f64 v[68:69], v[68:69], v[70:71], v[68:69]
	s_delay_alu instid0(VALU_DEP_1) | instskip(NEXT) | instid1(VALU_DEP_1)
	v_mul_f64 v[70:71], v[72:73], v[68:69]
	v_fma_f64 v[66:67], -v[66:67], v[70:71], v[72:73]
	s_delay_alu instid0(VALU_DEP_1) | instskip(NEXT) | instid1(VALU_DEP_1)
	v_div_fmas_f64 v[66:67], v[66:67], v[68:69], v[70:71]
	v_div_fixup_f64 v[63:64], v[66:67], v[63:64], 1.0
	scratch_store_b64 v65, v[63:64], off
	v_xor_b32_e32 v64, 0x80000000, v64
.LBB94_3:
	v_add_nc_u32_e32 v66, 0x100, v65
	v_add_nc_u32_e32 v67, 0, v65
	s_cmpk_eq_i32 s0, 0x79
	s_mov_b32 s0, -1
	ds_store_b64 v65, v[63:64]
	s_cbranch_scc1 .LBB94_299
; %bb.4:
	scratch_load_b64 v[63:64], off, off offset:232
	v_cmp_eq_u32_e64 s1, 30, v0
	s_movk_i32 s0, 0x50
	s_movk_i32 s3, 0x60
	;; [unrolled: 1-line block ×10, first 2 shown]
	s_waitcnt vmcnt(0)
	ds_store_b64 v66, v[63:64]
	s_waitcnt lgkmcnt(0)
	s_waitcnt_vscnt null, 0x0
	s_barrier
	buffer_gl0_inv
	s_and_saveexec_b32 s12, s1
	s_cbranch_execz .LBB94_10
; %bb.5:
	s_and_b32 vcc_lo, exec_lo, s2
	s_cbranch_vccz .LBB94_7
; %bb.6:
	scratch_load_b64 v[63:64], v67, off
	ds_load_b64 v[68:69], v66
	s_waitcnt vmcnt(0) lgkmcnt(0)
	v_mul_f64 v[63:64], v[63:64], v[68:69]
	s_cbranch_execz .LBB94_8
	s_branch .LBB94_9
.LBB94_7:
                                        ; implicit-def: $vgpr63_vgpr64
.LBB94_8:
	ds_load_b64 v[63:64], v66
.LBB94_9:
	v_mov_b32_e32 v68, 0
	ds_load_b64 v[68:69], v68 offset:232
	s_waitcnt lgkmcnt(0)
	v_mul_f64 v[63:64], v[63:64], v[68:69]
	scratch_store_b64 off, v[63:64], off offset:232
.LBB94_10:
	s_or_b32 exec_lo, exec_lo, s12
	scratch_load_b64 v[63:64], off, off offset:224
	v_add_nc_u32_e64 v68, 0, 16
	v_add_nc_u32_e64 v69, 0, 32
	;; [unrolled: 1-line block ×14, first 2 shown]
	v_cmp_lt_u32_e64 s0, 28, v0
	s_waitcnt vmcnt(0)
	ds_store_b64 v66, v[63:64]
	s_waitcnt lgkmcnt(0)
	s_waitcnt_vscnt null, 0x0
	s_barrier
	buffer_gl0_inv
	s_and_saveexec_b32 s3, s0
	s_cbranch_execz .LBB94_18
; %bb.11:
	s_and_not1_b32 vcc_lo, exec_lo, s2
	s_cbranch_vccnz .LBB94_13
; %bb.12:
	scratch_load_b64 v[63:64], v67, off
	ds_load_b64 v[82:83], v66
	s_waitcnt vmcnt(0) lgkmcnt(0)
	v_mul_f64 v[63:64], v[63:64], v[82:83]
	s_cbranch_execz .LBB94_14
	s_branch .LBB94_15
.LBB94_13:
                                        ; implicit-def: $vgpr63_vgpr64
.LBB94_14:
	ds_load_b64 v[63:64], v66
.LBB94_15:
	s_and_saveexec_b32 s4, s1
	s_cbranch_execz .LBB94_17
; %bb.16:
	scratch_load_b64 v[82:83], off, off offset:232
	v_mov_b32_e32 v84, 0
	ds_load_b64 v[84:85], v84 offset:488
	s_waitcnt vmcnt(0) lgkmcnt(0)
	v_fma_f64 v[63:64], v[82:83], v[84:85], v[63:64]
.LBB94_17:
	s_or_b32 exec_lo, exec_lo, s4
	v_mov_b32_e32 v82, 0
	ds_load_b64 v[82:83], v82 offset:224
	s_waitcnt lgkmcnt(0)
	v_mul_f64 v[63:64], v[63:64], v[82:83]
	scratch_store_b64 off, v[63:64], off offset:224
.LBB94_18:
	s_or_b32 exec_lo, exec_lo, s3
	scratch_load_b64 v[63:64], off, off offset:216
	v_cmp_lt_u32_e64 s1, 27, v0
	s_waitcnt vmcnt(0)
	ds_store_b64 v66, v[63:64]
	s_waitcnt lgkmcnt(0)
	s_waitcnt_vscnt null, 0x0
	s_barrier
	buffer_gl0_inv
	s_and_saveexec_b32 s3, s1
	s_cbranch_execz .LBB94_28
; %bb.19:
	s_and_not1_b32 vcc_lo, exec_lo, s2
	s_cbranch_vccnz .LBB94_21
; %bb.20:
	scratch_load_b64 v[63:64], v67, off
	ds_load_b64 v[82:83], v66
	s_waitcnt vmcnt(0) lgkmcnt(0)
	v_mul_f64 v[63:64], v[63:64], v[82:83]
	s_cbranch_execz .LBB94_22
	s_branch .LBB94_23
.LBB94_21:
                                        ; implicit-def: $vgpr63_vgpr64
.LBB94_22:
	ds_load_b64 v[63:64], v66
.LBB94_23:
	s_and_saveexec_b32 s4, s0
	s_cbranch_execz .LBB94_27
; %bb.24:
	v_subrev_nc_u32_e32 v82, 28, v0
	s_movk_i32 s5, 0x1e0
	s_mov_b32 s0, 0
.LBB94_25:                              ; =>This Inner Loop Header: Depth=1
	scratch_load_b64 v[83:84], v81, off
	v_dual_mov_b32 v85, s5 :: v_dual_add_nc_u32 v82, -1, v82
	v_add_nc_u32_e32 v81, 8, v81
	s_add_i32 s5, s5, 8
	ds_load_b64 v[85:86], v85
	v_cmp_eq_u32_e32 vcc_lo, 0, v82
	s_or_b32 s0, vcc_lo, s0
	s_waitcnt vmcnt(0) lgkmcnt(0)
	v_fma_f64 v[63:64], v[83:84], v[85:86], v[63:64]
	s_and_not1_b32 exec_lo, exec_lo, s0
	s_cbranch_execnz .LBB94_25
; %bb.26:
	s_or_b32 exec_lo, exec_lo, s0
.LBB94_27:
	s_delay_alu instid0(SALU_CYCLE_1)
	s_or_b32 exec_lo, exec_lo, s4
	v_mov_b32_e32 v81, 0
	ds_load_b64 v[81:82], v81 offset:216
	s_waitcnt lgkmcnt(0)
	v_mul_f64 v[63:64], v[63:64], v[81:82]
	scratch_store_b64 off, v[63:64], off offset:216
.LBB94_28:
	s_or_b32 exec_lo, exec_lo, s3
	scratch_load_b64 v[63:64], off, off offset:208
	v_cmp_lt_u32_e64 s0, 26, v0
	s_waitcnt vmcnt(0)
	ds_store_b64 v66, v[63:64]
	s_waitcnt lgkmcnt(0)
	s_waitcnt_vscnt null, 0x0
	s_barrier
	buffer_gl0_inv
	s_and_saveexec_b32 s3, s0
	s_cbranch_execz .LBB94_38
; %bb.29:
	s_and_not1_b32 vcc_lo, exec_lo, s2
	s_cbranch_vccnz .LBB94_31
; %bb.30:
	scratch_load_b64 v[63:64], v67, off
	ds_load_b64 v[81:82], v66
	s_waitcnt vmcnt(0) lgkmcnt(0)
	v_mul_f64 v[63:64], v[63:64], v[81:82]
	s_cbranch_execz .LBB94_32
	s_branch .LBB94_33
.LBB94_31:
                                        ; implicit-def: $vgpr63_vgpr64
.LBB94_32:
	ds_load_b64 v[63:64], v66
.LBB94_33:
	s_and_saveexec_b32 s4, s1
	s_cbranch_execz .LBB94_37
; %bb.34:
	v_mov_b32_e32 v81, 0
	v_subrev_nc_u32_e32 v82, 27, v0
	s_movk_i32 s5, 0x1d8
	s_mov_b32 s1, 0
	s_delay_alu instid0(VALU_DEP_2)
	v_add_nc_u32_e32 v81, 0xd8, v81
.LBB94_35:                              ; =>This Inner Loop Header: Depth=1
	scratch_load_b64 v[83:84], v81, off
	v_dual_mov_b32 v85, s5 :: v_dual_add_nc_u32 v82, -1, v82
	v_add_nc_u32_e32 v81, 8, v81
	s_add_i32 s5, s5, 8
	ds_load_b64 v[85:86], v85
	v_cmp_eq_u32_e32 vcc_lo, 0, v82
	s_or_b32 s1, vcc_lo, s1
	s_waitcnt vmcnt(0) lgkmcnt(0)
	v_fma_f64 v[63:64], v[83:84], v[85:86], v[63:64]
	s_and_not1_b32 exec_lo, exec_lo, s1
	s_cbranch_execnz .LBB94_35
; %bb.36:
	s_or_b32 exec_lo, exec_lo, s1
.LBB94_37:
	s_delay_alu instid0(SALU_CYCLE_1)
	s_or_b32 exec_lo, exec_lo, s4
	v_mov_b32_e32 v81, 0
	ds_load_b64 v[81:82], v81 offset:208
	s_waitcnt lgkmcnt(0)
	v_mul_f64 v[63:64], v[63:64], v[81:82]
	scratch_store_b64 off, v[63:64], off offset:208
.LBB94_38:
	s_or_b32 exec_lo, exec_lo, s3
	scratch_load_b64 v[63:64], off, off offset:200
	v_cmp_lt_u32_e64 s1, 25, v0
	s_waitcnt vmcnt(0)
	ds_store_b64 v66, v[63:64]
	s_waitcnt lgkmcnt(0)
	s_waitcnt_vscnt null, 0x0
	s_barrier
	buffer_gl0_inv
	s_and_saveexec_b32 s3, s1
	s_cbranch_execz .LBB94_48
; %bb.39:
	s_and_not1_b32 vcc_lo, exec_lo, s2
	s_cbranch_vccnz .LBB94_41
; %bb.40:
	scratch_load_b64 v[63:64], v67, off
	ds_load_b64 v[81:82], v66
	s_waitcnt vmcnt(0) lgkmcnt(0)
	v_mul_f64 v[63:64], v[63:64], v[81:82]
	s_cbranch_execz .LBB94_42
	s_branch .LBB94_43
.LBB94_41:
                                        ; implicit-def: $vgpr63_vgpr64
.LBB94_42:
	ds_load_b64 v[63:64], v66
.LBB94_43:
	s_and_saveexec_b32 s4, s0
	s_cbranch_execz .LBB94_47
; %bb.44:
	v_subrev_nc_u32_e32 v81, 26, v0
	s_movk_i32 s5, 0x1d0
	s_mov_b32 s0, 0
.LBB94_45:                              ; =>This Inner Loop Header: Depth=1
	scratch_load_b64 v[82:83], v80, off
	v_dual_mov_b32 v84, s5 :: v_dual_add_nc_u32 v81, -1, v81
	v_add_nc_u32_e32 v80, 8, v80
	s_add_i32 s5, s5, 8
	ds_load_b64 v[84:85], v84
	v_cmp_eq_u32_e32 vcc_lo, 0, v81
	s_or_b32 s0, vcc_lo, s0
	s_waitcnt vmcnt(0) lgkmcnt(0)
	v_fma_f64 v[63:64], v[82:83], v[84:85], v[63:64]
	s_and_not1_b32 exec_lo, exec_lo, s0
	s_cbranch_execnz .LBB94_45
; %bb.46:
	s_or_b32 exec_lo, exec_lo, s0
.LBB94_47:
	s_delay_alu instid0(SALU_CYCLE_1)
	s_or_b32 exec_lo, exec_lo, s4
	v_mov_b32_e32 v80, 0
	ds_load_b64 v[80:81], v80 offset:200
	s_waitcnt lgkmcnt(0)
	v_mul_f64 v[63:64], v[63:64], v[80:81]
	scratch_store_b64 off, v[63:64], off offset:200
.LBB94_48:
	s_or_b32 exec_lo, exec_lo, s3
	scratch_load_b64 v[63:64], off, off offset:192
	v_cmp_lt_u32_e64 s0, 24, v0
	s_waitcnt vmcnt(0)
	ds_store_b64 v66, v[63:64]
	s_waitcnt lgkmcnt(0)
	s_waitcnt_vscnt null, 0x0
	s_barrier
	buffer_gl0_inv
	s_and_saveexec_b32 s3, s0
	s_cbranch_execz .LBB94_58
; %bb.49:
	s_and_not1_b32 vcc_lo, exec_lo, s2
	s_cbranch_vccnz .LBB94_51
; %bb.50:
	scratch_load_b64 v[63:64], v67, off
	ds_load_b64 v[80:81], v66
	s_waitcnt vmcnt(0) lgkmcnt(0)
	v_mul_f64 v[63:64], v[63:64], v[80:81]
	s_cbranch_execz .LBB94_52
	s_branch .LBB94_53
.LBB94_51:
                                        ; implicit-def: $vgpr63_vgpr64
.LBB94_52:
	ds_load_b64 v[63:64], v66
.LBB94_53:
	s_and_saveexec_b32 s4, s1
	s_cbranch_execz .LBB94_57
; %bb.54:
	v_mov_b32_e32 v80, 0
	v_subrev_nc_u32_e32 v81, 25, v0
	s_movk_i32 s5, 0x1c8
	s_mov_b32 s1, 0
	s_delay_alu instid0(VALU_DEP_2)
	v_add_nc_u32_e32 v80, 0xc8, v80
.LBB94_55:                              ; =>This Inner Loop Header: Depth=1
	scratch_load_b64 v[82:83], v80, off
	v_dual_mov_b32 v84, s5 :: v_dual_add_nc_u32 v81, -1, v81
	v_add_nc_u32_e32 v80, 8, v80
	s_add_i32 s5, s5, 8
	ds_load_b64 v[84:85], v84
	v_cmp_eq_u32_e32 vcc_lo, 0, v81
	s_or_b32 s1, vcc_lo, s1
	s_waitcnt vmcnt(0) lgkmcnt(0)
	v_fma_f64 v[63:64], v[82:83], v[84:85], v[63:64]
	s_and_not1_b32 exec_lo, exec_lo, s1
	s_cbranch_execnz .LBB94_55
; %bb.56:
	s_or_b32 exec_lo, exec_lo, s1
.LBB94_57:
	s_delay_alu instid0(SALU_CYCLE_1)
	s_or_b32 exec_lo, exec_lo, s4
	v_mov_b32_e32 v80, 0
	ds_load_b64 v[80:81], v80 offset:192
	s_waitcnt lgkmcnt(0)
	v_mul_f64 v[63:64], v[63:64], v[80:81]
	scratch_store_b64 off, v[63:64], off offset:192
.LBB94_58:
	s_or_b32 exec_lo, exec_lo, s3
	scratch_load_b64 v[63:64], off, off offset:184
	v_cmp_lt_u32_e64 s1, 23, v0
	s_waitcnt vmcnt(0)
	ds_store_b64 v66, v[63:64]
	s_waitcnt lgkmcnt(0)
	s_waitcnt_vscnt null, 0x0
	s_barrier
	buffer_gl0_inv
	s_and_saveexec_b32 s3, s1
	s_cbranch_execz .LBB94_68
; %bb.59:
	s_and_not1_b32 vcc_lo, exec_lo, s2
	s_cbranch_vccnz .LBB94_61
; %bb.60:
	scratch_load_b64 v[63:64], v67, off
	ds_load_b64 v[80:81], v66
	s_waitcnt vmcnt(0) lgkmcnt(0)
	v_mul_f64 v[63:64], v[63:64], v[80:81]
	s_cbranch_execz .LBB94_62
	s_branch .LBB94_63
.LBB94_61:
                                        ; implicit-def: $vgpr63_vgpr64
.LBB94_62:
	ds_load_b64 v[63:64], v66
.LBB94_63:
	s_and_saveexec_b32 s4, s0
	s_cbranch_execz .LBB94_67
; %bb.64:
	v_subrev_nc_u32_e32 v80, 24, v0
	s_movk_i32 s5, 0x1c0
	s_mov_b32 s0, 0
.LBB94_65:                              ; =>This Inner Loop Header: Depth=1
	scratch_load_b64 v[81:82], v79, off
	v_dual_mov_b32 v83, s5 :: v_dual_add_nc_u32 v80, -1, v80
	v_add_nc_u32_e32 v79, 8, v79
	s_add_i32 s5, s5, 8
	ds_load_b64 v[83:84], v83
	v_cmp_eq_u32_e32 vcc_lo, 0, v80
	s_or_b32 s0, vcc_lo, s0
	s_waitcnt vmcnt(0) lgkmcnt(0)
	v_fma_f64 v[63:64], v[81:82], v[83:84], v[63:64]
	s_and_not1_b32 exec_lo, exec_lo, s0
	s_cbranch_execnz .LBB94_65
; %bb.66:
	s_or_b32 exec_lo, exec_lo, s0
.LBB94_67:
	s_delay_alu instid0(SALU_CYCLE_1)
	s_or_b32 exec_lo, exec_lo, s4
	v_mov_b32_e32 v79, 0
	ds_load_b64 v[79:80], v79 offset:184
	s_waitcnt lgkmcnt(0)
	v_mul_f64 v[63:64], v[63:64], v[79:80]
	scratch_store_b64 off, v[63:64], off offset:184
.LBB94_68:
	s_or_b32 exec_lo, exec_lo, s3
	scratch_load_b64 v[63:64], off, off offset:176
	v_cmp_lt_u32_e64 s0, 22, v0
	s_waitcnt vmcnt(0)
	ds_store_b64 v66, v[63:64]
	s_waitcnt lgkmcnt(0)
	s_waitcnt_vscnt null, 0x0
	s_barrier
	buffer_gl0_inv
	s_and_saveexec_b32 s3, s0
	s_cbranch_execz .LBB94_78
; %bb.69:
	s_and_not1_b32 vcc_lo, exec_lo, s2
	s_cbranch_vccnz .LBB94_71
; %bb.70:
	scratch_load_b64 v[63:64], v67, off
	ds_load_b64 v[79:80], v66
	s_waitcnt vmcnt(0) lgkmcnt(0)
	v_mul_f64 v[63:64], v[63:64], v[79:80]
	s_cbranch_execz .LBB94_72
	s_branch .LBB94_73
.LBB94_71:
                                        ; implicit-def: $vgpr63_vgpr64
.LBB94_72:
	ds_load_b64 v[63:64], v66
.LBB94_73:
	s_and_saveexec_b32 s4, s1
	s_cbranch_execz .LBB94_77
; %bb.74:
	v_mov_b32_e32 v79, 0
	v_subrev_nc_u32_e32 v80, 23, v0
	s_movk_i32 s5, 0x1b8
	s_mov_b32 s1, 0
	s_delay_alu instid0(VALU_DEP_2)
	v_add_nc_u32_e32 v79, 0xb8, v79
.LBB94_75:                              ; =>This Inner Loop Header: Depth=1
	scratch_load_b64 v[81:82], v79, off
	v_dual_mov_b32 v83, s5 :: v_dual_add_nc_u32 v80, -1, v80
	v_add_nc_u32_e32 v79, 8, v79
	s_add_i32 s5, s5, 8
	ds_load_b64 v[83:84], v83
	v_cmp_eq_u32_e32 vcc_lo, 0, v80
	s_or_b32 s1, vcc_lo, s1
	s_waitcnt vmcnt(0) lgkmcnt(0)
	v_fma_f64 v[63:64], v[81:82], v[83:84], v[63:64]
	s_and_not1_b32 exec_lo, exec_lo, s1
	s_cbranch_execnz .LBB94_75
; %bb.76:
	s_or_b32 exec_lo, exec_lo, s1
.LBB94_77:
	s_delay_alu instid0(SALU_CYCLE_1)
	s_or_b32 exec_lo, exec_lo, s4
	v_mov_b32_e32 v79, 0
	ds_load_b64 v[79:80], v79 offset:176
	s_waitcnt lgkmcnt(0)
	v_mul_f64 v[63:64], v[63:64], v[79:80]
	scratch_store_b64 off, v[63:64], off offset:176
.LBB94_78:
	s_or_b32 exec_lo, exec_lo, s3
	scratch_load_b64 v[63:64], off, off offset:168
	v_cmp_lt_u32_e64 s1, 21, v0
	s_waitcnt vmcnt(0)
	ds_store_b64 v66, v[63:64]
	s_waitcnt lgkmcnt(0)
	s_waitcnt_vscnt null, 0x0
	s_barrier
	buffer_gl0_inv
	s_and_saveexec_b32 s3, s1
	s_cbranch_execz .LBB94_88
; %bb.79:
	s_and_not1_b32 vcc_lo, exec_lo, s2
	s_cbranch_vccnz .LBB94_81
; %bb.80:
	scratch_load_b64 v[63:64], v67, off
	ds_load_b64 v[79:80], v66
	s_waitcnt vmcnt(0) lgkmcnt(0)
	v_mul_f64 v[63:64], v[63:64], v[79:80]
	s_cbranch_execz .LBB94_82
	s_branch .LBB94_83
.LBB94_81:
                                        ; implicit-def: $vgpr63_vgpr64
.LBB94_82:
	ds_load_b64 v[63:64], v66
.LBB94_83:
	s_and_saveexec_b32 s4, s0
	s_cbranch_execz .LBB94_87
; %bb.84:
	v_subrev_nc_u32_e32 v79, 22, v0
	s_movk_i32 s5, 0x1b0
	s_mov_b32 s0, 0
.LBB94_85:                              ; =>This Inner Loop Header: Depth=1
	scratch_load_b64 v[80:81], v78, off
	v_dual_mov_b32 v82, s5 :: v_dual_add_nc_u32 v79, -1, v79
	v_add_nc_u32_e32 v78, 8, v78
	s_add_i32 s5, s5, 8
	ds_load_b64 v[82:83], v82
	v_cmp_eq_u32_e32 vcc_lo, 0, v79
	s_or_b32 s0, vcc_lo, s0
	s_waitcnt vmcnt(0) lgkmcnt(0)
	v_fma_f64 v[63:64], v[80:81], v[82:83], v[63:64]
	s_and_not1_b32 exec_lo, exec_lo, s0
	s_cbranch_execnz .LBB94_85
; %bb.86:
	s_or_b32 exec_lo, exec_lo, s0
.LBB94_87:
	s_delay_alu instid0(SALU_CYCLE_1)
	s_or_b32 exec_lo, exec_lo, s4
	v_mov_b32_e32 v78, 0
	ds_load_b64 v[78:79], v78 offset:168
	s_waitcnt lgkmcnt(0)
	v_mul_f64 v[63:64], v[63:64], v[78:79]
	scratch_store_b64 off, v[63:64], off offset:168
.LBB94_88:
	s_or_b32 exec_lo, exec_lo, s3
	scratch_load_b64 v[63:64], off, off offset:160
	v_cmp_lt_u32_e64 s0, 20, v0
	s_waitcnt vmcnt(0)
	ds_store_b64 v66, v[63:64]
	s_waitcnt lgkmcnt(0)
	s_waitcnt_vscnt null, 0x0
	s_barrier
	buffer_gl0_inv
	s_and_saveexec_b32 s3, s0
	s_cbranch_execz .LBB94_98
; %bb.89:
	s_and_not1_b32 vcc_lo, exec_lo, s2
	s_cbranch_vccnz .LBB94_91
; %bb.90:
	scratch_load_b64 v[63:64], v67, off
	ds_load_b64 v[78:79], v66
	s_waitcnt vmcnt(0) lgkmcnt(0)
	v_mul_f64 v[63:64], v[63:64], v[78:79]
	s_cbranch_execz .LBB94_92
	s_branch .LBB94_93
.LBB94_91:
                                        ; implicit-def: $vgpr63_vgpr64
.LBB94_92:
	ds_load_b64 v[63:64], v66
.LBB94_93:
	s_and_saveexec_b32 s4, s1
	s_cbranch_execz .LBB94_97
; %bb.94:
	v_mov_b32_e32 v78, 0
	v_subrev_nc_u32_e32 v79, 21, v0
	s_movk_i32 s5, 0x1a8
	s_mov_b32 s1, 0
	s_delay_alu instid0(VALU_DEP_2)
	v_add_nc_u32_e32 v78, 0xa8, v78
.LBB94_95:                              ; =>This Inner Loop Header: Depth=1
	scratch_load_b64 v[80:81], v78, off
	v_dual_mov_b32 v82, s5 :: v_dual_add_nc_u32 v79, -1, v79
	v_add_nc_u32_e32 v78, 8, v78
	s_add_i32 s5, s5, 8
	ds_load_b64 v[82:83], v82
	v_cmp_eq_u32_e32 vcc_lo, 0, v79
	s_or_b32 s1, vcc_lo, s1
	s_waitcnt vmcnt(0) lgkmcnt(0)
	v_fma_f64 v[63:64], v[80:81], v[82:83], v[63:64]
	s_and_not1_b32 exec_lo, exec_lo, s1
	s_cbranch_execnz .LBB94_95
; %bb.96:
	s_or_b32 exec_lo, exec_lo, s1
.LBB94_97:
	s_delay_alu instid0(SALU_CYCLE_1)
	s_or_b32 exec_lo, exec_lo, s4
	v_mov_b32_e32 v78, 0
	ds_load_b64 v[78:79], v78 offset:160
	s_waitcnt lgkmcnt(0)
	v_mul_f64 v[63:64], v[63:64], v[78:79]
	scratch_store_b64 off, v[63:64], off offset:160
.LBB94_98:
	s_or_b32 exec_lo, exec_lo, s3
	scratch_load_b64 v[63:64], off, off offset:152
	v_cmp_lt_u32_e64 s1, 19, v0
	s_waitcnt vmcnt(0)
	ds_store_b64 v66, v[63:64]
	s_waitcnt lgkmcnt(0)
	s_waitcnt_vscnt null, 0x0
	s_barrier
	buffer_gl0_inv
	s_and_saveexec_b32 s3, s1
	s_cbranch_execz .LBB94_108
; %bb.99:
	s_and_not1_b32 vcc_lo, exec_lo, s2
	s_cbranch_vccnz .LBB94_101
; %bb.100:
	scratch_load_b64 v[63:64], v67, off
	ds_load_b64 v[78:79], v66
	s_waitcnt vmcnt(0) lgkmcnt(0)
	v_mul_f64 v[63:64], v[63:64], v[78:79]
	s_cbranch_execz .LBB94_102
	s_branch .LBB94_103
.LBB94_101:
                                        ; implicit-def: $vgpr63_vgpr64
.LBB94_102:
	ds_load_b64 v[63:64], v66
.LBB94_103:
	s_and_saveexec_b32 s4, s0
	s_cbranch_execz .LBB94_107
; %bb.104:
	v_subrev_nc_u32_e32 v78, 20, v0
	s_movk_i32 s5, 0x1a0
	s_mov_b32 s0, 0
.LBB94_105:                             ; =>This Inner Loop Header: Depth=1
	scratch_load_b64 v[79:80], v77, off
	v_dual_mov_b32 v81, s5 :: v_dual_add_nc_u32 v78, -1, v78
	v_add_nc_u32_e32 v77, 8, v77
	s_add_i32 s5, s5, 8
	ds_load_b64 v[81:82], v81
	v_cmp_eq_u32_e32 vcc_lo, 0, v78
	s_or_b32 s0, vcc_lo, s0
	s_waitcnt vmcnt(0) lgkmcnt(0)
	v_fma_f64 v[63:64], v[79:80], v[81:82], v[63:64]
	s_and_not1_b32 exec_lo, exec_lo, s0
	s_cbranch_execnz .LBB94_105
; %bb.106:
	s_or_b32 exec_lo, exec_lo, s0
.LBB94_107:
	s_delay_alu instid0(SALU_CYCLE_1)
	s_or_b32 exec_lo, exec_lo, s4
	v_mov_b32_e32 v77, 0
	ds_load_b64 v[77:78], v77 offset:152
	s_waitcnt lgkmcnt(0)
	v_mul_f64 v[63:64], v[63:64], v[77:78]
	scratch_store_b64 off, v[63:64], off offset:152
.LBB94_108:
	s_or_b32 exec_lo, exec_lo, s3
	scratch_load_b64 v[63:64], off, off offset:144
	v_cmp_lt_u32_e64 s0, 18, v0
	s_waitcnt vmcnt(0)
	ds_store_b64 v66, v[63:64]
	s_waitcnt lgkmcnt(0)
	s_waitcnt_vscnt null, 0x0
	s_barrier
	buffer_gl0_inv
	s_and_saveexec_b32 s3, s0
	s_cbranch_execz .LBB94_118
; %bb.109:
	s_and_not1_b32 vcc_lo, exec_lo, s2
	s_cbranch_vccnz .LBB94_111
; %bb.110:
	scratch_load_b64 v[63:64], v67, off
	ds_load_b64 v[77:78], v66
	s_waitcnt vmcnt(0) lgkmcnt(0)
	v_mul_f64 v[63:64], v[63:64], v[77:78]
	s_cbranch_execz .LBB94_112
	s_branch .LBB94_113
.LBB94_111:
                                        ; implicit-def: $vgpr63_vgpr64
.LBB94_112:
	ds_load_b64 v[63:64], v66
.LBB94_113:
	s_and_saveexec_b32 s4, s1
	s_cbranch_execz .LBB94_117
; %bb.114:
	v_mov_b32_e32 v77, 0
	v_subrev_nc_u32_e32 v78, 19, v0
	s_movk_i32 s5, 0x198
	s_mov_b32 s1, 0
	s_delay_alu instid0(VALU_DEP_2)
	v_add_nc_u32_e32 v77, 0x98, v77
.LBB94_115:                             ; =>This Inner Loop Header: Depth=1
	scratch_load_b64 v[79:80], v77, off
	v_dual_mov_b32 v81, s5 :: v_dual_add_nc_u32 v78, -1, v78
	v_add_nc_u32_e32 v77, 8, v77
	s_add_i32 s5, s5, 8
	ds_load_b64 v[81:82], v81
	v_cmp_eq_u32_e32 vcc_lo, 0, v78
	s_or_b32 s1, vcc_lo, s1
	s_waitcnt vmcnt(0) lgkmcnt(0)
	v_fma_f64 v[63:64], v[79:80], v[81:82], v[63:64]
	s_and_not1_b32 exec_lo, exec_lo, s1
	s_cbranch_execnz .LBB94_115
; %bb.116:
	s_or_b32 exec_lo, exec_lo, s1
.LBB94_117:
	s_delay_alu instid0(SALU_CYCLE_1)
	s_or_b32 exec_lo, exec_lo, s4
	v_mov_b32_e32 v77, 0
	ds_load_b64 v[77:78], v77 offset:144
	s_waitcnt lgkmcnt(0)
	v_mul_f64 v[63:64], v[63:64], v[77:78]
	scratch_store_b64 off, v[63:64], off offset:144
.LBB94_118:
	s_or_b32 exec_lo, exec_lo, s3
	scratch_load_b64 v[63:64], off, off offset:136
	v_cmp_lt_u32_e64 s1, 17, v0
	s_waitcnt vmcnt(0)
	ds_store_b64 v66, v[63:64]
	s_waitcnt lgkmcnt(0)
	s_waitcnt_vscnt null, 0x0
	s_barrier
	buffer_gl0_inv
	s_and_saveexec_b32 s3, s1
	s_cbranch_execz .LBB94_128
; %bb.119:
	s_and_not1_b32 vcc_lo, exec_lo, s2
	s_cbranch_vccnz .LBB94_121
; %bb.120:
	scratch_load_b64 v[63:64], v67, off
	ds_load_b64 v[77:78], v66
	s_waitcnt vmcnt(0) lgkmcnt(0)
	v_mul_f64 v[63:64], v[63:64], v[77:78]
	s_cbranch_execz .LBB94_122
	s_branch .LBB94_123
.LBB94_121:
                                        ; implicit-def: $vgpr63_vgpr64
.LBB94_122:
	ds_load_b64 v[63:64], v66
.LBB94_123:
	s_and_saveexec_b32 s4, s0
	s_cbranch_execz .LBB94_127
; %bb.124:
	v_subrev_nc_u32_e32 v77, 18, v0
	s_movk_i32 s5, 0x190
	s_mov_b32 s0, 0
.LBB94_125:                             ; =>This Inner Loop Header: Depth=1
	scratch_load_b64 v[78:79], v76, off
	v_dual_mov_b32 v80, s5 :: v_dual_add_nc_u32 v77, -1, v77
	v_add_nc_u32_e32 v76, 8, v76
	s_add_i32 s5, s5, 8
	ds_load_b64 v[80:81], v80
	v_cmp_eq_u32_e32 vcc_lo, 0, v77
	s_or_b32 s0, vcc_lo, s0
	s_waitcnt vmcnt(0) lgkmcnt(0)
	v_fma_f64 v[63:64], v[78:79], v[80:81], v[63:64]
	s_and_not1_b32 exec_lo, exec_lo, s0
	s_cbranch_execnz .LBB94_125
; %bb.126:
	s_or_b32 exec_lo, exec_lo, s0
.LBB94_127:
	s_delay_alu instid0(SALU_CYCLE_1)
	s_or_b32 exec_lo, exec_lo, s4
	v_mov_b32_e32 v76, 0
	ds_load_b64 v[76:77], v76 offset:136
	s_waitcnt lgkmcnt(0)
	v_mul_f64 v[63:64], v[63:64], v[76:77]
	scratch_store_b64 off, v[63:64], off offset:136
.LBB94_128:
	s_or_b32 exec_lo, exec_lo, s3
	scratch_load_b64 v[63:64], off, off offset:128
	v_cmp_lt_u32_e64 s0, 16, v0
	s_waitcnt vmcnt(0)
	ds_store_b64 v66, v[63:64]
	s_waitcnt lgkmcnt(0)
	s_waitcnt_vscnt null, 0x0
	s_barrier
	buffer_gl0_inv
	s_and_saveexec_b32 s3, s0
	s_cbranch_execz .LBB94_138
; %bb.129:
	s_and_not1_b32 vcc_lo, exec_lo, s2
	s_cbranch_vccnz .LBB94_131
; %bb.130:
	scratch_load_b64 v[63:64], v67, off
	ds_load_b64 v[76:77], v66
	s_waitcnt vmcnt(0) lgkmcnt(0)
	v_mul_f64 v[63:64], v[63:64], v[76:77]
	s_cbranch_execz .LBB94_132
	s_branch .LBB94_133
.LBB94_131:
                                        ; implicit-def: $vgpr63_vgpr64
.LBB94_132:
	ds_load_b64 v[63:64], v66
.LBB94_133:
	s_and_saveexec_b32 s4, s1
	s_cbranch_execz .LBB94_137
; %bb.134:
	v_mov_b32_e32 v76, 0
	v_subrev_nc_u32_e32 v77, 17, v0
	s_movk_i32 s5, 0x188
	s_mov_b32 s1, 0
	s_delay_alu instid0(VALU_DEP_2)
	v_add_nc_u32_e32 v76, 0x88, v76
.LBB94_135:                             ; =>This Inner Loop Header: Depth=1
	scratch_load_b64 v[78:79], v76, off
	v_dual_mov_b32 v80, s5 :: v_dual_add_nc_u32 v77, -1, v77
	v_add_nc_u32_e32 v76, 8, v76
	s_add_i32 s5, s5, 8
	ds_load_b64 v[80:81], v80
	v_cmp_eq_u32_e32 vcc_lo, 0, v77
	s_or_b32 s1, vcc_lo, s1
	s_waitcnt vmcnt(0) lgkmcnt(0)
	v_fma_f64 v[63:64], v[78:79], v[80:81], v[63:64]
	s_and_not1_b32 exec_lo, exec_lo, s1
	s_cbranch_execnz .LBB94_135
; %bb.136:
	s_or_b32 exec_lo, exec_lo, s1
.LBB94_137:
	s_delay_alu instid0(SALU_CYCLE_1)
	s_or_b32 exec_lo, exec_lo, s4
	v_mov_b32_e32 v76, 0
	ds_load_b64 v[76:77], v76 offset:128
	s_waitcnt lgkmcnt(0)
	v_mul_f64 v[63:64], v[63:64], v[76:77]
	scratch_store_b64 off, v[63:64], off offset:128
.LBB94_138:
	s_or_b32 exec_lo, exec_lo, s3
	scratch_load_b64 v[63:64], off, off offset:120
	v_cmp_lt_u32_e64 s1, 15, v0
	s_waitcnt vmcnt(0)
	ds_store_b64 v66, v[63:64]
	s_waitcnt lgkmcnt(0)
	s_waitcnt_vscnt null, 0x0
	s_barrier
	buffer_gl0_inv
	s_and_saveexec_b32 s3, s1
	s_cbranch_execz .LBB94_148
; %bb.139:
	s_and_not1_b32 vcc_lo, exec_lo, s2
	s_cbranch_vccnz .LBB94_141
; %bb.140:
	scratch_load_b64 v[63:64], v67, off
	ds_load_b64 v[76:77], v66
	s_waitcnt vmcnt(0) lgkmcnt(0)
	v_mul_f64 v[63:64], v[63:64], v[76:77]
	s_cbranch_execz .LBB94_142
	s_branch .LBB94_143
.LBB94_141:
                                        ; implicit-def: $vgpr63_vgpr64
.LBB94_142:
	ds_load_b64 v[63:64], v66
.LBB94_143:
	s_and_saveexec_b32 s4, s0
	s_cbranch_execz .LBB94_147
; %bb.144:
	v_add_nc_u32_e32 v76, -16, v0
	s_movk_i32 s5, 0x180
	s_mov_b32 s0, 0
.LBB94_145:                             ; =>This Inner Loop Header: Depth=1
	scratch_load_b64 v[77:78], v75, off
	v_dual_mov_b32 v79, s5 :: v_dual_add_nc_u32 v76, -1, v76
	v_add_nc_u32_e32 v75, 8, v75
	s_add_i32 s5, s5, 8
	ds_load_b64 v[79:80], v79
	v_cmp_eq_u32_e32 vcc_lo, 0, v76
	s_or_b32 s0, vcc_lo, s0
	s_waitcnt vmcnt(0) lgkmcnt(0)
	v_fma_f64 v[63:64], v[77:78], v[79:80], v[63:64]
	s_and_not1_b32 exec_lo, exec_lo, s0
	s_cbranch_execnz .LBB94_145
; %bb.146:
	s_or_b32 exec_lo, exec_lo, s0
.LBB94_147:
	s_delay_alu instid0(SALU_CYCLE_1)
	s_or_b32 exec_lo, exec_lo, s4
	v_mov_b32_e32 v75, 0
	ds_load_b64 v[75:76], v75 offset:120
	s_waitcnt lgkmcnt(0)
	v_mul_f64 v[63:64], v[63:64], v[75:76]
	scratch_store_b64 off, v[63:64], off offset:120
.LBB94_148:
	s_or_b32 exec_lo, exec_lo, s3
	scratch_load_b64 v[63:64], off, off offset:112
	v_cmp_lt_u32_e64 s0, 14, v0
	s_waitcnt vmcnt(0)
	ds_store_b64 v66, v[63:64]
	s_waitcnt lgkmcnt(0)
	s_waitcnt_vscnt null, 0x0
	s_barrier
	buffer_gl0_inv
	s_and_saveexec_b32 s3, s0
	s_cbranch_execz .LBB94_158
; %bb.149:
	s_and_not1_b32 vcc_lo, exec_lo, s2
	s_cbranch_vccnz .LBB94_151
; %bb.150:
	scratch_load_b64 v[63:64], v67, off
	ds_load_b64 v[75:76], v66
	s_waitcnt vmcnt(0) lgkmcnt(0)
	v_mul_f64 v[63:64], v[63:64], v[75:76]
	s_cbranch_execz .LBB94_152
	s_branch .LBB94_153
.LBB94_151:
                                        ; implicit-def: $vgpr63_vgpr64
.LBB94_152:
	ds_load_b64 v[63:64], v66
.LBB94_153:
	s_and_saveexec_b32 s4, s1
	s_cbranch_execz .LBB94_157
; %bb.154:
	v_dual_mov_b32 v75, 0 :: v_dual_add_nc_u32 v76, -15, v0
	s_movk_i32 s5, 0x178
	s_mov_b32 s1, 0
	s_delay_alu instid0(VALU_DEP_1)
	v_add_nc_u32_e32 v75, 0x78, v75
.LBB94_155:                             ; =>This Inner Loop Header: Depth=1
	scratch_load_b64 v[77:78], v75, off
	v_dual_mov_b32 v79, s5 :: v_dual_add_nc_u32 v76, -1, v76
	v_add_nc_u32_e32 v75, 8, v75
	s_add_i32 s5, s5, 8
	ds_load_b64 v[79:80], v79
	v_cmp_eq_u32_e32 vcc_lo, 0, v76
	s_or_b32 s1, vcc_lo, s1
	s_waitcnt vmcnt(0) lgkmcnt(0)
	v_fma_f64 v[63:64], v[77:78], v[79:80], v[63:64]
	s_and_not1_b32 exec_lo, exec_lo, s1
	s_cbranch_execnz .LBB94_155
; %bb.156:
	s_or_b32 exec_lo, exec_lo, s1
.LBB94_157:
	s_delay_alu instid0(SALU_CYCLE_1)
	s_or_b32 exec_lo, exec_lo, s4
	v_mov_b32_e32 v75, 0
	ds_load_b64 v[75:76], v75 offset:112
	s_waitcnt lgkmcnt(0)
	v_mul_f64 v[63:64], v[63:64], v[75:76]
	scratch_store_b64 off, v[63:64], off offset:112
.LBB94_158:
	s_or_b32 exec_lo, exec_lo, s3
	scratch_load_b64 v[63:64], off, off offset:104
	v_cmp_lt_u32_e64 s1, 13, v0
	s_waitcnt vmcnt(0)
	ds_store_b64 v66, v[63:64]
	s_waitcnt lgkmcnt(0)
	s_waitcnt_vscnt null, 0x0
	s_barrier
	buffer_gl0_inv
	s_and_saveexec_b32 s3, s1
	s_cbranch_execz .LBB94_168
; %bb.159:
	s_and_not1_b32 vcc_lo, exec_lo, s2
	s_cbranch_vccnz .LBB94_161
; %bb.160:
	scratch_load_b64 v[63:64], v67, off
	ds_load_b64 v[75:76], v66
	s_waitcnt vmcnt(0) lgkmcnt(0)
	v_mul_f64 v[63:64], v[63:64], v[75:76]
	s_cbranch_execz .LBB94_162
	s_branch .LBB94_163
.LBB94_161:
                                        ; implicit-def: $vgpr63_vgpr64
.LBB94_162:
	ds_load_b64 v[63:64], v66
.LBB94_163:
	s_and_saveexec_b32 s4, s0
	s_cbranch_execz .LBB94_167
; %bb.164:
	v_add_nc_u32_e32 v75, -14, v0
	s_movk_i32 s5, 0x170
	s_mov_b32 s0, 0
.LBB94_165:                             ; =>This Inner Loop Header: Depth=1
	scratch_load_b64 v[76:77], v74, off
	v_dual_mov_b32 v78, s5 :: v_dual_add_nc_u32 v75, -1, v75
	v_add_nc_u32_e32 v74, 8, v74
	s_add_i32 s5, s5, 8
	ds_load_b64 v[78:79], v78
	v_cmp_eq_u32_e32 vcc_lo, 0, v75
	s_or_b32 s0, vcc_lo, s0
	s_waitcnt vmcnt(0) lgkmcnt(0)
	v_fma_f64 v[63:64], v[76:77], v[78:79], v[63:64]
	s_and_not1_b32 exec_lo, exec_lo, s0
	s_cbranch_execnz .LBB94_165
; %bb.166:
	s_or_b32 exec_lo, exec_lo, s0
.LBB94_167:
	s_delay_alu instid0(SALU_CYCLE_1)
	s_or_b32 exec_lo, exec_lo, s4
	v_mov_b32_e32 v74, 0
	ds_load_b64 v[74:75], v74 offset:104
	s_waitcnt lgkmcnt(0)
	v_mul_f64 v[63:64], v[63:64], v[74:75]
	scratch_store_b64 off, v[63:64], off offset:104
.LBB94_168:
	s_or_b32 exec_lo, exec_lo, s3
	scratch_load_b64 v[63:64], off, off offset:96
	v_cmp_lt_u32_e64 s0, 12, v0
	s_waitcnt vmcnt(0)
	ds_store_b64 v66, v[63:64]
	s_waitcnt lgkmcnt(0)
	s_waitcnt_vscnt null, 0x0
	s_barrier
	buffer_gl0_inv
	s_and_saveexec_b32 s3, s0
	s_cbranch_execz .LBB94_178
; %bb.169:
	s_and_not1_b32 vcc_lo, exec_lo, s2
	s_cbranch_vccnz .LBB94_171
; %bb.170:
	scratch_load_b64 v[63:64], v67, off
	ds_load_b64 v[74:75], v66
	s_waitcnt vmcnt(0) lgkmcnt(0)
	v_mul_f64 v[63:64], v[63:64], v[74:75]
	s_cbranch_execz .LBB94_172
	s_branch .LBB94_173
.LBB94_171:
                                        ; implicit-def: $vgpr63_vgpr64
.LBB94_172:
	ds_load_b64 v[63:64], v66
.LBB94_173:
	s_and_saveexec_b32 s4, s1
	s_cbranch_execz .LBB94_177
; %bb.174:
	v_dual_mov_b32 v74, 0 :: v_dual_add_nc_u32 v75, -13, v0
	s_movk_i32 s5, 0x168
	s_mov_b32 s1, 0
	s_delay_alu instid0(VALU_DEP_1)
	v_add_nc_u32_e32 v74, 0x68, v74
.LBB94_175:                             ; =>This Inner Loop Header: Depth=1
	scratch_load_b64 v[76:77], v74, off
	v_dual_mov_b32 v78, s5 :: v_dual_add_nc_u32 v75, -1, v75
	v_add_nc_u32_e32 v74, 8, v74
	s_add_i32 s5, s5, 8
	ds_load_b64 v[78:79], v78
	v_cmp_eq_u32_e32 vcc_lo, 0, v75
	s_or_b32 s1, vcc_lo, s1
	s_waitcnt vmcnt(0) lgkmcnt(0)
	v_fma_f64 v[63:64], v[76:77], v[78:79], v[63:64]
	s_and_not1_b32 exec_lo, exec_lo, s1
	s_cbranch_execnz .LBB94_175
; %bb.176:
	s_or_b32 exec_lo, exec_lo, s1
.LBB94_177:
	s_delay_alu instid0(SALU_CYCLE_1)
	s_or_b32 exec_lo, exec_lo, s4
	v_mov_b32_e32 v74, 0
	ds_load_b64 v[74:75], v74 offset:96
	s_waitcnt lgkmcnt(0)
	v_mul_f64 v[63:64], v[63:64], v[74:75]
	scratch_store_b64 off, v[63:64], off offset:96
.LBB94_178:
	s_or_b32 exec_lo, exec_lo, s3
	scratch_load_b64 v[63:64], off, off offset:88
	v_cmp_lt_u32_e64 s1, 11, v0
	s_waitcnt vmcnt(0)
	ds_store_b64 v66, v[63:64]
	s_waitcnt lgkmcnt(0)
	s_waitcnt_vscnt null, 0x0
	s_barrier
	buffer_gl0_inv
	s_and_saveexec_b32 s3, s1
	s_cbranch_execz .LBB94_188
; %bb.179:
	s_and_not1_b32 vcc_lo, exec_lo, s2
	s_cbranch_vccnz .LBB94_181
; %bb.180:
	scratch_load_b64 v[63:64], v67, off
	ds_load_b64 v[74:75], v66
	s_waitcnt vmcnt(0) lgkmcnt(0)
	v_mul_f64 v[63:64], v[63:64], v[74:75]
	s_cbranch_execz .LBB94_182
	s_branch .LBB94_183
.LBB94_181:
                                        ; implicit-def: $vgpr63_vgpr64
.LBB94_182:
	ds_load_b64 v[63:64], v66
.LBB94_183:
	s_and_saveexec_b32 s4, s0
	s_cbranch_execz .LBB94_187
; %bb.184:
	v_add_nc_u32_e32 v74, -12, v0
	s_movk_i32 s5, 0x160
	s_mov_b32 s0, 0
.LBB94_185:                             ; =>This Inner Loop Header: Depth=1
	scratch_load_b64 v[75:76], v73, off
	v_dual_mov_b32 v77, s5 :: v_dual_add_nc_u32 v74, -1, v74
	v_add_nc_u32_e32 v73, 8, v73
	s_add_i32 s5, s5, 8
	ds_load_b64 v[77:78], v77
	v_cmp_eq_u32_e32 vcc_lo, 0, v74
	s_or_b32 s0, vcc_lo, s0
	s_waitcnt vmcnt(0) lgkmcnt(0)
	v_fma_f64 v[63:64], v[75:76], v[77:78], v[63:64]
	s_and_not1_b32 exec_lo, exec_lo, s0
	s_cbranch_execnz .LBB94_185
; %bb.186:
	s_or_b32 exec_lo, exec_lo, s0
.LBB94_187:
	s_delay_alu instid0(SALU_CYCLE_1)
	s_or_b32 exec_lo, exec_lo, s4
	v_mov_b32_e32 v73, 0
	ds_load_b64 v[73:74], v73 offset:88
	s_waitcnt lgkmcnt(0)
	v_mul_f64 v[63:64], v[63:64], v[73:74]
	scratch_store_b64 off, v[63:64], off offset:88
.LBB94_188:
	s_or_b32 exec_lo, exec_lo, s3
	scratch_load_b64 v[63:64], off, off offset:80
	v_cmp_lt_u32_e64 s0, 10, v0
	s_waitcnt vmcnt(0)
	ds_store_b64 v66, v[63:64]
	s_waitcnt lgkmcnt(0)
	s_waitcnt_vscnt null, 0x0
	s_barrier
	buffer_gl0_inv
	s_and_saveexec_b32 s3, s0
	s_cbranch_execz .LBB94_198
; %bb.189:
	s_and_not1_b32 vcc_lo, exec_lo, s2
	s_cbranch_vccnz .LBB94_191
; %bb.190:
	scratch_load_b64 v[63:64], v67, off
	ds_load_b64 v[73:74], v66
	s_waitcnt vmcnt(0) lgkmcnt(0)
	v_mul_f64 v[63:64], v[63:64], v[73:74]
	s_cbranch_execz .LBB94_192
	s_branch .LBB94_193
.LBB94_191:
                                        ; implicit-def: $vgpr63_vgpr64
.LBB94_192:
	ds_load_b64 v[63:64], v66
.LBB94_193:
	s_and_saveexec_b32 s4, s1
	s_cbranch_execz .LBB94_197
; %bb.194:
	v_dual_mov_b32 v73, 0 :: v_dual_add_nc_u32 v74, -11, v0
	s_movk_i32 s5, 0x158
	s_mov_b32 s1, 0
	s_delay_alu instid0(VALU_DEP_1)
	v_add_nc_u32_e32 v73, 0x58, v73
.LBB94_195:                             ; =>This Inner Loop Header: Depth=1
	scratch_load_b64 v[75:76], v73, off
	v_dual_mov_b32 v77, s5 :: v_dual_add_nc_u32 v74, -1, v74
	v_add_nc_u32_e32 v73, 8, v73
	s_add_i32 s5, s5, 8
	ds_load_b64 v[77:78], v77
	v_cmp_eq_u32_e32 vcc_lo, 0, v74
	s_or_b32 s1, vcc_lo, s1
	s_waitcnt vmcnt(0) lgkmcnt(0)
	v_fma_f64 v[63:64], v[75:76], v[77:78], v[63:64]
	s_and_not1_b32 exec_lo, exec_lo, s1
	s_cbranch_execnz .LBB94_195
; %bb.196:
	s_or_b32 exec_lo, exec_lo, s1
.LBB94_197:
	s_delay_alu instid0(SALU_CYCLE_1)
	s_or_b32 exec_lo, exec_lo, s4
	v_mov_b32_e32 v73, 0
	ds_load_b64 v[73:74], v73 offset:80
	s_waitcnt lgkmcnt(0)
	v_mul_f64 v[63:64], v[63:64], v[73:74]
	scratch_store_b64 off, v[63:64], off offset:80
.LBB94_198:
	s_or_b32 exec_lo, exec_lo, s3
	scratch_load_b64 v[63:64], off, off offset:72
	v_cmp_lt_u32_e64 s1, 9, v0
	s_waitcnt vmcnt(0)
	ds_store_b64 v66, v[63:64]
	s_waitcnt lgkmcnt(0)
	s_waitcnt_vscnt null, 0x0
	s_barrier
	buffer_gl0_inv
	s_and_saveexec_b32 s3, s1
	s_cbranch_execz .LBB94_208
; %bb.199:
	s_and_not1_b32 vcc_lo, exec_lo, s2
	s_cbranch_vccnz .LBB94_201
; %bb.200:
	scratch_load_b64 v[63:64], v67, off
	ds_load_b64 v[73:74], v66
	s_waitcnt vmcnt(0) lgkmcnt(0)
	v_mul_f64 v[63:64], v[63:64], v[73:74]
	s_cbranch_execz .LBB94_202
	s_branch .LBB94_203
.LBB94_201:
                                        ; implicit-def: $vgpr63_vgpr64
.LBB94_202:
	ds_load_b64 v[63:64], v66
.LBB94_203:
	s_and_saveexec_b32 s4, s0
	s_cbranch_execz .LBB94_207
; %bb.204:
	v_add_nc_u32_e32 v73, -10, v0
	s_movk_i32 s5, 0x150
	s_mov_b32 s0, 0
.LBB94_205:                             ; =>This Inner Loop Header: Depth=1
	scratch_load_b64 v[74:75], v72, off
	v_dual_mov_b32 v76, s5 :: v_dual_add_nc_u32 v73, -1, v73
	v_add_nc_u32_e32 v72, 8, v72
	s_add_i32 s5, s5, 8
	ds_load_b64 v[76:77], v76
	v_cmp_eq_u32_e32 vcc_lo, 0, v73
	s_or_b32 s0, vcc_lo, s0
	s_waitcnt vmcnt(0) lgkmcnt(0)
	v_fma_f64 v[63:64], v[74:75], v[76:77], v[63:64]
	s_and_not1_b32 exec_lo, exec_lo, s0
	s_cbranch_execnz .LBB94_205
; %bb.206:
	s_or_b32 exec_lo, exec_lo, s0
.LBB94_207:
	s_delay_alu instid0(SALU_CYCLE_1)
	s_or_b32 exec_lo, exec_lo, s4
	v_mov_b32_e32 v72, 0
	ds_load_b64 v[72:73], v72 offset:72
	s_waitcnt lgkmcnt(0)
	v_mul_f64 v[63:64], v[63:64], v[72:73]
	scratch_store_b64 off, v[63:64], off offset:72
.LBB94_208:
	s_or_b32 exec_lo, exec_lo, s3
	scratch_load_b64 v[63:64], off, off offset:64
	v_cmp_lt_u32_e64 s0, 8, v0
	s_waitcnt vmcnt(0)
	ds_store_b64 v66, v[63:64]
	s_waitcnt lgkmcnt(0)
	s_waitcnt_vscnt null, 0x0
	s_barrier
	buffer_gl0_inv
	s_and_saveexec_b32 s3, s0
	s_cbranch_execz .LBB94_218
; %bb.209:
	s_and_not1_b32 vcc_lo, exec_lo, s2
	s_cbranch_vccnz .LBB94_211
; %bb.210:
	scratch_load_b64 v[63:64], v67, off
	ds_load_b64 v[72:73], v66
	s_waitcnt vmcnt(0) lgkmcnt(0)
	v_mul_f64 v[63:64], v[63:64], v[72:73]
	s_cbranch_execz .LBB94_212
	s_branch .LBB94_213
.LBB94_211:
                                        ; implicit-def: $vgpr63_vgpr64
.LBB94_212:
	ds_load_b64 v[63:64], v66
.LBB94_213:
	s_and_saveexec_b32 s4, s1
	s_cbranch_execz .LBB94_217
; %bb.214:
	v_dual_mov_b32 v72, 0 :: v_dual_add_nc_u32 v73, -9, v0
	s_movk_i32 s5, 0x148
	s_mov_b32 s1, 0
	s_delay_alu instid0(VALU_DEP_1)
	v_add_nc_u32_e32 v72, 0x48, v72
.LBB94_215:                             ; =>This Inner Loop Header: Depth=1
	scratch_load_b64 v[74:75], v72, off
	v_dual_mov_b32 v76, s5 :: v_dual_add_nc_u32 v73, -1, v73
	v_add_nc_u32_e32 v72, 8, v72
	s_add_i32 s5, s5, 8
	ds_load_b64 v[76:77], v76
	v_cmp_eq_u32_e32 vcc_lo, 0, v73
	s_or_b32 s1, vcc_lo, s1
	s_waitcnt vmcnt(0) lgkmcnt(0)
	v_fma_f64 v[63:64], v[74:75], v[76:77], v[63:64]
	s_and_not1_b32 exec_lo, exec_lo, s1
	s_cbranch_execnz .LBB94_215
; %bb.216:
	s_or_b32 exec_lo, exec_lo, s1
.LBB94_217:
	s_delay_alu instid0(SALU_CYCLE_1)
	s_or_b32 exec_lo, exec_lo, s4
	v_mov_b32_e32 v72, 0
	ds_load_b64 v[72:73], v72 offset:64
	s_waitcnt lgkmcnt(0)
	v_mul_f64 v[63:64], v[63:64], v[72:73]
	scratch_store_b64 off, v[63:64], off offset:64
.LBB94_218:
	s_or_b32 exec_lo, exec_lo, s3
	scratch_load_b64 v[63:64], off, off offset:56
	v_cmp_lt_u32_e64 s1, 7, v0
	s_waitcnt vmcnt(0)
	ds_store_b64 v66, v[63:64]
	s_waitcnt lgkmcnt(0)
	s_waitcnt_vscnt null, 0x0
	s_barrier
	buffer_gl0_inv
	s_and_saveexec_b32 s3, s1
	s_cbranch_execz .LBB94_228
; %bb.219:
	s_and_not1_b32 vcc_lo, exec_lo, s2
	s_cbranch_vccnz .LBB94_221
; %bb.220:
	scratch_load_b64 v[63:64], v67, off
	ds_load_b64 v[72:73], v66
	s_waitcnt vmcnt(0) lgkmcnt(0)
	v_mul_f64 v[63:64], v[63:64], v[72:73]
	s_cbranch_execz .LBB94_222
	s_branch .LBB94_223
.LBB94_221:
                                        ; implicit-def: $vgpr63_vgpr64
.LBB94_222:
	ds_load_b64 v[63:64], v66
.LBB94_223:
	s_and_saveexec_b32 s4, s0
	s_cbranch_execz .LBB94_227
; %bb.224:
	v_add_nc_u32_e32 v72, -8, v0
	s_movk_i32 s5, 0x140
	s_mov_b32 s0, 0
.LBB94_225:                             ; =>This Inner Loop Header: Depth=1
	scratch_load_b64 v[73:74], v71, off
	v_dual_mov_b32 v75, s5 :: v_dual_add_nc_u32 v72, -1, v72
	v_add_nc_u32_e32 v71, 8, v71
	s_add_i32 s5, s5, 8
	ds_load_b64 v[75:76], v75
	v_cmp_eq_u32_e32 vcc_lo, 0, v72
	s_or_b32 s0, vcc_lo, s0
	s_waitcnt vmcnt(0) lgkmcnt(0)
	v_fma_f64 v[63:64], v[73:74], v[75:76], v[63:64]
	s_and_not1_b32 exec_lo, exec_lo, s0
	s_cbranch_execnz .LBB94_225
; %bb.226:
	s_or_b32 exec_lo, exec_lo, s0
.LBB94_227:
	s_delay_alu instid0(SALU_CYCLE_1)
	s_or_b32 exec_lo, exec_lo, s4
	v_mov_b32_e32 v71, 0
	ds_load_b64 v[71:72], v71 offset:56
	s_waitcnt lgkmcnt(0)
	v_mul_f64 v[63:64], v[63:64], v[71:72]
	scratch_store_b64 off, v[63:64], off offset:56
.LBB94_228:
	s_or_b32 exec_lo, exec_lo, s3
	scratch_load_b64 v[63:64], off, off offset:48
	v_cmp_lt_u32_e64 s0, 6, v0
	s_waitcnt vmcnt(0)
	ds_store_b64 v66, v[63:64]
	s_waitcnt lgkmcnt(0)
	s_waitcnt_vscnt null, 0x0
	s_barrier
	buffer_gl0_inv
	s_and_saveexec_b32 s3, s0
	s_cbranch_execz .LBB94_238
; %bb.229:
	s_and_not1_b32 vcc_lo, exec_lo, s2
	s_cbranch_vccnz .LBB94_231
; %bb.230:
	scratch_load_b64 v[63:64], v67, off
	ds_load_b64 v[71:72], v66
	s_waitcnt vmcnt(0) lgkmcnt(0)
	v_mul_f64 v[63:64], v[63:64], v[71:72]
	s_cbranch_execz .LBB94_232
	s_branch .LBB94_233
.LBB94_231:
                                        ; implicit-def: $vgpr63_vgpr64
.LBB94_232:
	ds_load_b64 v[63:64], v66
.LBB94_233:
	s_and_saveexec_b32 s4, s1
	s_cbranch_execz .LBB94_237
; %bb.234:
	v_add_nc_u32_e64 v71, 0, 56
	v_add_nc_u32_e32 v72, -7, v0
	s_movk_i32 s5, 0x138
	s_mov_b32 s1, 0
.LBB94_235:                             ; =>This Inner Loop Header: Depth=1
	scratch_load_b64 v[73:74], v71, off
	v_dual_mov_b32 v75, s5 :: v_dual_add_nc_u32 v72, -1, v72
	v_add_nc_u32_e32 v71, 8, v71
	s_add_i32 s5, s5, 8
	ds_load_b64 v[75:76], v75
	v_cmp_eq_u32_e32 vcc_lo, 0, v72
	s_or_b32 s1, vcc_lo, s1
	s_waitcnt vmcnt(0) lgkmcnt(0)
	v_fma_f64 v[63:64], v[73:74], v[75:76], v[63:64]
	s_and_not1_b32 exec_lo, exec_lo, s1
	s_cbranch_execnz .LBB94_235
; %bb.236:
	s_or_b32 exec_lo, exec_lo, s1
.LBB94_237:
	s_delay_alu instid0(SALU_CYCLE_1)
	s_or_b32 exec_lo, exec_lo, s4
	v_mov_b32_e32 v71, 0
	ds_load_b64 v[71:72], v71 offset:48
	s_waitcnt lgkmcnt(0)
	v_mul_f64 v[63:64], v[63:64], v[71:72]
	scratch_store_b64 off, v[63:64], off offset:48
.LBB94_238:
	s_or_b32 exec_lo, exec_lo, s3
	scratch_load_b64 v[63:64], off, off offset:40
	v_cmp_lt_u32_e64 s1, 5, v0
	s_waitcnt vmcnt(0)
	ds_store_b64 v66, v[63:64]
	s_waitcnt lgkmcnt(0)
	s_waitcnt_vscnt null, 0x0
	s_barrier
	buffer_gl0_inv
	s_and_saveexec_b32 s3, s1
	s_cbranch_execz .LBB94_248
; %bb.239:
	s_and_not1_b32 vcc_lo, exec_lo, s2
	s_cbranch_vccnz .LBB94_241
; %bb.240:
	scratch_load_b64 v[63:64], v67, off
	ds_load_b64 v[71:72], v66
	s_waitcnt vmcnt(0) lgkmcnt(0)
	v_mul_f64 v[63:64], v[63:64], v[71:72]
	s_cbranch_execz .LBB94_242
	s_branch .LBB94_243
.LBB94_241:
                                        ; implicit-def: $vgpr63_vgpr64
.LBB94_242:
	ds_load_b64 v[63:64], v66
.LBB94_243:
	s_and_saveexec_b32 s4, s0
	s_cbranch_execz .LBB94_247
; %bb.244:
	v_add_nc_u32_e32 v71, -6, v0
	s_movk_i32 s5, 0x130
	s_mov_b32 s0, 0
.LBB94_245:                             ; =>This Inner Loop Header: Depth=1
	scratch_load_b64 v[72:73], v70, off
	v_dual_mov_b32 v74, s5 :: v_dual_add_nc_u32 v71, -1, v71
	v_add_nc_u32_e32 v70, 8, v70
	s_add_i32 s5, s5, 8
	ds_load_b64 v[74:75], v74
	v_cmp_eq_u32_e32 vcc_lo, 0, v71
	s_or_b32 s0, vcc_lo, s0
	s_waitcnt vmcnt(0) lgkmcnt(0)
	v_fma_f64 v[63:64], v[72:73], v[74:75], v[63:64]
	s_and_not1_b32 exec_lo, exec_lo, s0
	s_cbranch_execnz .LBB94_245
; %bb.246:
	s_or_b32 exec_lo, exec_lo, s0
.LBB94_247:
	s_delay_alu instid0(SALU_CYCLE_1)
	s_or_b32 exec_lo, exec_lo, s4
	v_mov_b32_e32 v70, 0
	ds_load_b64 v[70:71], v70 offset:40
	s_waitcnt lgkmcnt(0)
	v_mul_f64 v[63:64], v[63:64], v[70:71]
	scratch_store_b64 off, v[63:64], off offset:40
.LBB94_248:
	s_or_b32 exec_lo, exec_lo, s3
	scratch_load_b64 v[63:64], off, off offset:32
	v_cmp_lt_u32_e64 s0, 4, v0
	s_waitcnt vmcnt(0)
	ds_store_b64 v66, v[63:64]
	s_waitcnt lgkmcnt(0)
	s_waitcnt_vscnt null, 0x0
	s_barrier
	buffer_gl0_inv
	s_and_saveexec_b32 s3, s0
	s_cbranch_execz .LBB94_258
; %bb.249:
	s_and_not1_b32 vcc_lo, exec_lo, s2
	s_cbranch_vccnz .LBB94_251
; %bb.250:
	scratch_load_b64 v[63:64], v67, off
	ds_load_b64 v[70:71], v66
	s_waitcnt vmcnt(0) lgkmcnt(0)
	v_mul_f64 v[63:64], v[63:64], v[70:71]
	s_cbranch_execz .LBB94_252
	s_branch .LBB94_253
.LBB94_251:
                                        ; implicit-def: $vgpr63_vgpr64
.LBB94_252:
	ds_load_b64 v[63:64], v66
.LBB94_253:
	s_and_saveexec_b32 s4, s1
	s_cbranch_execz .LBB94_257
; %bb.254:
	v_add_nc_u32_e64 v70, 0, 40
	v_add_nc_u32_e32 v71, -5, v0
	s_movk_i32 s5, 0x128
	s_mov_b32 s1, 0
.LBB94_255:                             ; =>This Inner Loop Header: Depth=1
	scratch_load_b64 v[72:73], v70, off
	v_dual_mov_b32 v74, s5 :: v_dual_add_nc_u32 v71, -1, v71
	v_add_nc_u32_e32 v70, 8, v70
	s_add_i32 s5, s5, 8
	ds_load_b64 v[74:75], v74
	v_cmp_eq_u32_e32 vcc_lo, 0, v71
	s_or_b32 s1, vcc_lo, s1
	s_waitcnt vmcnt(0) lgkmcnt(0)
	v_fma_f64 v[63:64], v[72:73], v[74:75], v[63:64]
	s_and_not1_b32 exec_lo, exec_lo, s1
	s_cbranch_execnz .LBB94_255
; %bb.256:
	s_or_b32 exec_lo, exec_lo, s1
.LBB94_257:
	s_delay_alu instid0(SALU_CYCLE_1)
	s_or_b32 exec_lo, exec_lo, s4
	v_mov_b32_e32 v70, 0
	ds_load_b64 v[70:71], v70 offset:32
	s_waitcnt lgkmcnt(0)
	v_mul_f64 v[63:64], v[63:64], v[70:71]
	scratch_store_b64 off, v[63:64], off offset:32
.LBB94_258:
	s_or_b32 exec_lo, exec_lo, s3
	scratch_load_b64 v[63:64], off, off offset:24
	v_cmp_lt_u32_e64 s1, 3, v0
	s_waitcnt vmcnt(0)
	ds_store_b64 v66, v[63:64]
	s_waitcnt lgkmcnt(0)
	s_waitcnt_vscnt null, 0x0
	s_barrier
	buffer_gl0_inv
	s_and_saveexec_b32 s3, s1
	s_cbranch_execz .LBB94_268
; %bb.259:
	s_and_not1_b32 vcc_lo, exec_lo, s2
	s_cbranch_vccnz .LBB94_261
; %bb.260:
	scratch_load_b64 v[63:64], v67, off
	ds_load_b64 v[70:71], v66
	s_waitcnt vmcnt(0) lgkmcnt(0)
	v_mul_f64 v[63:64], v[63:64], v[70:71]
	s_cbranch_execz .LBB94_262
	s_branch .LBB94_263
.LBB94_261:
                                        ; implicit-def: $vgpr63_vgpr64
.LBB94_262:
	ds_load_b64 v[63:64], v66
.LBB94_263:
	s_and_saveexec_b32 s4, s0
	s_cbranch_execz .LBB94_267
; %bb.264:
	v_add_nc_u32_e32 v70, -4, v0
	s_movk_i32 s5, 0x120
	s_mov_b32 s0, 0
.LBB94_265:                             ; =>This Inner Loop Header: Depth=1
	scratch_load_b64 v[71:72], v69, off
	v_dual_mov_b32 v73, s5 :: v_dual_add_nc_u32 v70, -1, v70
	v_add_nc_u32_e32 v69, 8, v69
	s_add_i32 s5, s5, 8
	ds_load_b64 v[73:74], v73
	v_cmp_eq_u32_e32 vcc_lo, 0, v70
	s_or_b32 s0, vcc_lo, s0
	s_waitcnt vmcnt(0) lgkmcnt(0)
	v_fma_f64 v[63:64], v[71:72], v[73:74], v[63:64]
	s_and_not1_b32 exec_lo, exec_lo, s0
	s_cbranch_execnz .LBB94_265
; %bb.266:
	s_or_b32 exec_lo, exec_lo, s0
.LBB94_267:
	s_delay_alu instid0(SALU_CYCLE_1)
	s_or_b32 exec_lo, exec_lo, s4
	v_mov_b32_e32 v69, 0
	ds_load_b64 v[69:70], v69 offset:24
	s_waitcnt lgkmcnt(0)
	v_mul_f64 v[63:64], v[63:64], v[69:70]
	scratch_store_b64 off, v[63:64], off offset:24
.LBB94_268:
	s_or_b32 exec_lo, exec_lo, s3
	scratch_load_b64 v[63:64], off, off offset:16
	v_cmp_lt_u32_e64 s0, 2, v0
	s_waitcnt vmcnt(0)
	ds_store_b64 v66, v[63:64]
	s_waitcnt lgkmcnt(0)
	s_waitcnt_vscnt null, 0x0
	s_barrier
	buffer_gl0_inv
	s_and_saveexec_b32 s3, s0
	s_cbranch_execz .LBB94_278
; %bb.269:
	s_and_not1_b32 vcc_lo, exec_lo, s2
	s_cbranch_vccnz .LBB94_271
; %bb.270:
	scratch_load_b64 v[63:64], v67, off
	ds_load_b64 v[69:70], v66
	s_waitcnt vmcnt(0) lgkmcnt(0)
	v_mul_f64 v[63:64], v[63:64], v[69:70]
	s_cbranch_execz .LBB94_272
	s_branch .LBB94_273
.LBB94_271:
                                        ; implicit-def: $vgpr63_vgpr64
.LBB94_272:
	ds_load_b64 v[63:64], v66
.LBB94_273:
	s_and_saveexec_b32 s4, s1
	s_cbranch_execz .LBB94_277
; %bb.274:
	v_add_nc_u32_e64 v69, 0, 24
	v_add_nc_u32_e32 v70, -3, v0
	s_movk_i32 s5, 0x118
	s_mov_b32 s1, 0
.LBB94_275:                             ; =>This Inner Loop Header: Depth=1
	scratch_load_b64 v[71:72], v69, off
	v_dual_mov_b32 v73, s5 :: v_dual_add_nc_u32 v70, -1, v70
	v_add_nc_u32_e32 v69, 8, v69
	s_add_i32 s5, s5, 8
	ds_load_b64 v[73:74], v73
	v_cmp_eq_u32_e32 vcc_lo, 0, v70
	s_or_b32 s1, vcc_lo, s1
	s_waitcnt vmcnt(0) lgkmcnt(0)
	v_fma_f64 v[63:64], v[71:72], v[73:74], v[63:64]
	s_and_not1_b32 exec_lo, exec_lo, s1
	s_cbranch_execnz .LBB94_275
; %bb.276:
	s_or_b32 exec_lo, exec_lo, s1
.LBB94_277:
	s_delay_alu instid0(SALU_CYCLE_1)
	s_or_b32 exec_lo, exec_lo, s4
	v_mov_b32_e32 v69, 0
	ds_load_b64 v[69:70], v69 offset:16
	s_waitcnt lgkmcnt(0)
	v_mul_f64 v[63:64], v[63:64], v[69:70]
	scratch_store_b64 off, v[63:64], off offset:16
.LBB94_278:
	s_or_b32 exec_lo, exec_lo, s3
	scratch_load_b64 v[63:64], off, off offset:8
	v_cmp_lt_u32_e64 s1, 1, v0
	s_waitcnt vmcnt(0)
	ds_store_b64 v66, v[63:64]
	s_waitcnt lgkmcnt(0)
	s_waitcnt_vscnt null, 0x0
	s_barrier
	buffer_gl0_inv
	s_and_saveexec_b32 s3, s1
	s_cbranch_execz .LBB94_288
; %bb.279:
	s_and_not1_b32 vcc_lo, exec_lo, s2
	s_cbranch_vccnz .LBB94_281
; %bb.280:
	scratch_load_b64 v[63:64], v67, off
	ds_load_b64 v[69:70], v66
	s_waitcnt vmcnt(0) lgkmcnt(0)
	v_mul_f64 v[63:64], v[63:64], v[69:70]
	s_cbranch_execz .LBB94_282
	s_branch .LBB94_283
.LBB94_281:
                                        ; implicit-def: $vgpr63_vgpr64
.LBB94_282:
	ds_load_b64 v[63:64], v66
.LBB94_283:
	s_and_saveexec_b32 s4, s0
	s_cbranch_execz .LBB94_287
; %bb.284:
	v_add_nc_u32_e32 v69, -2, v0
	s_movk_i32 s5, 0x110
	s_mov_b32 s0, 0
.LBB94_285:                             ; =>This Inner Loop Header: Depth=1
	scratch_load_b64 v[70:71], v68, off
	v_dual_mov_b32 v72, s5 :: v_dual_add_nc_u32 v69, -1, v69
	v_add_nc_u32_e32 v68, 8, v68
	s_add_i32 s5, s5, 8
	ds_load_b64 v[72:73], v72
	v_cmp_eq_u32_e32 vcc_lo, 0, v69
	s_or_b32 s0, vcc_lo, s0
	s_waitcnt vmcnt(0) lgkmcnt(0)
	v_fma_f64 v[63:64], v[70:71], v[72:73], v[63:64]
	s_and_not1_b32 exec_lo, exec_lo, s0
	s_cbranch_execnz .LBB94_285
; %bb.286:
	s_or_b32 exec_lo, exec_lo, s0
.LBB94_287:
	s_delay_alu instid0(SALU_CYCLE_1)
	s_or_b32 exec_lo, exec_lo, s4
	v_mov_b32_e32 v68, 0
	ds_load_b64 v[68:69], v68 offset:8
	s_waitcnt lgkmcnt(0)
	v_mul_f64 v[63:64], v[63:64], v[68:69]
	scratch_store_b64 off, v[63:64], off offset:8
.LBB94_288:
	s_or_b32 exec_lo, exec_lo, s3
	scratch_load_b64 v[63:64], off, off
	s_mov_b32 s0, 0
	s_mov_b32 s3, exec_lo
	s_waitcnt vmcnt(0)
	ds_store_b64 v66, v[63:64]
	s_waitcnt lgkmcnt(0)
	s_waitcnt_vscnt null, 0x0
	s_barrier
	buffer_gl0_inv
	v_cmpx_ne_u32_e32 0, v0
	s_cbranch_execz .LBB94_298
; %bb.289:
	s_and_not1_b32 vcc_lo, exec_lo, s2
	s_cbranch_vccnz .LBB94_291
; %bb.290:
	scratch_load_b64 v[63:64], v67, off
	ds_load_b64 v[68:69], v66
	s_waitcnt vmcnt(0) lgkmcnt(0)
	v_mul_f64 v[63:64], v[63:64], v[68:69]
	s_cbranch_execz .LBB94_292
	s_branch .LBB94_293
.LBB94_291:
                                        ; implicit-def: $vgpr63_vgpr64
.LBB94_292:
	ds_load_b64 v[63:64], v66
.LBB94_293:
	s_and_saveexec_b32 s4, s1
	s_cbranch_execz .LBB94_297
; %bb.294:
	v_or_b32_e64 v68, 0, 8
	v_add_nc_u32_e32 v69, -1, v0
	s_movk_i32 s5, 0x108
	s_mov_b32 s1, 0
.LBB94_295:                             ; =>This Inner Loop Header: Depth=1
	scratch_load_b64 v[70:71], v68, off
	v_dual_mov_b32 v72, s5 :: v_dual_add_nc_u32 v69, -1, v69
	v_add_nc_u32_e32 v68, 8, v68
	s_add_i32 s5, s5, 8
	ds_load_b64 v[72:73], v72
	v_cmp_eq_u32_e32 vcc_lo, 0, v69
	s_or_b32 s1, vcc_lo, s1
	s_waitcnt vmcnt(0) lgkmcnt(0)
	v_fma_f64 v[63:64], v[70:71], v[72:73], v[63:64]
	s_and_not1_b32 exec_lo, exec_lo, s1
	s_cbranch_execnz .LBB94_295
; %bb.296:
	s_or_b32 exec_lo, exec_lo, s1
.LBB94_297:
	s_delay_alu instid0(SALU_CYCLE_1)
	s_or_b32 exec_lo, exec_lo, s4
	v_mov_b32_e32 v68, 0
	ds_load_b64 v[68:69], v68
	s_waitcnt lgkmcnt(0)
	v_mul_f64 v[63:64], v[63:64], v[68:69]
	scratch_store_b64 off, v[63:64], off
.LBB94_298:
	s_or_b32 exec_lo, exec_lo, s3
.LBB94_299:
	s_delay_alu instid0(SALU_CYCLE_1)
	s_and_b32 vcc_lo, exec_lo, s0
	s_cbranch_vccz .LBB94_595
; %bb.300:
	scratch_load_b64 v[63:64], off, off offset:8
	v_cmp_eq_u32_e64 s0, 0, v0
	s_waitcnt vmcnt(0)
	ds_store_b64 v66, v[63:64]
	s_waitcnt lgkmcnt(0)
	s_waitcnt_vscnt null, 0x0
	s_barrier
	buffer_gl0_inv
	s_and_saveexec_b32 s1, s0
	s_cbranch_execz .LBB94_306
; %bb.301:
	s_and_b32 vcc_lo, exec_lo, s2
	s_cbranch_vccz .LBB94_303
; %bb.302:
	scratch_load_b64 v[63:64], v67, off
	ds_load_b64 v[68:69], v66
	s_waitcnt vmcnt(0) lgkmcnt(0)
	v_mul_f64 v[63:64], v[63:64], v[68:69]
	s_cbranch_execz .LBB94_304
	s_branch .LBB94_305
.LBB94_303:
                                        ; implicit-def: $vgpr63_vgpr64
.LBB94_304:
	ds_load_b64 v[63:64], v66
.LBB94_305:
	v_mov_b32_e32 v68, 0
	ds_load_b64 v[68:69], v68 offset:8
	s_waitcnt lgkmcnt(0)
	v_mul_f64 v[63:64], v[63:64], v[68:69]
	scratch_store_b64 off, v[63:64], off offset:8
.LBB94_306:
	s_or_b32 exec_lo, exec_lo, s1
	scratch_load_b64 v[63:64], off, off offset:16
	v_cndmask_b32_e64 v68, 0, 1, s2
	s_mov_b32 s1, exec_lo
	s_waitcnt vmcnt(0)
	ds_store_b64 v66, v[63:64]
	s_waitcnt lgkmcnt(0)
	s_waitcnt_vscnt null, 0x0
	s_barrier
	buffer_gl0_inv
	v_cmpx_gt_u32_e32 2, v0
	s_cbranch_execz .LBB94_314
; %bb.307:
	s_and_not1_b32 vcc_lo, exec_lo, s2
	s_cbranch_vccnz .LBB94_309
; %bb.308:
	scratch_load_b64 v[63:64], v67, off
	ds_load_b64 v[69:70], v66
	s_waitcnt vmcnt(0) lgkmcnt(0)
	v_mul_f64 v[63:64], v[63:64], v[69:70]
	s_cbranch_execz .LBB94_310
	s_branch .LBB94_311
.LBB94_309:
                                        ; implicit-def: $vgpr63_vgpr64
.LBB94_310:
	ds_load_b64 v[63:64], v66
.LBB94_311:
	s_and_saveexec_b32 s2, s0
	s_cbranch_execz .LBB94_313
; %bb.312:
	scratch_load_b64 v[69:70], v67, off offset:8
	ds_load_b64 v[71:72], v66 offset:8
	s_waitcnt vmcnt(0) lgkmcnt(0)
	v_fma_f64 v[63:64], v[69:70], v[71:72], v[63:64]
.LBB94_313:
	s_or_b32 exec_lo, exec_lo, s2
	v_mov_b32_e32 v69, 0
	ds_load_b64 v[69:70], v69 offset:16
	s_waitcnt lgkmcnt(0)
	v_mul_f64 v[63:64], v[63:64], v[69:70]
	scratch_store_b64 off, v[63:64], off offset:16
.LBB94_314:
	s_or_b32 exec_lo, exec_lo, s1
	scratch_load_b64 v[63:64], off, off offset:24
	s_mov_b32 s1, exec_lo
	s_waitcnt vmcnt(0)
	ds_store_b64 v66, v[63:64]
	s_waitcnt lgkmcnt(0)
	s_waitcnt_vscnt null, 0x0
	s_barrier
	buffer_gl0_inv
	v_cmpx_gt_u32_e32 3, v0
	s_cbranch_execz .LBB94_324
; %bb.315:
	v_cmp_ne_u32_e32 vcc_lo, 1, v68
	s_cbranch_vccnz .LBB94_317
; %bb.316:
	scratch_load_b64 v[63:64], v67, off
	ds_load_b64 v[69:70], v66
	s_waitcnt vmcnt(0) lgkmcnt(0)
	v_mul_f64 v[63:64], v[63:64], v[69:70]
	s_cbranch_execz .LBB94_318
	s_branch .LBB94_319
.LBB94_317:
                                        ; implicit-def: $vgpr63_vgpr64
.LBB94_318:
	ds_load_b64 v[63:64], v66
.LBB94_319:
	s_mov_b32 s2, exec_lo
	v_cmpx_ne_u32_e32 2, v0
	s_cbranch_execz .LBB94_323
; %bb.320:
	scratch_load_b64 v[69:70], v67, off offset:8
	ds_load_b64 v[71:72], v66 offset:8
	s_waitcnt vmcnt(0) lgkmcnt(0)
	v_fma_f64 v[63:64], v[69:70], v[71:72], v[63:64]
	s_and_saveexec_b32 s3, s0
	s_cbranch_execz .LBB94_322
; %bb.321:
	scratch_load_b64 v[69:70], off, off offset:16
	v_mov_b32_e32 v71, 0
	ds_load_b64 v[71:72], v71 offset:272
	s_waitcnt vmcnt(0) lgkmcnt(0)
	v_fma_f64 v[63:64], v[69:70], v[71:72], v[63:64]
.LBB94_322:
	s_or_b32 exec_lo, exec_lo, s3
.LBB94_323:
	s_delay_alu instid0(SALU_CYCLE_1)
	s_or_b32 exec_lo, exec_lo, s2
	v_mov_b32_e32 v69, 0
	ds_load_b64 v[69:70], v69 offset:24
	s_waitcnt lgkmcnt(0)
	v_mul_f64 v[63:64], v[63:64], v[69:70]
	scratch_store_b64 off, v[63:64], off offset:24
.LBB94_324:
	s_or_b32 exec_lo, exec_lo, s1
	scratch_load_b64 v[63:64], off, off offset:32
	s_mov_b32 s0, exec_lo
	s_waitcnt vmcnt(0)
	ds_store_b64 v66, v[63:64]
	s_waitcnt lgkmcnt(0)
	s_waitcnt_vscnt null, 0x0
	s_barrier
	buffer_gl0_inv
	v_cmpx_gt_u32_e32 4, v0
	s_cbranch_execz .LBB94_334
; %bb.325:
	v_cmp_ne_u32_e32 vcc_lo, 1, v68
	s_cbranch_vccnz .LBB94_327
; %bb.326:
	scratch_load_b64 v[63:64], v67, off
	ds_load_b64 v[69:70], v66
	s_waitcnt vmcnt(0) lgkmcnt(0)
	v_mul_f64 v[63:64], v[63:64], v[69:70]
	s_cbranch_execz .LBB94_328
	s_branch .LBB94_329
.LBB94_327:
                                        ; implicit-def: $vgpr63_vgpr64
.LBB94_328:
	ds_load_b64 v[63:64], v66
.LBB94_329:
	s_mov_b32 s1, exec_lo
	v_cmpx_ne_u32_e32 3, v0
	s_cbranch_execz .LBB94_333
; %bb.330:
	v_add_nc_u32_e32 v69, 0x108, v65
	v_add3_u32 v70, 0, v65, 8
	v_mov_b32_e32 v71, v0
	s_mov_b32 s2, 0
.LBB94_331:                             ; =>This Inner Loop Header: Depth=1
	scratch_load_b64 v[72:73], v70, off
	ds_load_b64 v[74:75], v69
	v_add_nc_u32_e32 v71, 1, v71
	v_add_nc_u32_e32 v69, 8, v69
	v_add_nc_u32_e32 v70, 8, v70
	s_delay_alu instid0(VALU_DEP_3)
	v_cmp_lt_u32_e32 vcc_lo, 2, v71
	s_or_b32 s2, vcc_lo, s2
	s_waitcnt vmcnt(0) lgkmcnt(0)
	v_fma_f64 v[63:64], v[72:73], v[74:75], v[63:64]
	s_and_not1_b32 exec_lo, exec_lo, s2
	s_cbranch_execnz .LBB94_331
; %bb.332:
	s_or_b32 exec_lo, exec_lo, s2
.LBB94_333:
	s_delay_alu instid0(SALU_CYCLE_1)
	s_or_b32 exec_lo, exec_lo, s1
	v_mov_b32_e32 v69, 0
	ds_load_b64 v[69:70], v69 offset:32
	s_waitcnt lgkmcnt(0)
	v_mul_f64 v[63:64], v[63:64], v[69:70]
	scratch_store_b64 off, v[63:64], off offset:32
.LBB94_334:
	s_or_b32 exec_lo, exec_lo, s0
	scratch_load_b64 v[63:64], off, off offset:40
	s_mov_b32 s0, exec_lo
	s_waitcnt vmcnt(0)
	ds_store_b64 v66, v[63:64]
	s_waitcnt lgkmcnt(0)
	s_waitcnt_vscnt null, 0x0
	s_barrier
	buffer_gl0_inv
	v_cmpx_gt_u32_e32 5, v0
	s_cbranch_execz .LBB94_344
; %bb.335:
	v_cmp_ne_u32_e32 vcc_lo, 1, v68
	s_cbranch_vccnz .LBB94_337
; %bb.336:
	scratch_load_b64 v[63:64], v67, off
	ds_load_b64 v[69:70], v66
	s_waitcnt vmcnt(0) lgkmcnt(0)
	v_mul_f64 v[63:64], v[63:64], v[69:70]
	s_cbranch_execz .LBB94_338
	s_branch .LBB94_339
.LBB94_337:
                                        ; implicit-def: $vgpr63_vgpr64
.LBB94_338:
	ds_load_b64 v[63:64], v66
.LBB94_339:
	s_mov_b32 s1, exec_lo
	v_cmpx_ne_u32_e32 4, v0
	s_cbranch_execz .LBB94_343
; %bb.340:
	v_add_nc_u32_e32 v69, 0x108, v65
	v_add3_u32 v70, 0, v65, 8
	v_mov_b32_e32 v71, v0
	s_mov_b32 s2, 0
.LBB94_341:                             ; =>This Inner Loop Header: Depth=1
	scratch_load_b64 v[72:73], v70, off
	ds_load_b64 v[74:75], v69
	v_add_nc_u32_e32 v71, 1, v71
	v_add_nc_u32_e32 v69, 8, v69
	v_add_nc_u32_e32 v70, 8, v70
	s_delay_alu instid0(VALU_DEP_3)
	v_cmp_lt_u32_e32 vcc_lo, 3, v71
	s_or_b32 s2, vcc_lo, s2
	s_waitcnt vmcnt(0) lgkmcnt(0)
	v_fma_f64 v[63:64], v[72:73], v[74:75], v[63:64]
	s_and_not1_b32 exec_lo, exec_lo, s2
	s_cbranch_execnz .LBB94_341
; %bb.342:
	s_or_b32 exec_lo, exec_lo, s2
.LBB94_343:
	s_delay_alu instid0(SALU_CYCLE_1)
	s_or_b32 exec_lo, exec_lo, s1
	v_mov_b32_e32 v69, 0
	ds_load_b64 v[69:70], v69 offset:40
	s_waitcnt lgkmcnt(0)
	v_mul_f64 v[63:64], v[63:64], v[69:70]
	scratch_store_b64 off, v[63:64], off offset:40
.LBB94_344:
	;; [unrolled: 58-line block ×25, first 2 shown]
	s_or_b32 exec_lo, exec_lo, s0
	scratch_load_b64 v[63:64], off, off offset:232
	v_cmp_gt_u32_e64 s0, 29, v0
	s_waitcnt vmcnt(0)
	ds_store_b64 v66, v[63:64]
	s_waitcnt lgkmcnt(0)
	s_waitcnt_vscnt null, 0x0
	s_barrier
	buffer_gl0_inv
	s_and_saveexec_b32 s1, s0
	s_cbranch_execz .LBB94_584
; %bb.575:
	v_cmp_ne_u32_e32 vcc_lo, 1, v68
	s_cbranch_vccnz .LBB94_577
; %bb.576:
	scratch_load_b64 v[63:64], v67, off
	ds_load_b64 v[69:70], v66
	s_waitcnt vmcnt(0) lgkmcnt(0)
	v_mul_f64 v[63:64], v[63:64], v[69:70]
	s_cbranch_execz .LBB94_578
	s_branch .LBB94_579
.LBB94_577:
                                        ; implicit-def: $vgpr63_vgpr64
.LBB94_578:
	ds_load_b64 v[63:64], v66
.LBB94_579:
	s_mov_b32 s2, exec_lo
	v_cmpx_ne_u32_e32 28, v0
	s_cbranch_execz .LBB94_583
; %bb.580:
	v_add_nc_u32_e32 v69, 0x108, v65
	v_add3_u32 v70, 0, v65, 8
	v_mov_b32_e32 v71, v0
	s_mov_b32 s3, 0
.LBB94_581:                             ; =>This Inner Loop Header: Depth=1
	scratch_load_b64 v[72:73], v70, off
	ds_load_b64 v[74:75], v69
	v_add_nc_u32_e32 v71, 1, v71
	v_add_nc_u32_e32 v69, 8, v69
	;; [unrolled: 1-line block ×3, first 2 shown]
	s_delay_alu instid0(VALU_DEP_3)
	v_cmp_lt_u32_e32 vcc_lo, 27, v71
	s_or_b32 s3, vcc_lo, s3
	s_waitcnt vmcnt(0) lgkmcnt(0)
	v_fma_f64 v[63:64], v[72:73], v[74:75], v[63:64]
	s_and_not1_b32 exec_lo, exec_lo, s3
	s_cbranch_execnz .LBB94_581
; %bb.582:
	s_or_b32 exec_lo, exec_lo, s3
.LBB94_583:
	s_delay_alu instid0(SALU_CYCLE_1)
	s_or_b32 exec_lo, exec_lo, s2
	v_mov_b32_e32 v69, 0
	ds_load_b64 v[69:70], v69 offset:232
	s_waitcnt lgkmcnt(0)
	v_mul_f64 v[63:64], v[63:64], v[69:70]
	scratch_store_b64 off, v[63:64], off offset:232
.LBB94_584:
	s_or_b32 exec_lo, exec_lo, s1
	scratch_load_b64 v[63:64], off, off offset:240
	s_mov_b32 s1, exec_lo
	s_waitcnt vmcnt(0)
	ds_store_b64 v66, v[63:64]
	s_waitcnt lgkmcnt(0)
	s_waitcnt_vscnt null, 0x0
	s_barrier
	buffer_gl0_inv
	v_cmpx_ne_u32_e32 30, v0
	s_cbranch_execz .LBB94_594
; %bb.585:
	v_cmp_ne_u32_e32 vcc_lo, 1, v68
	s_cbranch_vccnz .LBB94_587
; %bb.586:
	scratch_load_b64 v[63:64], v67, off
	ds_load_b64 v[67:68], v66
	s_waitcnt vmcnt(0) lgkmcnt(0)
	v_mul_f64 v[63:64], v[63:64], v[67:68]
	s_cbranch_execz .LBB94_588
	s_branch .LBB94_589
.LBB94_587:
                                        ; implicit-def: $vgpr63_vgpr64
.LBB94_588:
	ds_load_b64 v[63:64], v66
.LBB94_589:
	s_and_saveexec_b32 s2, s0
	s_cbranch_execz .LBB94_593
; %bb.590:
	v_add_nc_u32_e32 v66, 0x108, v65
	v_add3_u32 v65, 0, v65, 8
	s_mov_b32 s0, 0
.LBB94_591:                             ; =>This Inner Loop Header: Depth=1
	scratch_load_b64 v[67:68], v65, off
	ds_load_b64 v[69:70], v66
	v_add_nc_u32_e32 v0, 1, v0
	v_add_nc_u32_e32 v66, 8, v66
	;; [unrolled: 1-line block ×3, first 2 shown]
	s_delay_alu instid0(VALU_DEP_3)
	v_cmp_lt_u32_e32 vcc_lo, 28, v0
	s_or_b32 s0, vcc_lo, s0
	s_waitcnt vmcnt(0) lgkmcnt(0)
	v_fma_f64 v[63:64], v[67:68], v[69:70], v[63:64]
	s_and_not1_b32 exec_lo, exec_lo, s0
	s_cbranch_execnz .LBB94_591
; %bb.592:
	s_or_b32 exec_lo, exec_lo, s0
.LBB94_593:
	s_delay_alu instid0(SALU_CYCLE_1)
	s_or_b32 exec_lo, exec_lo, s2
	v_mov_b32_e32 v0, 0
	ds_load_b64 v[65:66], v0 offset:240
	s_waitcnt lgkmcnt(0)
	v_mul_f64 v[63:64], v[63:64], v[65:66]
	scratch_store_b64 off, v[63:64], off offset:240
.LBB94_594:
	s_or_b32 exec_lo, exec_lo, s1
.LBB94_595:
	s_clause 0x8
	scratch_load_b128 v[63:66], off, off
	scratch_load_b128 v[67:70], off, off offset:16
	scratch_load_b128 v[71:74], off, off offset:32
	;; [unrolled: 1-line block ×8, first 2 shown]
	s_waitcnt vmcnt(8)
	s_clause 0x1
	global_store_b64 v[5:6], v[63:64], off
	global_store_b64 v[1:2], v[65:66], off
	s_waitcnt vmcnt(7)
	s_clause 0x1
	global_store_b64 v[11:12], v[67:68], off
	global_store_b64 v[9:10], v[69:70], off
	scratch_load_b128 v[9:12], off, off offset:160
	s_waitcnt vmcnt(7)
	s_clause 0x1
	global_store_b64 v[7:8], v[71:72], off
	global_store_b64 v[3:4], v[73:74], off
	s_waitcnt vmcnt(6)
	s_clause 0x1
	global_store_b64 v[13:14], v[75:76], off
	global_store_b64 v[17:18], v[77:78], off
	s_clause 0x5
	scratch_load_b128 v[63:66], off, off offset:128
	scratch_load_b128 v[5:8], off, off offset:176
	;; [unrolled: 1-line block ×5, first 2 shown]
	scratch_load_b64 v[13:14], off, off offset:240
	s_waitcnt vmcnt(11)
	s_clause 0x1
	global_store_b64 v[15:16], v[79:80], off
	global_store_b64 v[19:20], v[81:82], off
	s_waitcnt vmcnt(10)
	s_clause 0x1
	global_store_b64 v[23:24], v[83:84], off
	global_store_b64 v[25:26], v[85:86], off
	;; [unrolled: 4-line block ×5, first 2 shown]
	global_store_b64 v[39:40], v[95:96], off
	global_store_b64 v[41:42], v[97:98], off
	;; [unrolled: 1-line block ×4, first 2 shown]
	s_waitcnt vmcnt(4)
	s_clause 0x1
	global_store_b64 v[47:48], v[5:6], off
	global_store_b64 v[49:50], v[7:8], off
	s_waitcnt vmcnt(3)
	s_clause 0x1
	global_store_b64 v[51:52], v[0:1], off
	global_store_b64 v[53:54], v[2:3], off
	;; [unrolled: 4-line block ×4, first 2 shown]
	s_waitcnt vmcnt(0)
	global_store_b64 v[21:22], v[13:14], off
.LBB94_596:
	s_endpgm
	.section	.rodata,"a",@progbits
	.p2align	6, 0x0
	.amdhsa_kernel _ZN9rocsolver6v33100L18trti2_kernel_smallILi31EdPKPdEEv13rocblas_fill_17rocblas_diagonal_T1_iil
		.amdhsa_group_segment_fixed_size 504
		.amdhsa_private_segment_fixed_size 256
		.amdhsa_kernarg_size 32
		.amdhsa_user_sgpr_count 15
		.amdhsa_user_sgpr_dispatch_ptr 0
		.amdhsa_user_sgpr_queue_ptr 0
		.amdhsa_user_sgpr_kernarg_segment_ptr 1
		.amdhsa_user_sgpr_dispatch_id 0
		.amdhsa_user_sgpr_private_segment_size 0
		.amdhsa_wavefront_size32 1
		.amdhsa_uses_dynamic_stack 0
		.amdhsa_enable_private_segment 1
		.amdhsa_system_sgpr_workgroup_id_x 1
		.amdhsa_system_sgpr_workgroup_id_y 0
		.amdhsa_system_sgpr_workgroup_id_z 0
		.amdhsa_system_sgpr_workgroup_info 0
		.amdhsa_system_vgpr_workitem_id 0
		.amdhsa_next_free_vgpr 100
		.amdhsa_next_free_sgpr 16
		.amdhsa_reserve_vcc 1
		.amdhsa_float_round_mode_32 0
		.amdhsa_float_round_mode_16_64 0
		.amdhsa_float_denorm_mode_32 3
		.amdhsa_float_denorm_mode_16_64 3
		.amdhsa_dx10_clamp 1
		.amdhsa_ieee_mode 1
		.amdhsa_fp16_overflow 0
		.amdhsa_workgroup_processor_mode 1
		.amdhsa_memory_ordered 1
		.amdhsa_forward_progress 0
		.amdhsa_shared_vgpr_count 0
		.amdhsa_exception_fp_ieee_invalid_op 0
		.amdhsa_exception_fp_denorm_src 0
		.amdhsa_exception_fp_ieee_div_zero 0
		.amdhsa_exception_fp_ieee_overflow 0
		.amdhsa_exception_fp_ieee_underflow 0
		.amdhsa_exception_fp_ieee_inexact 0
		.amdhsa_exception_int_div_zero 0
	.end_amdhsa_kernel
	.section	.text._ZN9rocsolver6v33100L18trti2_kernel_smallILi31EdPKPdEEv13rocblas_fill_17rocblas_diagonal_T1_iil,"axG",@progbits,_ZN9rocsolver6v33100L18trti2_kernel_smallILi31EdPKPdEEv13rocblas_fill_17rocblas_diagonal_T1_iil,comdat
.Lfunc_end94:
	.size	_ZN9rocsolver6v33100L18trti2_kernel_smallILi31EdPKPdEEv13rocblas_fill_17rocblas_diagonal_T1_iil, .Lfunc_end94-_ZN9rocsolver6v33100L18trti2_kernel_smallILi31EdPKPdEEv13rocblas_fill_17rocblas_diagonal_T1_iil
                                        ; -- End function
	.section	.AMDGPU.csdata,"",@progbits
; Kernel info:
; codeLenInByte = 16748
; NumSgprs: 18
; NumVgprs: 100
; ScratchSize: 256
; MemoryBound: 0
; FloatMode: 240
; IeeeMode: 1
; LDSByteSize: 504 bytes/workgroup (compile time only)
; SGPRBlocks: 2
; VGPRBlocks: 12
; NumSGPRsForWavesPerEU: 18
; NumVGPRsForWavesPerEU: 100
; Occupancy: 12
; WaveLimiterHint : 1
; COMPUTE_PGM_RSRC2:SCRATCH_EN: 1
; COMPUTE_PGM_RSRC2:USER_SGPR: 15
; COMPUTE_PGM_RSRC2:TRAP_HANDLER: 0
; COMPUTE_PGM_RSRC2:TGID_X_EN: 1
; COMPUTE_PGM_RSRC2:TGID_Y_EN: 0
; COMPUTE_PGM_RSRC2:TGID_Z_EN: 0
; COMPUTE_PGM_RSRC2:TIDIG_COMP_CNT: 0
	.section	.text._ZN9rocsolver6v33100L18trti2_kernel_smallILi32EdPKPdEEv13rocblas_fill_17rocblas_diagonal_T1_iil,"axG",@progbits,_ZN9rocsolver6v33100L18trti2_kernel_smallILi32EdPKPdEEv13rocblas_fill_17rocblas_diagonal_T1_iil,comdat
	.globl	_ZN9rocsolver6v33100L18trti2_kernel_smallILi32EdPKPdEEv13rocblas_fill_17rocblas_diagonal_T1_iil ; -- Begin function _ZN9rocsolver6v33100L18trti2_kernel_smallILi32EdPKPdEEv13rocblas_fill_17rocblas_diagonal_T1_iil
	.p2align	8
	.type	_ZN9rocsolver6v33100L18trti2_kernel_smallILi32EdPKPdEEv13rocblas_fill_17rocblas_diagonal_T1_iil,@function
_ZN9rocsolver6v33100L18trti2_kernel_smallILi32EdPKPdEEv13rocblas_fill_17rocblas_diagonal_T1_iil: ; @_ZN9rocsolver6v33100L18trti2_kernel_smallILi32EdPKPdEEv13rocblas_fill_17rocblas_diagonal_T1_iil
; %bb.0:
	s_mov_b32 s2, exec_lo
	v_cmpx_gt_u32_e32 32, v0
	s_cbranch_execz .LBB95_616
; %bb.1:
	s_clause 0x1
	s_load_b64 s[4:5], s[0:1], 0x10
	s_load_b128 s[0:3], s[0:1], 0x0
	s_mov_b32 s6, s15
	s_ashr_i32 s7, s15, 31
	v_lshlrev_b32_e32 v67, 3, v0
	s_lshl_b64 s[6:7], s[6:7], 3
	s_waitcnt lgkmcnt(0)
	s_ashr_i32 s9, s4, 31
	s_add_u32 s2, s2, s6
	s_addc_u32 s3, s3, s7
	v_add3_u32 v1, s5, s5, v0
	s_load_b64 s[2:3], s[2:3], 0x0
	s_mov_b32 s8, s4
	s_mov_b32 s6, s5
	s_lshl_b64 s[8:9], s[8:9], 3
	v_add_nc_u32_e32 v3, s5, v1
	v_ashrrev_i32_e32 v2, 31, v1
	s_delay_alu instid0(VALU_DEP_2) | instskip(SKIP_1) | instid1(VALU_DEP_3)
	v_add_nc_u32_e32 v7, s5, v3
	v_ashrrev_i32_e32 v4, 31, v3
	v_lshlrev_b64 v[1:2], 3, v[1:2]
	s_delay_alu instid0(VALU_DEP_3) | instskip(NEXT) | instid1(VALU_DEP_3)
	v_add_nc_u32_e32 v9, s5, v7
	v_lshlrev_b64 v[3:4], 3, v[3:4]
	v_ashrrev_i32_e32 v8, 31, v7
	s_delay_alu instid0(VALU_DEP_3)
	v_ashrrev_i32_e32 v10, 31, v9
	s_waitcnt lgkmcnt(0)
	s_add_u32 s2, s2, s8
	s_addc_u32 s3, s3, s9
	v_add_co_u32 v11, s4, s2, v67
	s_ashr_i32 s7, s5, 31
	v_add_co_ci_u32_e64 v12, null, s3, 0, s4
	s_lshl_b64 s[6:7], s[6:7], 3
	v_lshlrev_b64 v[14:15], 3, v[9:10]
	v_add_co_u32 v5, vcc_lo, v11, s6
	s_delay_alu instid0(VALU_DEP_3)
	v_add_co_ci_u32_e32 v6, vcc_lo, s7, v12, vcc_lo
	v_add_co_u32 v17, vcc_lo, s2, v1
	v_add_co_ci_u32_e32 v18, vcc_lo, s3, v2, vcc_lo
	v_lshlrev_b64 v[7:8], 3, v[7:8]
	v_add_nc_u32_e32 v13, s5, v9
	v_add_co_u32 v9, vcc_lo, s2, v3
	s_clause 0x1
	global_load_b64 v[27:28], v67, s[2:3]
	global_load_b64 v[29:30], v[5:6], off
	v_add_co_ci_u32_e32 v10, vcc_lo, s3, v4, vcc_lo
	v_add_co_u32 v1, vcc_lo, s2, v14
	v_add_co_ci_u32_e32 v2, vcc_lo, s3, v15, vcc_lo
	v_add_co_u32 v3, vcc_lo, s2, v7
	v_add_nc_u32_e32 v7, s5, v13
	v_ashrrev_i32_e32 v14, 31, v13
	v_add_co_ci_u32_e32 v4, vcc_lo, s3, v8, vcc_lo
	s_clause 0x3
	global_load_b64 v[35:36], v[17:18], off
	global_load_b64 v[37:38], v[9:10], off
	;; [unrolled: 1-line block ×4, first 2 shown]
	v_ashrrev_i32_e32 v8, 31, v7
	v_add_nc_u32_e32 v21, s5, v7
	v_lshlrev_b64 v[13:14], 3, v[13:14]
	s_cmpk_lg_i32 s1, 0x84
	s_delay_alu instid0(VALU_DEP_3) | instskip(NEXT) | instid1(VALU_DEP_3)
	v_lshlrev_b64 v[7:8], 3, v[7:8]
	v_add_nc_u32_e32 v23, s5, v21
	v_ashrrev_i32_e32 v22, 31, v21
	s_delay_alu instid0(VALU_DEP_4)
	v_add_co_u32 v19, vcc_lo, s2, v13
	v_add_co_ci_u32_e32 v20, vcc_lo, s3, v14, vcc_lo
	v_add_co_u32 v15, vcc_lo, s2, v7
	v_ashrrev_i32_e32 v24, 31, v23
	v_add_co_ci_u32_e32 v16, vcc_lo, s3, v8, vcc_lo
	v_lshlrev_b64 v[7:8], 3, v[21:22]
	s_clause 0x1
	global_load_b64 v[43:44], v[19:20], off
	global_load_b64 v[45:46], v[15:16], off
	v_lshlrev_b64 v[21:22], 3, v[23:24]
	v_add_co_u32 v13, vcc_lo, s2, v7
	v_add_co_ci_u32_e32 v14, vcc_lo, s3, v8, vcc_lo
	s_delay_alu instid0(VALU_DEP_3) | instskip(NEXT) | instid1(VALU_DEP_4)
	v_add_co_u32 v7, vcc_lo, s2, v21
	v_add_co_ci_u32_e32 v8, vcc_lo, s3, v22, vcc_lo
	s_clause 0x1
	global_load_b64 v[47:48], v[13:14], off
	global_load_b64 v[49:50], v[7:8], off
	v_add_nc_u32_e32 v21, s5, v23
	s_delay_alu instid0(VALU_DEP_1) | instskip(SKIP_1) | instid1(VALU_DEP_2)
	v_add_nc_u32_e32 v23, s5, v21
	v_ashrrev_i32_e32 v22, 31, v21
	v_add_nc_u32_e32 v25, s5, v23
	s_delay_alu instid0(VALU_DEP_2) | instskip(SKIP_1) | instid1(VALU_DEP_3)
	v_lshlrev_b64 v[21:22], 3, v[21:22]
	v_ashrrev_i32_e32 v24, 31, v23
	v_add_nc_u32_e32 v31, s5, v25
	v_ashrrev_i32_e32 v26, 31, v25
	s_delay_alu instid0(VALU_DEP_3) | instskip(SKIP_1) | instid1(VALU_DEP_4)
	v_lshlrev_b64 v[53:54], 3, v[23:24]
	v_add_co_u32 v23, vcc_lo, s2, v21
	v_add_nc_u32_e32 v33, s5, v31
	v_add_co_ci_u32_e32 v24, vcc_lo, s3, v22, vcc_lo
	v_lshlrev_b64 v[56:57], 3, v[25:26]
	v_ashrrev_i32_e32 v32, 31, v31
	s_delay_alu instid0(VALU_DEP_4) | instskip(SKIP_1) | instid1(VALU_DEP_2)
	v_add_nc_u32_e32 v55, s5, v33
	v_ashrrev_i32_e32 v34, 31, v33
	v_add_nc_u32_e32 v63, s5, v55
	s_delay_alu instid0(VALU_DEP_1) | instskip(SKIP_1) | instid1(VALU_DEP_2)
	v_add_nc_u32_e32 v65, s5, v63
	v_ashrrev_i32_e32 v64, 31, v63
	v_add_nc_u32_e32 v68, s5, v65
	v_ashrrev_i32_e32 v66, 31, v65
	s_delay_alu instid0(VALU_DEP_2) | instskip(SKIP_1) | instid1(VALU_DEP_2)
	v_add_nc_u32_e32 v74, s5, v68
	v_ashrrev_i32_e32 v69, 31, v68
	v_add_nc_u32_e32 v80, s5, v74
	v_ashrrev_i32_e32 v75, 31, v74
	s_delay_alu instid0(VALU_DEP_2) | instskip(SKIP_1) | instid1(VALU_DEP_2)
	v_add_nc_u32_e32 v82, s5, v80
	v_ashrrev_i32_e32 v81, 31, v80
	v_add_nc_u32_e32 v84, s5, v82
	v_ashrrev_i32_e32 v83, 31, v82
	s_delay_alu instid0(VALU_DEP_2) | instskip(SKIP_1) | instid1(VALU_DEP_2)
	v_add_nc_u32_e32 v86, s5, v84
	v_ashrrev_i32_e32 v85, 31, v84
	v_add_nc_u32_e32 v88, s5, v86
	v_ashrrev_i32_e32 v87, 31, v86
	s_delay_alu instid0(VALU_DEP_2) | instskip(SKIP_1) | instid1(VALU_DEP_2)
	v_add_nc_u32_e32 v90, s5, v88
	v_ashrrev_i32_e32 v89, 31, v88
	v_add_nc_u32_e32 v92, s5, v90
	v_ashrrev_i32_e32 v91, 31, v90
	s_delay_alu instid0(VALU_DEP_2) | instskip(SKIP_1) | instid1(VALU_DEP_2)
	v_add_nc_u32_e32 v94, s5, v92
	v_ashrrev_i32_e32 v93, 31, v92
	v_add_nc_u32_e32 v96, s5, v94
	v_ashrrev_i32_e32 v95, 31, v94
	s_delay_alu instid0(VALU_DEP_2) | instskip(SKIP_1) | instid1(VALU_DEP_2)
	v_add_nc_u32_e32 v98, s5, v96
	v_ashrrev_i32_e32 v97, 31, v96
	v_add_nc_u32_e32 v100, s5, v98
	v_ashrrev_i32_e32 v99, 31, v98
	s_delay_alu instid0(VALU_DEP_2) | instskip(SKIP_1) | instid1(VALU_DEP_2)
	v_add_nc_u32_e32 v51, s5, v100
	v_ashrrev_i32_e32 v101, 31, v100
	v_ashrrev_i32_e32 v52, 31, v51
	s_delay_alu instid0(VALU_DEP_1) | instskip(NEXT) | instid1(VALU_DEP_1)
	v_lshlrev_b64 v[51:52], 3, v[51:52]
	v_add_co_u32 v21, vcc_lo, s2, v51
	s_delay_alu instid0(VALU_DEP_2)
	v_add_co_ci_u32_e32 v22, vcc_lo, s3, v52, vcc_lo
	v_add_co_u32 v25, vcc_lo, s2, v53
	v_add_co_ci_u32_e32 v26, vcc_lo, s3, v54, vcc_lo
	global_load_b64 v[70:71], v[21:22], off
	s_waitcnt vmcnt(9)
	scratch_store_b128 off, v[27:30], off
	v_lshlrev_b64 v[29:30], 3, v[31:32]
	v_add_co_u32 v27, vcc_lo, s2, v56
	v_ashrrev_i32_e32 v56, 31, v55
	v_lshlrev_b64 v[31:32], 3, v[33:34]
	v_add_co_ci_u32_e32 v28, vcc_lo, s3, v57, vcc_lo
	v_add_co_u32 v29, vcc_lo, s2, v29
	s_delay_alu instid0(VALU_DEP_4)
	v_lshlrev_b64 v[33:34], 3, v[55:56]
	s_clause 0x1
	global_load_b64 v[51:52], v[23:24], off
	global_load_b64 v[53:54], v[25:26], off
	v_add_co_ci_u32_e32 v30, vcc_lo, s3, v30, vcc_lo
	v_add_co_u32 v31, vcc_lo, s2, v31
	v_add_co_ci_u32_e32 v32, vcc_lo, s3, v32, vcc_lo
	v_add_co_u32 v33, vcc_lo, s2, v33
	v_add_co_ci_u32_e32 v34, vcc_lo, s3, v34, vcc_lo
	s_waitcnt vmcnt(9)
	scratch_store_b128 off, v[35:38], off offset:16
	s_waitcnt vmcnt(7)
	scratch_store_b128 off, v[39:42], off offset:32
	s_clause 0x3
	global_load_b64 v[55:56], v[27:28], off
	global_load_b64 v[57:58], v[29:30], off
	;; [unrolled: 1-line block ×4, first 2 shown]
	v_lshlrev_b64 v[35:36], 3, v[63:64]
	v_lshlrev_b64 v[37:38], 3, v[65:66]
	v_lshlrev_b64 v[39:40], 3, v[68:69]
	v_lshlrev_b64 v[41:42], 3, v[74:75]
	v_lshlrev_b64 v[63:64], 3, v[92:93]
	v_lshlrev_b64 v[65:66], 3, v[100:101]
	v_add_co_u32 v35, vcc_lo, s2, v35
	v_add_co_ci_u32_e32 v36, vcc_lo, s3, v36, vcc_lo
	v_add_co_u32 v37, vcc_lo, s2, v37
	v_add_co_ci_u32_e32 v38, vcc_lo, s3, v38, vcc_lo
	;; [unrolled: 2-line block ×4, first 2 shown]
	s_waitcnt vmcnt(9)
	scratch_store_b128 off, v[43:46], off offset:48
	s_waitcnt vmcnt(7)
	scratch_store_b128 off, v[47:50], off offset:64
	s_clause 0x3
	global_load_b64 v[72:73], v[35:36], off
	global_load_b64 v[74:75], v[37:38], off
	;; [unrolled: 1-line block ×4, first 2 shown]
	v_lshlrev_b64 v[43:44], 3, v[80:81]
	v_lshlrev_b64 v[45:46], 3, v[82:83]
	;; [unrolled: 1-line block ×4, first 2 shown]
	s_delay_alu instid0(VALU_DEP_4)
	v_add_co_u32 v43, vcc_lo, s2, v43
	v_add_co_ci_u32_e32 v44, vcc_lo, s3, v44, vcc_lo
	v_add_co_u32 v45, vcc_lo, s2, v45
	v_add_co_ci_u32_e32 v46, vcc_lo, s3, v46, vcc_lo
	;; [unrolled: 2-line block ×4, first 2 shown]
	global_load_b64 v[80:81], v[43:44], off
	s_waitcnt vmcnt(9)
	scratch_store_b128 off, v[51:54], off offset:80
	v_lshlrev_b64 v[51:52], 3, v[88:89]
	v_lshlrev_b64 v[53:54], 3, v[90:91]
	s_waitcnt vmcnt(7)
	scratch_store_b128 off, v[55:58], off offset:96
	s_waitcnt vmcnt(5)
	scratch_store_b128 off, v[59:62], off offset:112
	v_add_co_u32 v51, vcc_lo, s2, v51
	v_add_co_ci_u32_e32 v52, vcc_lo, s3, v52, vcc_lo
	v_add_co_u32 v53, vcc_lo, s2, v53
	v_lshlrev_b64 v[57:58], 3, v[94:95]
	v_add_co_ci_u32_e32 v54, vcc_lo, s3, v54, vcc_lo
	v_add_co_u32 v55, vcc_lo, s2, v63
	v_add_co_ci_u32_e32 v56, vcc_lo, s3, v64, vcc_lo
	v_lshlrev_b64 v[61:62], 3, v[96:97]
	v_add_co_u32 v59, vcc_lo, s2, v57
	v_add_co_ci_u32_e32 v60, vcc_lo, s3, v58, vcc_lo
	v_lshlrev_b64 v[57:58], 3, v[98:99]
	s_delay_alu instid0(VALU_DEP_4)
	v_add_co_u32 v61, vcc_lo, s2, v61
	v_add_co_ci_u32_e32 v62, vcc_lo, s3, v62, vcc_lo
	s_clause 0x3
	global_load_b64 v[82:83], v[45:46], off
	global_load_b64 v[84:85], v[47:48], off
	;; [unrolled: 1-line block ×4, first 2 shown]
	v_add_co_u32 v63, vcc_lo, s2, v57
	v_add_co_ci_u32_e32 v64, vcc_lo, s3, v58, vcc_lo
	v_add_co_u32 v57, vcc_lo, s2, v65
	v_add_co_ci_u32_e32 v58, vcc_lo, s3, v66, vcc_lo
	s_waitcnt vmcnt(7)
	scratch_store_b128 off, v[72:75], off offset:128
	s_clause 0x2
	global_load_b64 v[90:91], v[53:54], off
	global_load_b64 v[72:73], v[55:56], off
	global_load_b64 v[74:75], v[59:60], off
	s_waitcnt vmcnt(8)
	scratch_store_b128 off, v[76:79], off offset:144
	s_clause 0x2
	global_load_b64 v[76:77], v[61:62], off
	global_load_b64 v[78:79], v[63:64], off
	;; [unrolled: 1-line block ×3, first 2 shown]
	v_mov_b32_e32 v65, 0
	v_mov_b32_e32 v66, 0xbff00000
	s_cselect_b32 s2, -1, 0
	s_cmpk_eq_i32 s1, 0x84
	s_waitcnt vmcnt(9)
	scratch_store_b128 off, v[80:83], off offset:160
	s_waitcnt vmcnt(7)
	scratch_store_b128 off, v[84:87], off offset:176
	;; [unrolled: 2-line block ×6, first 2 shown]
	s_cbranch_scc1 .LBB95_3
; %bb.2:
	scratch_load_b64 v[65:66], v67, off
	s_waitcnt vmcnt(0)
	v_div_scale_f64 v[68:69], null, v[65:66], v[65:66], 1.0
	v_div_scale_f64 v[74:75], vcc_lo, 1.0, v[65:66], 1.0
	s_delay_alu instid0(VALU_DEP_2) | instskip(SKIP_2) | instid1(VALU_DEP_1)
	v_rcp_f64_e32 v[70:71], v[68:69]
	s_waitcnt_depctr 0xfff
	v_fma_f64 v[72:73], -v[68:69], v[70:71], 1.0
	v_fma_f64 v[70:71], v[70:71], v[72:73], v[70:71]
	s_delay_alu instid0(VALU_DEP_1) | instskip(NEXT) | instid1(VALU_DEP_1)
	v_fma_f64 v[72:73], -v[68:69], v[70:71], 1.0
	v_fma_f64 v[70:71], v[70:71], v[72:73], v[70:71]
	s_delay_alu instid0(VALU_DEP_1) | instskip(NEXT) | instid1(VALU_DEP_1)
	v_mul_f64 v[72:73], v[74:75], v[70:71]
	v_fma_f64 v[68:69], -v[68:69], v[72:73], v[74:75]
	s_delay_alu instid0(VALU_DEP_1) | instskip(NEXT) | instid1(VALU_DEP_1)
	v_div_fmas_f64 v[68:69], v[68:69], v[70:71], v[72:73]
	v_div_fixup_f64 v[65:66], v[68:69], v[65:66], 1.0
	scratch_store_b64 v67, v[65:66], off
	v_xor_b32_e32 v66, 0x80000000, v66
.LBB95_3:
	v_add_nc_u32_e32 v68, 0x100, v67
	v_add_nc_u32_e32 v69, 0, v67
	s_cmpk_eq_i32 s0, 0x79
	s_mov_b32 s0, -1
	ds_store_b64 v67, v[65:66]
	s_cbranch_scc1 .LBB95_309
; %bb.4:
	scratch_load_b64 v[65:66], off, off offset:240
	v_cmp_eq_u32_e64 s0, 31, v0
	s_movk_i32 s1, 0x50
	s_movk_i32 s3, 0x60
	s_movk_i32 s4, 0x70
	s_movk_i32 s5, 0x80
	s_movk_i32 s6, 0x90
	s_movk_i32 s7, 0xa0
	s_movk_i32 s8, 0xb0
	s_movk_i32 s9, 0xc0
	s_movk_i32 s10, 0xd0
	s_movk_i32 s11, 0xe0
	s_waitcnt vmcnt(0)
	ds_store_b64 v68, v[65:66]
	s_waitcnt lgkmcnt(0)
	s_waitcnt_vscnt null, 0x0
	s_barrier
	buffer_gl0_inv
	s_and_saveexec_b32 s12, s0
	s_cbranch_execz .LBB95_10
; %bb.5:
	s_and_b32 vcc_lo, exec_lo, s2
	s_cbranch_vccz .LBB95_7
; %bb.6:
	scratch_load_b64 v[65:66], v69, off
	ds_load_b64 v[70:71], v68
	s_waitcnt vmcnt(0) lgkmcnt(0)
	v_mul_f64 v[65:66], v[65:66], v[70:71]
	s_cbranch_execz .LBB95_8
	s_branch .LBB95_9
.LBB95_7:
                                        ; implicit-def: $vgpr65_vgpr66
.LBB95_8:
	ds_load_b64 v[65:66], v68
.LBB95_9:
	v_mov_b32_e32 v70, 0
	ds_load_b64 v[70:71], v70 offset:240
	s_waitcnt lgkmcnt(0)
	v_mul_f64 v[65:66], v[65:66], v[70:71]
	scratch_store_b64 off, v[65:66], off offset:240
.LBB95_10:
	s_or_b32 exec_lo, exec_lo, s12
	scratch_load_b64 v[65:66], off, off offset:232
	v_add_nc_u32_e64 v70, 0, 16
	v_add_nc_u32_e64 v71, 0, 32
	;; [unrolled: 1-line block ×14, first 2 shown]
	v_cmp_lt_u32_e64 s1, 29, v0
	s_waitcnt vmcnt(0)
	ds_store_b64 v68, v[65:66]
	s_waitcnt lgkmcnt(0)
	s_waitcnt_vscnt null, 0x0
	s_barrier
	buffer_gl0_inv
	s_and_saveexec_b32 s3, s1
	s_cbranch_execz .LBB95_18
; %bb.11:
	s_and_not1_b32 vcc_lo, exec_lo, s2
	s_cbranch_vccnz .LBB95_13
; %bb.12:
	scratch_load_b64 v[65:66], v69, off
	ds_load_b64 v[84:85], v68
	s_waitcnt vmcnt(0) lgkmcnt(0)
	v_mul_f64 v[65:66], v[65:66], v[84:85]
	s_cbranch_execz .LBB95_14
	s_branch .LBB95_15
.LBB95_13:
                                        ; implicit-def: $vgpr65_vgpr66
.LBB95_14:
	ds_load_b64 v[65:66], v68
.LBB95_15:
	s_and_saveexec_b32 s4, s0
	s_cbranch_execz .LBB95_17
; %bb.16:
	scratch_load_b64 v[84:85], off, off offset:240
	v_mov_b32_e32 v86, 0
	ds_load_b64 v[86:87], v86 offset:496
	s_waitcnt vmcnt(0) lgkmcnt(0)
	v_fma_f64 v[65:66], v[84:85], v[86:87], v[65:66]
.LBB95_17:
	s_or_b32 exec_lo, exec_lo, s4
	v_mov_b32_e32 v84, 0
	ds_load_b64 v[84:85], v84 offset:232
	s_waitcnt lgkmcnt(0)
	v_mul_f64 v[65:66], v[65:66], v[84:85]
	scratch_store_b64 off, v[65:66], off offset:232
.LBB95_18:
	s_or_b32 exec_lo, exec_lo, s3
	scratch_load_b64 v[65:66], off, off offset:224
	v_cmp_lt_u32_e64 s0, 28, v0
	s_waitcnt vmcnt(0)
	ds_store_b64 v68, v[65:66]
	s_waitcnt lgkmcnt(0)
	s_waitcnt_vscnt null, 0x0
	s_barrier
	buffer_gl0_inv
	s_and_saveexec_b32 s3, s0
	s_cbranch_execz .LBB95_28
; %bb.19:
	s_and_not1_b32 vcc_lo, exec_lo, s2
	s_cbranch_vccnz .LBB95_21
; %bb.20:
	scratch_load_b64 v[65:66], v69, off
	ds_load_b64 v[84:85], v68
	s_waitcnt vmcnt(0) lgkmcnt(0)
	v_mul_f64 v[65:66], v[65:66], v[84:85]
	s_cbranch_execz .LBB95_22
	s_branch .LBB95_23
.LBB95_21:
                                        ; implicit-def: $vgpr65_vgpr66
.LBB95_22:
	ds_load_b64 v[65:66], v68
.LBB95_23:
	s_and_saveexec_b32 s4, s1
	s_cbranch_execz .LBB95_27
; %bb.24:
	v_mov_b32_e32 v84, 0
	v_subrev_nc_u32_e32 v85, 29, v0
	s_movk_i32 s5, 0x1e8
	s_mov_b32 s1, 0
	s_delay_alu instid0(VALU_DEP_2)
	v_add_nc_u32_e32 v84, 0xe8, v84
.LBB95_25:                              ; =>This Inner Loop Header: Depth=1
	scratch_load_b64 v[86:87], v84, off
	v_dual_mov_b32 v88, s5 :: v_dual_add_nc_u32 v85, -1, v85
	v_add_nc_u32_e32 v84, 8, v84
	s_add_i32 s5, s5, 8
	ds_load_b64 v[88:89], v88
	v_cmp_eq_u32_e32 vcc_lo, 0, v85
	s_or_b32 s1, vcc_lo, s1
	s_waitcnt vmcnt(0) lgkmcnt(0)
	v_fma_f64 v[65:66], v[86:87], v[88:89], v[65:66]
	s_and_not1_b32 exec_lo, exec_lo, s1
	s_cbranch_execnz .LBB95_25
; %bb.26:
	s_or_b32 exec_lo, exec_lo, s1
.LBB95_27:
	s_delay_alu instid0(SALU_CYCLE_1)
	s_or_b32 exec_lo, exec_lo, s4
	v_mov_b32_e32 v84, 0
	ds_load_b64 v[84:85], v84 offset:224
	s_waitcnt lgkmcnt(0)
	v_mul_f64 v[65:66], v[65:66], v[84:85]
	scratch_store_b64 off, v[65:66], off offset:224
.LBB95_28:
	s_or_b32 exec_lo, exec_lo, s3
	scratch_load_b64 v[65:66], off, off offset:216
	v_cmp_lt_u32_e64 s1, 27, v0
	s_waitcnt vmcnt(0)
	ds_store_b64 v68, v[65:66]
	s_waitcnt lgkmcnt(0)
	s_waitcnt_vscnt null, 0x0
	s_barrier
	buffer_gl0_inv
	s_and_saveexec_b32 s3, s1
	s_cbranch_execz .LBB95_38
; %bb.29:
	s_and_not1_b32 vcc_lo, exec_lo, s2
	s_cbranch_vccnz .LBB95_31
; %bb.30:
	scratch_load_b64 v[65:66], v69, off
	ds_load_b64 v[84:85], v68
	s_waitcnt vmcnt(0) lgkmcnt(0)
	v_mul_f64 v[65:66], v[65:66], v[84:85]
	s_cbranch_execz .LBB95_32
	s_branch .LBB95_33
.LBB95_31:
                                        ; implicit-def: $vgpr65_vgpr66
.LBB95_32:
	ds_load_b64 v[65:66], v68
.LBB95_33:
	s_and_saveexec_b32 s4, s0
	s_cbranch_execz .LBB95_37
; %bb.34:
	v_subrev_nc_u32_e32 v84, 28, v0
	s_movk_i32 s5, 0x1e0
	s_mov_b32 s0, 0
.LBB95_35:                              ; =>This Inner Loop Header: Depth=1
	scratch_load_b64 v[85:86], v83, off
	v_dual_mov_b32 v87, s5 :: v_dual_add_nc_u32 v84, -1, v84
	v_add_nc_u32_e32 v83, 8, v83
	s_add_i32 s5, s5, 8
	ds_load_b64 v[87:88], v87
	v_cmp_eq_u32_e32 vcc_lo, 0, v84
	s_or_b32 s0, vcc_lo, s0
	s_waitcnt vmcnt(0) lgkmcnt(0)
	v_fma_f64 v[65:66], v[85:86], v[87:88], v[65:66]
	s_and_not1_b32 exec_lo, exec_lo, s0
	s_cbranch_execnz .LBB95_35
; %bb.36:
	s_or_b32 exec_lo, exec_lo, s0
.LBB95_37:
	s_delay_alu instid0(SALU_CYCLE_1)
	s_or_b32 exec_lo, exec_lo, s4
	v_mov_b32_e32 v83, 0
	ds_load_b64 v[83:84], v83 offset:216
	s_waitcnt lgkmcnt(0)
	v_mul_f64 v[65:66], v[65:66], v[83:84]
	scratch_store_b64 off, v[65:66], off offset:216
.LBB95_38:
	s_or_b32 exec_lo, exec_lo, s3
	scratch_load_b64 v[65:66], off, off offset:208
	v_cmp_lt_u32_e64 s0, 26, v0
	s_waitcnt vmcnt(0)
	ds_store_b64 v68, v[65:66]
	s_waitcnt lgkmcnt(0)
	s_waitcnt_vscnt null, 0x0
	s_barrier
	buffer_gl0_inv
	s_and_saveexec_b32 s3, s0
	s_cbranch_execz .LBB95_48
; %bb.39:
	s_and_not1_b32 vcc_lo, exec_lo, s2
	s_cbranch_vccnz .LBB95_41
; %bb.40:
	scratch_load_b64 v[65:66], v69, off
	ds_load_b64 v[83:84], v68
	s_waitcnt vmcnt(0) lgkmcnt(0)
	v_mul_f64 v[65:66], v[65:66], v[83:84]
	s_cbranch_execz .LBB95_42
	s_branch .LBB95_43
.LBB95_41:
                                        ; implicit-def: $vgpr65_vgpr66
.LBB95_42:
	ds_load_b64 v[65:66], v68
.LBB95_43:
	s_and_saveexec_b32 s4, s1
	s_cbranch_execz .LBB95_47
; %bb.44:
	v_mov_b32_e32 v83, 0
	v_subrev_nc_u32_e32 v84, 27, v0
	s_movk_i32 s5, 0x1d8
	s_mov_b32 s1, 0
	s_delay_alu instid0(VALU_DEP_2)
	v_add_nc_u32_e32 v83, 0xd8, v83
.LBB95_45:                              ; =>This Inner Loop Header: Depth=1
	scratch_load_b64 v[85:86], v83, off
	v_dual_mov_b32 v87, s5 :: v_dual_add_nc_u32 v84, -1, v84
	v_add_nc_u32_e32 v83, 8, v83
	s_add_i32 s5, s5, 8
	ds_load_b64 v[87:88], v87
	v_cmp_eq_u32_e32 vcc_lo, 0, v84
	s_or_b32 s1, vcc_lo, s1
	s_waitcnt vmcnt(0) lgkmcnt(0)
	v_fma_f64 v[65:66], v[85:86], v[87:88], v[65:66]
	s_and_not1_b32 exec_lo, exec_lo, s1
	s_cbranch_execnz .LBB95_45
; %bb.46:
	s_or_b32 exec_lo, exec_lo, s1
.LBB95_47:
	s_delay_alu instid0(SALU_CYCLE_1)
	s_or_b32 exec_lo, exec_lo, s4
	v_mov_b32_e32 v83, 0
	ds_load_b64 v[83:84], v83 offset:208
	s_waitcnt lgkmcnt(0)
	v_mul_f64 v[65:66], v[65:66], v[83:84]
	scratch_store_b64 off, v[65:66], off offset:208
.LBB95_48:
	s_or_b32 exec_lo, exec_lo, s3
	scratch_load_b64 v[65:66], off, off offset:200
	v_cmp_lt_u32_e64 s1, 25, v0
	s_waitcnt vmcnt(0)
	ds_store_b64 v68, v[65:66]
	s_waitcnt lgkmcnt(0)
	s_waitcnt_vscnt null, 0x0
	s_barrier
	buffer_gl0_inv
	s_and_saveexec_b32 s3, s1
	s_cbranch_execz .LBB95_58
; %bb.49:
	s_and_not1_b32 vcc_lo, exec_lo, s2
	s_cbranch_vccnz .LBB95_51
; %bb.50:
	scratch_load_b64 v[65:66], v69, off
	ds_load_b64 v[83:84], v68
	s_waitcnt vmcnt(0) lgkmcnt(0)
	v_mul_f64 v[65:66], v[65:66], v[83:84]
	s_cbranch_execz .LBB95_52
	s_branch .LBB95_53
.LBB95_51:
                                        ; implicit-def: $vgpr65_vgpr66
.LBB95_52:
	ds_load_b64 v[65:66], v68
.LBB95_53:
	s_and_saveexec_b32 s4, s0
	s_cbranch_execz .LBB95_57
; %bb.54:
	v_subrev_nc_u32_e32 v83, 26, v0
	s_movk_i32 s5, 0x1d0
	s_mov_b32 s0, 0
.LBB95_55:                              ; =>This Inner Loop Header: Depth=1
	scratch_load_b64 v[84:85], v82, off
	v_dual_mov_b32 v86, s5 :: v_dual_add_nc_u32 v83, -1, v83
	v_add_nc_u32_e32 v82, 8, v82
	s_add_i32 s5, s5, 8
	ds_load_b64 v[86:87], v86
	v_cmp_eq_u32_e32 vcc_lo, 0, v83
	s_or_b32 s0, vcc_lo, s0
	s_waitcnt vmcnt(0) lgkmcnt(0)
	v_fma_f64 v[65:66], v[84:85], v[86:87], v[65:66]
	s_and_not1_b32 exec_lo, exec_lo, s0
	s_cbranch_execnz .LBB95_55
; %bb.56:
	s_or_b32 exec_lo, exec_lo, s0
.LBB95_57:
	s_delay_alu instid0(SALU_CYCLE_1)
	s_or_b32 exec_lo, exec_lo, s4
	v_mov_b32_e32 v82, 0
	ds_load_b64 v[82:83], v82 offset:200
	s_waitcnt lgkmcnt(0)
	v_mul_f64 v[65:66], v[65:66], v[82:83]
	scratch_store_b64 off, v[65:66], off offset:200
.LBB95_58:
	s_or_b32 exec_lo, exec_lo, s3
	scratch_load_b64 v[65:66], off, off offset:192
	v_cmp_lt_u32_e64 s0, 24, v0
	s_waitcnt vmcnt(0)
	ds_store_b64 v68, v[65:66]
	s_waitcnt lgkmcnt(0)
	s_waitcnt_vscnt null, 0x0
	s_barrier
	buffer_gl0_inv
	s_and_saveexec_b32 s3, s0
	s_cbranch_execz .LBB95_68
; %bb.59:
	s_and_not1_b32 vcc_lo, exec_lo, s2
	s_cbranch_vccnz .LBB95_61
; %bb.60:
	scratch_load_b64 v[65:66], v69, off
	ds_load_b64 v[82:83], v68
	s_waitcnt vmcnt(0) lgkmcnt(0)
	v_mul_f64 v[65:66], v[65:66], v[82:83]
	s_cbranch_execz .LBB95_62
	s_branch .LBB95_63
.LBB95_61:
                                        ; implicit-def: $vgpr65_vgpr66
.LBB95_62:
	ds_load_b64 v[65:66], v68
.LBB95_63:
	s_and_saveexec_b32 s4, s1
	s_cbranch_execz .LBB95_67
; %bb.64:
	v_mov_b32_e32 v82, 0
	v_subrev_nc_u32_e32 v83, 25, v0
	s_movk_i32 s5, 0x1c8
	s_mov_b32 s1, 0
	s_delay_alu instid0(VALU_DEP_2)
	v_add_nc_u32_e32 v82, 0xc8, v82
.LBB95_65:                              ; =>This Inner Loop Header: Depth=1
	scratch_load_b64 v[84:85], v82, off
	v_dual_mov_b32 v86, s5 :: v_dual_add_nc_u32 v83, -1, v83
	v_add_nc_u32_e32 v82, 8, v82
	s_add_i32 s5, s5, 8
	ds_load_b64 v[86:87], v86
	v_cmp_eq_u32_e32 vcc_lo, 0, v83
	s_or_b32 s1, vcc_lo, s1
	s_waitcnt vmcnt(0) lgkmcnt(0)
	v_fma_f64 v[65:66], v[84:85], v[86:87], v[65:66]
	s_and_not1_b32 exec_lo, exec_lo, s1
	s_cbranch_execnz .LBB95_65
; %bb.66:
	s_or_b32 exec_lo, exec_lo, s1
.LBB95_67:
	s_delay_alu instid0(SALU_CYCLE_1)
	s_or_b32 exec_lo, exec_lo, s4
	v_mov_b32_e32 v82, 0
	ds_load_b64 v[82:83], v82 offset:192
	s_waitcnt lgkmcnt(0)
	v_mul_f64 v[65:66], v[65:66], v[82:83]
	scratch_store_b64 off, v[65:66], off offset:192
.LBB95_68:
	s_or_b32 exec_lo, exec_lo, s3
	scratch_load_b64 v[65:66], off, off offset:184
	v_cmp_lt_u32_e64 s1, 23, v0
	s_waitcnt vmcnt(0)
	ds_store_b64 v68, v[65:66]
	s_waitcnt lgkmcnt(0)
	s_waitcnt_vscnt null, 0x0
	s_barrier
	buffer_gl0_inv
	s_and_saveexec_b32 s3, s1
	s_cbranch_execz .LBB95_78
; %bb.69:
	s_and_not1_b32 vcc_lo, exec_lo, s2
	s_cbranch_vccnz .LBB95_71
; %bb.70:
	scratch_load_b64 v[65:66], v69, off
	ds_load_b64 v[82:83], v68
	s_waitcnt vmcnt(0) lgkmcnt(0)
	v_mul_f64 v[65:66], v[65:66], v[82:83]
	s_cbranch_execz .LBB95_72
	s_branch .LBB95_73
.LBB95_71:
                                        ; implicit-def: $vgpr65_vgpr66
.LBB95_72:
	ds_load_b64 v[65:66], v68
.LBB95_73:
	s_and_saveexec_b32 s4, s0
	s_cbranch_execz .LBB95_77
; %bb.74:
	v_subrev_nc_u32_e32 v82, 24, v0
	s_movk_i32 s5, 0x1c0
	s_mov_b32 s0, 0
.LBB95_75:                              ; =>This Inner Loop Header: Depth=1
	scratch_load_b64 v[83:84], v81, off
	v_dual_mov_b32 v85, s5 :: v_dual_add_nc_u32 v82, -1, v82
	v_add_nc_u32_e32 v81, 8, v81
	s_add_i32 s5, s5, 8
	ds_load_b64 v[85:86], v85
	v_cmp_eq_u32_e32 vcc_lo, 0, v82
	s_or_b32 s0, vcc_lo, s0
	s_waitcnt vmcnt(0) lgkmcnt(0)
	v_fma_f64 v[65:66], v[83:84], v[85:86], v[65:66]
	s_and_not1_b32 exec_lo, exec_lo, s0
	s_cbranch_execnz .LBB95_75
; %bb.76:
	s_or_b32 exec_lo, exec_lo, s0
.LBB95_77:
	s_delay_alu instid0(SALU_CYCLE_1)
	s_or_b32 exec_lo, exec_lo, s4
	v_mov_b32_e32 v81, 0
	ds_load_b64 v[81:82], v81 offset:184
	s_waitcnt lgkmcnt(0)
	v_mul_f64 v[65:66], v[65:66], v[81:82]
	scratch_store_b64 off, v[65:66], off offset:184
.LBB95_78:
	s_or_b32 exec_lo, exec_lo, s3
	scratch_load_b64 v[65:66], off, off offset:176
	v_cmp_lt_u32_e64 s0, 22, v0
	s_waitcnt vmcnt(0)
	ds_store_b64 v68, v[65:66]
	s_waitcnt lgkmcnt(0)
	s_waitcnt_vscnt null, 0x0
	s_barrier
	buffer_gl0_inv
	s_and_saveexec_b32 s3, s0
	s_cbranch_execz .LBB95_88
; %bb.79:
	s_and_not1_b32 vcc_lo, exec_lo, s2
	s_cbranch_vccnz .LBB95_81
; %bb.80:
	scratch_load_b64 v[65:66], v69, off
	ds_load_b64 v[81:82], v68
	s_waitcnt vmcnt(0) lgkmcnt(0)
	v_mul_f64 v[65:66], v[65:66], v[81:82]
	s_cbranch_execz .LBB95_82
	s_branch .LBB95_83
.LBB95_81:
                                        ; implicit-def: $vgpr65_vgpr66
.LBB95_82:
	ds_load_b64 v[65:66], v68
.LBB95_83:
	s_and_saveexec_b32 s4, s1
	s_cbranch_execz .LBB95_87
; %bb.84:
	v_mov_b32_e32 v81, 0
	v_subrev_nc_u32_e32 v82, 23, v0
	s_movk_i32 s5, 0x1b8
	s_mov_b32 s1, 0
	s_delay_alu instid0(VALU_DEP_2)
	v_add_nc_u32_e32 v81, 0xb8, v81
.LBB95_85:                              ; =>This Inner Loop Header: Depth=1
	scratch_load_b64 v[83:84], v81, off
	v_dual_mov_b32 v85, s5 :: v_dual_add_nc_u32 v82, -1, v82
	v_add_nc_u32_e32 v81, 8, v81
	s_add_i32 s5, s5, 8
	ds_load_b64 v[85:86], v85
	v_cmp_eq_u32_e32 vcc_lo, 0, v82
	s_or_b32 s1, vcc_lo, s1
	s_waitcnt vmcnt(0) lgkmcnt(0)
	v_fma_f64 v[65:66], v[83:84], v[85:86], v[65:66]
	s_and_not1_b32 exec_lo, exec_lo, s1
	s_cbranch_execnz .LBB95_85
; %bb.86:
	s_or_b32 exec_lo, exec_lo, s1
.LBB95_87:
	s_delay_alu instid0(SALU_CYCLE_1)
	s_or_b32 exec_lo, exec_lo, s4
	v_mov_b32_e32 v81, 0
	ds_load_b64 v[81:82], v81 offset:176
	s_waitcnt lgkmcnt(0)
	v_mul_f64 v[65:66], v[65:66], v[81:82]
	scratch_store_b64 off, v[65:66], off offset:176
.LBB95_88:
	s_or_b32 exec_lo, exec_lo, s3
	scratch_load_b64 v[65:66], off, off offset:168
	v_cmp_lt_u32_e64 s1, 21, v0
	s_waitcnt vmcnt(0)
	ds_store_b64 v68, v[65:66]
	s_waitcnt lgkmcnt(0)
	s_waitcnt_vscnt null, 0x0
	s_barrier
	buffer_gl0_inv
	s_and_saveexec_b32 s3, s1
	s_cbranch_execz .LBB95_98
; %bb.89:
	s_and_not1_b32 vcc_lo, exec_lo, s2
	s_cbranch_vccnz .LBB95_91
; %bb.90:
	scratch_load_b64 v[65:66], v69, off
	ds_load_b64 v[81:82], v68
	s_waitcnt vmcnt(0) lgkmcnt(0)
	v_mul_f64 v[65:66], v[65:66], v[81:82]
	s_cbranch_execz .LBB95_92
	s_branch .LBB95_93
.LBB95_91:
                                        ; implicit-def: $vgpr65_vgpr66
.LBB95_92:
	ds_load_b64 v[65:66], v68
.LBB95_93:
	s_and_saveexec_b32 s4, s0
	s_cbranch_execz .LBB95_97
; %bb.94:
	v_subrev_nc_u32_e32 v81, 22, v0
	s_movk_i32 s5, 0x1b0
	s_mov_b32 s0, 0
.LBB95_95:                              ; =>This Inner Loop Header: Depth=1
	scratch_load_b64 v[82:83], v80, off
	v_dual_mov_b32 v84, s5 :: v_dual_add_nc_u32 v81, -1, v81
	v_add_nc_u32_e32 v80, 8, v80
	s_add_i32 s5, s5, 8
	ds_load_b64 v[84:85], v84
	v_cmp_eq_u32_e32 vcc_lo, 0, v81
	s_or_b32 s0, vcc_lo, s0
	s_waitcnt vmcnt(0) lgkmcnt(0)
	v_fma_f64 v[65:66], v[82:83], v[84:85], v[65:66]
	s_and_not1_b32 exec_lo, exec_lo, s0
	s_cbranch_execnz .LBB95_95
; %bb.96:
	s_or_b32 exec_lo, exec_lo, s0
.LBB95_97:
	s_delay_alu instid0(SALU_CYCLE_1)
	s_or_b32 exec_lo, exec_lo, s4
	v_mov_b32_e32 v80, 0
	ds_load_b64 v[80:81], v80 offset:168
	s_waitcnt lgkmcnt(0)
	v_mul_f64 v[65:66], v[65:66], v[80:81]
	scratch_store_b64 off, v[65:66], off offset:168
.LBB95_98:
	s_or_b32 exec_lo, exec_lo, s3
	scratch_load_b64 v[65:66], off, off offset:160
	v_cmp_lt_u32_e64 s0, 20, v0
	s_waitcnt vmcnt(0)
	ds_store_b64 v68, v[65:66]
	s_waitcnt lgkmcnt(0)
	s_waitcnt_vscnt null, 0x0
	s_barrier
	buffer_gl0_inv
	s_and_saveexec_b32 s3, s0
	s_cbranch_execz .LBB95_108
; %bb.99:
	s_and_not1_b32 vcc_lo, exec_lo, s2
	s_cbranch_vccnz .LBB95_101
; %bb.100:
	scratch_load_b64 v[65:66], v69, off
	ds_load_b64 v[80:81], v68
	s_waitcnt vmcnt(0) lgkmcnt(0)
	v_mul_f64 v[65:66], v[65:66], v[80:81]
	s_cbranch_execz .LBB95_102
	s_branch .LBB95_103
.LBB95_101:
                                        ; implicit-def: $vgpr65_vgpr66
.LBB95_102:
	ds_load_b64 v[65:66], v68
.LBB95_103:
	s_and_saveexec_b32 s4, s1
	s_cbranch_execz .LBB95_107
; %bb.104:
	v_mov_b32_e32 v80, 0
	v_subrev_nc_u32_e32 v81, 21, v0
	s_movk_i32 s5, 0x1a8
	s_mov_b32 s1, 0
	s_delay_alu instid0(VALU_DEP_2)
	v_add_nc_u32_e32 v80, 0xa8, v80
.LBB95_105:                             ; =>This Inner Loop Header: Depth=1
	scratch_load_b64 v[82:83], v80, off
	v_dual_mov_b32 v84, s5 :: v_dual_add_nc_u32 v81, -1, v81
	v_add_nc_u32_e32 v80, 8, v80
	s_add_i32 s5, s5, 8
	ds_load_b64 v[84:85], v84
	v_cmp_eq_u32_e32 vcc_lo, 0, v81
	s_or_b32 s1, vcc_lo, s1
	s_waitcnt vmcnt(0) lgkmcnt(0)
	v_fma_f64 v[65:66], v[82:83], v[84:85], v[65:66]
	s_and_not1_b32 exec_lo, exec_lo, s1
	s_cbranch_execnz .LBB95_105
; %bb.106:
	s_or_b32 exec_lo, exec_lo, s1
.LBB95_107:
	s_delay_alu instid0(SALU_CYCLE_1)
	s_or_b32 exec_lo, exec_lo, s4
	v_mov_b32_e32 v80, 0
	ds_load_b64 v[80:81], v80 offset:160
	s_waitcnt lgkmcnt(0)
	v_mul_f64 v[65:66], v[65:66], v[80:81]
	scratch_store_b64 off, v[65:66], off offset:160
.LBB95_108:
	s_or_b32 exec_lo, exec_lo, s3
	scratch_load_b64 v[65:66], off, off offset:152
	v_cmp_lt_u32_e64 s1, 19, v0
	s_waitcnt vmcnt(0)
	ds_store_b64 v68, v[65:66]
	s_waitcnt lgkmcnt(0)
	s_waitcnt_vscnt null, 0x0
	s_barrier
	buffer_gl0_inv
	s_and_saveexec_b32 s3, s1
	s_cbranch_execz .LBB95_118
; %bb.109:
	s_and_not1_b32 vcc_lo, exec_lo, s2
	s_cbranch_vccnz .LBB95_111
; %bb.110:
	scratch_load_b64 v[65:66], v69, off
	ds_load_b64 v[80:81], v68
	s_waitcnt vmcnt(0) lgkmcnt(0)
	v_mul_f64 v[65:66], v[65:66], v[80:81]
	s_cbranch_execz .LBB95_112
	s_branch .LBB95_113
.LBB95_111:
                                        ; implicit-def: $vgpr65_vgpr66
.LBB95_112:
	ds_load_b64 v[65:66], v68
.LBB95_113:
	s_and_saveexec_b32 s4, s0
	s_cbranch_execz .LBB95_117
; %bb.114:
	v_subrev_nc_u32_e32 v80, 20, v0
	s_movk_i32 s5, 0x1a0
	s_mov_b32 s0, 0
.LBB95_115:                             ; =>This Inner Loop Header: Depth=1
	scratch_load_b64 v[81:82], v79, off
	v_dual_mov_b32 v83, s5 :: v_dual_add_nc_u32 v80, -1, v80
	v_add_nc_u32_e32 v79, 8, v79
	s_add_i32 s5, s5, 8
	ds_load_b64 v[83:84], v83
	v_cmp_eq_u32_e32 vcc_lo, 0, v80
	s_or_b32 s0, vcc_lo, s0
	s_waitcnt vmcnt(0) lgkmcnt(0)
	v_fma_f64 v[65:66], v[81:82], v[83:84], v[65:66]
	s_and_not1_b32 exec_lo, exec_lo, s0
	s_cbranch_execnz .LBB95_115
; %bb.116:
	s_or_b32 exec_lo, exec_lo, s0
.LBB95_117:
	s_delay_alu instid0(SALU_CYCLE_1)
	s_or_b32 exec_lo, exec_lo, s4
	v_mov_b32_e32 v79, 0
	ds_load_b64 v[79:80], v79 offset:152
	s_waitcnt lgkmcnt(0)
	v_mul_f64 v[65:66], v[65:66], v[79:80]
	scratch_store_b64 off, v[65:66], off offset:152
.LBB95_118:
	s_or_b32 exec_lo, exec_lo, s3
	scratch_load_b64 v[65:66], off, off offset:144
	v_cmp_lt_u32_e64 s0, 18, v0
	s_waitcnt vmcnt(0)
	ds_store_b64 v68, v[65:66]
	s_waitcnt lgkmcnt(0)
	s_waitcnt_vscnt null, 0x0
	s_barrier
	buffer_gl0_inv
	s_and_saveexec_b32 s3, s0
	s_cbranch_execz .LBB95_128
; %bb.119:
	s_and_not1_b32 vcc_lo, exec_lo, s2
	s_cbranch_vccnz .LBB95_121
; %bb.120:
	scratch_load_b64 v[65:66], v69, off
	ds_load_b64 v[79:80], v68
	s_waitcnt vmcnt(0) lgkmcnt(0)
	v_mul_f64 v[65:66], v[65:66], v[79:80]
	s_cbranch_execz .LBB95_122
	s_branch .LBB95_123
.LBB95_121:
                                        ; implicit-def: $vgpr65_vgpr66
.LBB95_122:
	ds_load_b64 v[65:66], v68
.LBB95_123:
	s_and_saveexec_b32 s4, s1
	s_cbranch_execz .LBB95_127
; %bb.124:
	v_mov_b32_e32 v79, 0
	v_subrev_nc_u32_e32 v80, 19, v0
	s_movk_i32 s5, 0x198
	s_mov_b32 s1, 0
	s_delay_alu instid0(VALU_DEP_2)
	v_add_nc_u32_e32 v79, 0x98, v79
.LBB95_125:                             ; =>This Inner Loop Header: Depth=1
	scratch_load_b64 v[81:82], v79, off
	v_dual_mov_b32 v83, s5 :: v_dual_add_nc_u32 v80, -1, v80
	v_add_nc_u32_e32 v79, 8, v79
	s_add_i32 s5, s5, 8
	ds_load_b64 v[83:84], v83
	v_cmp_eq_u32_e32 vcc_lo, 0, v80
	s_or_b32 s1, vcc_lo, s1
	s_waitcnt vmcnt(0) lgkmcnt(0)
	v_fma_f64 v[65:66], v[81:82], v[83:84], v[65:66]
	s_and_not1_b32 exec_lo, exec_lo, s1
	s_cbranch_execnz .LBB95_125
; %bb.126:
	s_or_b32 exec_lo, exec_lo, s1
.LBB95_127:
	s_delay_alu instid0(SALU_CYCLE_1)
	s_or_b32 exec_lo, exec_lo, s4
	v_mov_b32_e32 v79, 0
	ds_load_b64 v[79:80], v79 offset:144
	s_waitcnt lgkmcnt(0)
	v_mul_f64 v[65:66], v[65:66], v[79:80]
	scratch_store_b64 off, v[65:66], off offset:144
.LBB95_128:
	s_or_b32 exec_lo, exec_lo, s3
	scratch_load_b64 v[65:66], off, off offset:136
	v_cmp_lt_u32_e64 s1, 17, v0
	s_waitcnt vmcnt(0)
	ds_store_b64 v68, v[65:66]
	s_waitcnt lgkmcnt(0)
	s_waitcnt_vscnt null, 0x0
	s_barrier
	buffer_gl0_inv
	s_and_saveexec_b32 s3, s1
	s_cbranch_execz .LBB95_138
; %bb.129:
	s_and_not1_b32 vcc_lo, exec_lo, s2
	s_cbranch_vccnz .LBB95_131
; %bb.130:
	scratch_load_b64 v[65:66], v69, off
	ds_load_b64 v[79:80], v68
	s_waitcnt vmcnt(0) lgkmcnt(0)
	v_mul_f64 v[65:66], v[65:66], v[79:80]
	s_cbranch_execz .LBB95_132
	s_branch .LBB95_133
.LBB95_131:
                                        ; implicit-def: $vgpr65_vgpr66
.LBB95_132:
	ds_load_b64 v[65:66], v68
.LBB95_133:
	s_and_saveexec_b32 s4, s0
	s_cbranch_execz .LBB95_137
; %bb.134:
	v_subrev_nc_u32_e32 v79, 18, v0
	s_movk_i32 s5, 0x190
	s_mov_b32 s0, 0
.LBB95_135:                             ; =>This Inner Loop Header: Depth=1
	scratch_load_b64 v[80:81], v78, off
	v_dual_mov_b32 v82, s5 :: v_dual_add_nc_u32 v79, -1, v79
	v_add_nc_u32_e32 v78, 8, v78
	s_add_i32 s5, s5, 8
	ds_load_b64 v[82:83], v82
	v_cmp_eq_u32_e32 vcc_lo, 0, v79
	s_or_b32 s0, vcc_lo, s0
	s_waitcnt vmcnt(0) lgkmcnt(0)
	v_fma_f64 v[65:66], v[80:81], v[82:83], v[65:66]
	s_and_not1_b32 exec_lo, exec_lo, s0
	s_cbranch_execnz .LBB95_135
; %bb.136:
	s_or_b32 exec_lo, exec_lo, s0
.LBB95_137:
	s_delay_alu instid0(SALU_CYCLE_1)
	s_or_b32 exec_lo, exec_lo, s4
	v_mov_b32_e32 v78, 0
	ds_load_b64 v[78:79], v78 offset:136
	s_waitcnt lgkmcnt(0)
	v_mul_f64 v[65:66], v[65:66], v[78:79]
	scratch_store_b64 off, v[65:66], off offset:136
.LBB95_138:
	s_or_b32 exec_lo, exec_lo, s3
	scratch_load_b64 v[65:66], off, off offset:128
	v_cmp_lt_u32_e64 s0, 16, v0
	s_waitcnt vmcnt(0)
	ds_store_b64 v68, v[65:66]
	s_waitcnt lgkmcnt(0)
	s_waitcnt_vscnt null, 0x0
	s_barrier
	buffer_gl0_inv
	s_and_saveexec_b32 s3, s0
	s_cbranch_execz .LBB95_148
; %bb.139:
	s_and_not1_b32 vcc_lo, exec_lo, s2
	s_cbranch_vccnz .LBB95_141
; %bb.140:
	scratch_load_b64 v[65:66], v69, off
	ds_load_b64 v[78:79], v68
	s_waitcnt vmcnt(0) lgkmcnt(0)
	v_mul_f64 v[65:66], v[65:66], v[78:79]
	s_cbranch_execz .LBB95_142
	s_branch .LBB95_143
.LBB95_141:
                                        ; implicit-def: $vgpr65_vgpr66
.LBB95_142:
	ds_load_b64 v[65:66], v68
.LBB95_143:
	s_and_saveexec_b32 s4, s1
	s_cbranch_execz .LBB95_147
; %bb.144:
	v_mov_b32_e32 v78, 0
	v_subrev_nc_u32_e32 v79, 17, v0
	s_movk_i32 s5, 0x188
	s_mov_b32 s1, 0
	s_delay_alu instid0(VALU_DEP_2)
	v_add_nc_u32_e32 v78, 0x88, v78
.LBB95_145:                             ; =>This Inner Loop Header: Depth=1
	scratch_load_b64 v[80:81], v78, off
	v_dual_mov_b32 v82, s5 :: v_dual_add_nc_u32 v79, -1, v79
	v_add_nc_u32_e32 v78, 8, v78
	s_add_i32 s5, s5, 8
	ds_load_b64 v[82:83], v82
	v_cmp_eq_u32_e32 vcc_lo, 0, v79
	s_or_b32 s1, vcc_lo, s1
	s_waitcnt vmcnt(0) lgkmcnt(0)
	v_fma_f64 v[65:66], v[80:81], v[82:83], v[65:66]
	s_and_not1_b32 exec_lo, exec_lo, s1
	s_cbranch_execnz .LBB95_145
; %bb.146:
	s_or_b32 exec_lo, exec_lo, s1
.LBB95_147:
	s_delay_alu instid0(SALU_CYCLE_1)
	s_or_b32 exec_lo, exec_lo, s4
	v_mov_b32_e32 v78, 0
	ds_load_b64 v[78:79], v78 offset:128
	s_waitcnt lgkmcnt(0)
	v_mul_f64 v[65:66], v[65:66], v[78:79]
	scratch_store_b64 off, v[65:66], off offset:128
.LBB95_148:
	s_or_b32 exec_lo, exec_lo, s3
	scratch_load_b64 v[65:66], off, off offset:120
	v_cmp_lt_u32_e64 s1, 15, v0
	s_waitcnt vmcnt(0)
	ds_store_b64 v68, v[65:66]
	s_waitcnt lgkmcnt(0)
	s_waitcnt_vscnt null, 0x0
	s_barrier
	buffer_gl0_inv
	s_and_saveexec_b32 s3, s1
	s_cbranch_execz .LBB95_158
; %bb.149:
	s_and_not1_b32 vcc_lo, exec_lo, s2
	s_cbranch_vccnz .LBB95_151
; %bb.150:
	scratch_load_b64 v[65:66], v69, off
	ds_load_b64 v[78:79], v68
	s_waitcnt vmcnt(0) lgkmcnt(0)
	v_mul_f64 v[65:66], v[65:66], v[78:79]
	s_cbranch_execz .LBB95_152
	s_branch .LBB95_153
.LBB95_151:
                                        ; implicit-def: $vgpr65_vgpr66
.LBB95_152:
	ds_load_b64 v[65:66], v68
.LBB95_153:
	s_and_saveexec_b32 s4, s0
	s_cbranch_execz .LBB95_157
; %bb.154:
	v_add_nc_u32_e32 v78, -16, v0
	s_movk_i32 s5, 0x180
	s_mov_b32 s0, 0
.LBB95_155:                             ; =>This Inner Loop Header: Depth=1
	scratch_load_b64 v[79:80], v77, off
	v_dual_mov_b32 v81, s5 :: v_dual_add_nc_u32 v78, -1, v78
	v_add_nc_u32_e32 v77, 8, v77
	s_add_i32 s5, s5, 8
	ds_load_b64 v[81:82], v81
	v_cmp_eq_u32_e32 vcc_lo, 0, v78
	s_or_b32 s0, vcc_lo, s0
	s_waitcnt vmcnt(0) lgkmcnt(0)
	v_fma_f64 v[65:66], v[79:80], v[81:82], v[65:66]
	s_and_not1_b32 exec_lo, exec_lo, s0
	s_cbranch_execnz .LBB95_155
; %bb.156:
	s_or_b32 exec_lo, exec_lo, s0
.LBB95_157:
	s_delay_alu instid0(SALU_CYCLE_1)
	s_or_b32 exec_lo, exec_lo, s4
	v_mov_b32_e32 v77, 0
	ds_load_b64 v[77:78], v77 offset:120
	s_waitcnt lgkmcnt(0)
	v_mul_f64 v[65:66], v[65:66], v[77:78]
	scratch_store_b64 off, v[65:66], off offset:120
.LBB95_158:
	s_or_b32 exec_lo, exec_lo, s3
	scratch_load_b64 v[65:66], off, off offset:112
	v_cmp_lt_u32_e64 s0, 14, v0
	s_waitcnt vmcnt(0)
	ds_store_b64 v68, v[65:66]
	s_waitcnt lgkmcnt(0)
	s_waitcnt_vscnt null, 0x0
	s_barrier
	buffer_gl0_inv
	s_and_saveexec_b32 s3, s0
	s_cbranch_execz .LBB95_168
; %bb.159:
	s_and_not1_b32 vcc_lo, exec_lo, s2
	s_cbranch_vccnz .LBB95_161
; %bb.160:
	scratch_load_b64 v[65:66], v69, off
	ds_load_b64 v[77:78], v68
	s_waitcnt vmcnt(0) lgkmcnt(0)
	v_mul_f64 v[65:66], v[65:66], v[77:78]
	s_cbranch_execz .LBB95_162
	s_branch .LBB95_163
.LBB95_161:
                                        ; implicit-def: $vgpr65_vgpr66
.LBB95_162:
	ds_load_b64 v[65:66], v68
.LBB95_163:
	s_and_saveexec_b32 s4, s1
	s_cbranch_execz .LBB95_167
; %bb.164:
	v_dual_mov_b32 v77, 0 :: v_dual_add_nc_u32 v78, -15, v0
	s_movk_i32 s5, 0x178
	s_mov_b32 s1, 0
	s_delay_alu instid0(VALU_DEP_1)
	v_add_nc_u32_e32 v77, 0x78, v77
.LBB95_165:                             ; =>This Inner Loop Header: Depth=1
	scratch_load_b64 v[79:80], v77, off
	v_dual_mov_b32 v81, s5 :: v_dual_add_nc_u32 v78, -1, v78
	v_add_nc_u32_e32 v77, 8, v77
	s_add_i32 s5, s5, 8
	ds_load_b64 v[81:82], v81
	v_cmp_eq_u32_e32 vcc_lo, 0, v78
	s_or_b32 s1, vcc_lo, s1
	s_waitcnt vmcnt(0) lgkmcnt(0)
	v_fma_f64 v[65:66], v[79:80], v[81:82], v[65:66]
	s_and_not1_b32 exec_lo, exec_lo, s1
	s_cbranch_execnz .LBB95_165
; %bb.166:
	s_or_b32 exec_lo, exec_lo, s1
.LBB95_167:
	s_delay_alu instid0(SALU_CYCLE_1)
	s_or_b32 exec_lo, exec_lo, s4
	v_mov_b32_e32 v77, 0
	ds_load_b64 v[77:78], v77 offset:112
	s_waitcnt lgkmcnt(0)
	v_mul_f64 v[65:66], v[65:66], v[77:78]
	scratch_store_b64 off, v[65:66], off offset:112
.LBB95_168:
	s_or_b32 exec_lo, exec_lo, s3
	scratch_load_b64 v[65:66], off, off offset:104
	v_cmp_lt_u32_e64 s1, 13, v0
	s_waitcnt vmcnt(0)
	ds_store_b64 v68, v[65:66]
	s_waitcnt lgkmcnt(0)
	s_waitcnt_vscnt null, 0x0
	s_barrier
	buffer_gl0_inv
	s_and_saveexec_b32 s3, s1
	s_cbranch_execz .LBB95_178
; %bb.169:
	s_and_not1_b32 vcc_lo, exec_lo, s2
	s_cbranch_vccnz .LBB95_171
; %bb.170:
	scratch_load_b64 v[65:66], v69, off
	ds_load_b64 v[77:78], v68
	s_waitcnt vmcnt(0) lgkmcnt(0)
	v_mul_f64 v[65:66], v[65:66], v[77:78]
	s_cbranch_execz .LBB95_172
	s_branch .LBB95_173
.LBB95_171:
                                        ; implicit-def: $vgpr65_vgpr66
.LBB95_172:
	ds_load_b64 v[65:66], v68
.LBB95_173:
	s_and_saveexec_b32 s4, s0
	s_cbranch_execz .LBB95_177
; %bb.174:
	v_add_nc_u32_e32 v77, -14, v0
	s_movk_i32 s5, 0x170
	s_mov_b32 s0, 0
.LBB95_175:                             ; =>This Inner Loop Header: Depth=1
	scratch_load_b64 v[78:79], v76, off
	v_dual_mov_b32 v80, s5 :: v_dual_add_nc_u32 v77, -1, v77
	v_add_nc_u32_e32 v76, 8, v76
	s_add_i32 s5, s5, 8
	ds_load_b64 v[80:81], v80
	v_cmp_eq_u32_e32 vcc_lo, 0, v77
	s_or_b32 s0, vcc_lo, s0
	s_waitcnt vmcnt(0) lgkmcnt(0)
	v_fma_f64 v[65:66], v[78:79], v[80:81], v[65:66]
	s_and_not1_b32 exec_lo, exec_lo, s0
	s_cbranch_execnz .LBB95_175
; %bb.176:
	s_or_b32 exec_lo, exec_lo, s0
.LBB95_177:
	s_delay_alu instid0(SALU_CYCLE_1)
	s_or_b32 exec_lo, exec_lo, s4
	v_mov_b32_e32 v76, 0
	ds_load_b64 v[76:77], v76 offset:104
	s_waitcnt lgkmcnt(0)
	v_mul_f64 v[65:66], v[65:66], v[76:77]
	scratch_store_b64 off, v[65:66], off offset:104
.LBB95_178:
	s_or_b32 exec_lo, exec_lo, s3
	scratch_load_b64 v[65:66], off, off offset:96
	v_cmp_lt_u32_e64 s0, 12, v0
	s_waitcnt vmcnt(0)
	ds_store_b64 v68, v[65:66]
	s_waitcnt lgkmcnt(0)
	s_waitcnt_vscnt null, 0x0
	s_barrier
	buffer_gl0_inv
	s_and_saveexec_b32 s3, s0
	s_cbranch_execz .LBB95_188
; %bb.179:
	s_and_not1_b32 vcc_lo, exec_lo, s2
	s_cbranch_vccnz .LBB95_181
; %bb.180:
	scratch_load_b64 v[65:66], v69, off
	ds_load_b64 v[76:77], v68
	s_waitcnt vmcnt(0) lgkmcnt(0)
	v_mul_f64 v[65:66], v[65:66], v[76:77]
	s_cbranch_execz .LBB95_182
	s_branch .LBB95_183
.LBB95_181:
                                        ; implicit-def: $vgpr65_vgpr66
.LBB95_182:
	ds_load_b64 v[65:66], v68
.LBB95_183:
	s_and_saveexec_b32 s4, s1
	s_cbranch_execz .LBB95_187
; %bb.184:
	v_dual_mov_b32 v76, 0 :: v_dual_add_nc_u32 v77, -13, v0
	s_movk_i32 s5, 0x168
	s_mov_b32 s1, 0
	s_delay_alu instid0(VALU_DEP_1)
	v_add_nc_u32_e32 v76, 0x68, v76
.LBB95_185:                             ; =>This Inner Loop Header: Depth=1
	scratch_load_b64 v[78:79], v76, off
	v_dual_mov_b32 v80, s5 :: v_dual_add_nc_u32 v77, -1, v77
	v_add_nc_u32_e32 v76, 8, v76
	s_add_i32 s5, s5, 8
	ds_load_b64 v[80:81], v80
	v_cmp_eq_u32_e32 vcc_lo, 0, v77
	s_or_b32 s1, vcc_lo, s1
	s_waitcnt vmcnt(0) lgkmcnt(0)
	v_fma_f64 v[65:66], v[78:79], v[80:81], v[65:66]
	s_and_not1_b32 exec_lo, exec_lo, s1
	s_cbranch_execnz .LBB95_185
; %bb.186:
	s_or_b32 exec_lo, exec_lo, s1
.LBB95_187:
	s_delay_alu instid0(SALU_CYCLE_1)
	s_or_b32 exec_lo, exec_lo, s4
	v_mov_b32_e32 v76, 0
	ds_load_b64 v[76:77], v76 offset:96
	s_waitcnt lgkmcnt(0)
	v_mul_f64 v[65:66], v[65:66], v[76:77]
	scratch_store_b64 off, v[65:66], off offset:96
.LBB95_188:
	s_or_b32 exec_lo, exec_lo, s3
	scratch_load_b64 v[65:66], off, off offset:88
	v_cmp_lt_u32_e64 s1, 11, v0
	s_waitcnt vmcnt(0)
	ds_store_b64 v68, v[65:66]
	s_waitcnt lgkmcnt(0)
	s_waitcnt_vscnt null, 0x0
	s_barrier
	buffer_gl0_inv
	s_and_saveexec_b32 s3, s1
	s_cbranch_execz .LBB95_198
; %bb.189:
	s_and_not1_b32 vcc_lo, exec_lo, s2
	s_cbranch_vccnz .LBB95_191
; %bb.190:
	scratch_load_b64 v[65:66], v69, off
	ds_load_b64 v[76:77], v68
	s_waitcnt vmcnt(0) lgkmcnt(0)
	v_mul_f64 v[65:66], v[65:66], v[76:77]
	s_cbranch_execz .LBB95_192
	s_branch .LBB95_193
.LBB95_191:
                                        ; implicit-def: $vgpr65_vgpr66
.LBB95_192:
	ds_load_b64 v[65:66], v68
.LBB95_193:
	s_and_saveexec_b32 s4, s0
	s_cbranch_execz .LBB95_197
; %bb.194:
	v_add_nc_u32_e32 v76, -12, v0
	s_movk_i32 s5, 0x160
	s_mov_b32 s0, 0
.LBB95_195:                             ; =>This Inner Loop Header: Depth=1
	scratch_load_b64 v[77:78], v75, off
	v_dual_mov_b32 v79, s5 :: v_dual_add_nc_u32 v76, -1, v76
	v_add_nc_u32_e32 v75, 8, v75
	s_add_i32 s5, s5, 8
	ds_load_b64 v[79:80], v79
	v_cmp_eq_u32_e32 vcc_lo, 0, v76
	s_or_b32 s0, vcc_lo, s0
	s_waitcnt vmcnt(0) lgkmcnt(0)
	v_fma_f64 v[65:66], v[77:78], v[79:80], v[65:66]
	s_and_not1_b32 exec_lo, exec_lo, s0
	s_cbranch_execnz .LBB95_195
; %bb.196:
	s_or_b32 exec_lo, exec_lo, s0
.LBB95_197:
	s_delay_alu instid0(SALU_CYCLE_1)
	s_or_b32 exec_lo, exec_lo, s4
	v_mov_b32_e32 v75, 0
	ds_load_b64 v[75:76], v75 offset:88
	s_waitcnt lgkmcnt(0)
	v_mul_f64 v[65:66], v[65:66], v[75:76]
	scratch_store_b64 off, v[65:66], off offset:88
.LBB95_198:
	s_or_b32 exec_lo, exec_lo, s3
	scratch_load_b64 v[65:66], off, off offset:80
	v_cmp_lt_u32_e64 s0, 10, v0
	s_waitcnt vmcnt(0)
	ds_store_b64 v68, v[65:66]
	s_waitcnt lgkmcnt(0)
	s_waitcnt_vscnt null, 0x0
	s_barrier
	buffer_gl0_inv
	s_and_saveexec_b32 s3, s0
	s_cbranch_execz .LBB95_208
; %bb.199:
	s_and_not1_b32 vcc_lo, exec_lo, s2
	s_cbranch_vccnz .LBB95_201
; %bb.200:
	scratch_load_b64 v[65:66], v69, off
	ds_load_b64 v[75:76], v68
	s_waitcnt vmcnt(0) lgkmcnt(0)
	v_mul_f64 v[65:66], v[65:66], v[75:76]
	s_cbranch_execz .LBB95_202
	s_branch .LBB95_203
.LBB95_201:
                                        ; implicit-def: $vgpr65_vgpr66
.LBB95_202:
	ds_load_b64 v[65:66], v68
.LBB95_203:
	s_and_saveexec_b32 s4, s1
	s_cbranch_execz .LBB95_207
; %bb.204:
	v_dual_mov_b32 v75, 0 :: v_dual_add_nc_u32 v76, -11, v0
	s_movk_i32 s5, 0x158
	s_mov_b32 s1, 0
	s_delay_alu instid0(VALU_DEP_1)
	v_add_nc_u32_e32 v75, 0x58, v75
.LBB95_205:                             ; =>This Inner Loop Header: Depth=1
	scratch_load_b64 v[77:78], v75, off
	v_dual_mov_b32 v79, s5 :: v_dual_add_nc_u32 v76, -1, v76
	v_add_nc_u32_e32 v75, 8, v75
	s_add_i32 s5, s5, 8
	ds_load_b64 v[79:80], v79
	v_cmp_eq_u32_e32 vcc_lo, 0, v76
	s_or_b32 s1, vcc_lo, s1
	s_waitcnt vmcnt(0) lgkmcnt(0)
	v_fma_f64 v[65:66], v[77:78], v[79:80], v[65:66]
	s_and_not1_b32 exec_lo, exec_lo, s1
	s_cbranch_execnz .LBB95_205
; %bb.206:
	s_or_b32 exec_lo, exec_lo, s1
.LBB95_207:
	s_delay_alu instid0(SALU_CYCLE_1)
	s_or_b32 exec_lo, exec_lo, s4
	v_mov_b32_e32 v75, 0
	ds_load_b64 v[75:76], v75 offset:80
	s_waitcnt lgkmcnt(0)
	v_mul_f64 v[65:66], v[65:66], v[75:76]
	scratch_store_b64 off, v[65:66], off offset:80
.LBB95_208:
	s_or_b32 exec_lo, exec_lo, s3
	scratch_load_b64 v[65:66], off, off offset:72
	v_cmp_lt_u32_e64 s1, 9, v0
	s_waitcnt vmcnt(0)
	ds_store_b64 v68, v[65:66]
	s_waitcnt lgkmcnt(0)
	s_waitcnt_vscnt null, 0x0
	s_barrier
	buffer_gl0_inv
	s_and_saveexec_b32 s3, s1
	s_cbranch_execz .LBB95_218
; %bb.209:
	s_and_not1_b32 vcc_lo, exec_lo, s2
	s_cbranch_vccnz .LBB95_211
; %bb.210:
	scratch_load_b64 v[65:66], v69, off
	ds_load_b64 v[75:76], v68
	s_waitcnt vmcnt(0) lgkmcnt(0)
	v_mul_f64 v[65:66], v[65:66], v[75:76]
	s_cbranch_execz .LBB95_212
	s_branch .LBB95_213
.LBB95_211:
                                        ; implicit-def: $vgpr65_vgpr66
.LBB95_212:
	ds_load_b64 v[65:66], v68
.LBB95_213:
	s_and_saveexec_b32 s4, s0
	s_cbranch_execz .LBB95_217
; %bb.214:
	v_add_nc_u32_e32 v75, -10, v0
	s_movk_i32 s5, 0x150
	s_mov_b32 s0, 0
.LBB95_215:                             ; =>This Inner Loop Header: Depth=1
	scratch_load_b64 v[76:77], v74, off
	v_dual_mov_b32 v78, s5 :: v_dual_add_nc_u32 v75, -1, v75
	v_add_nc_u32_e32 v74, 8, v74
	s_add_i32 s5, s5, 8
	ds_load_b64 v[78:79], v78
	v_cmp_eq_u32_e32 vcc_lo, 0, v75
	s_or_b32 s0, vcc_lo, s0
	s_waitcnt vmcnt(0) lgkmcnt(0)
	v_fma_f64 v[65:66], v[76:77], v[78:79], v[65:66]
	s_and_not1_b32 exec_lo, exec_lo, s0
	s_cbranch_execnz .LBB95_215
; %bb.216:
	s_or_b32 exec_lo, exec_lo, s0
.LBB95_217:
	s_delay_alu instid0(SALU_CYCLE_1)
	s_or_b32 exec_lo, exec_lo, s4
	v_mov_b32_e32 v74, 0
	ds_load_b64 v[74:75], v74 offset:72
	s_waitcnt lgkmcnt(0)
	v_mul_f64 v[65:66], v[65:66], v[74:75]
	scratch_store_b64 off, v[65:66], off offset:72
.LBB95_218:
	s_or_b32 exec_lo, exec_lo, s3
	scratch_load_b64 v[65:66], off, off offset:64
	v_cmp_lt_u32_e64 s0, 8, v0
	s_waitcnt vmcnt(0)
	ds_store_b64 v68, v[65:66]
	s_waitcnt lgkmcnt(0)
	s_waitcnt_vscnt null, 0x0
	s_barrier
	buffer_gl0_inv
	s_and_saveexec_b32 s3, s0
	s_cbranch_execz .LBB95_228
; %bb.219:
	s_and_not1_b32 vcc_lo, exec_lo, s2
	s_cbranch_vccnz .LBB95_221
; %bb.220:
	scratch_load_b64 v[65:66], v69, off
	ds_load_b64 v[74:75], v68
	s_waitcnt vmcnt(0) lgkmcnt(0)
	v_mul_f64 v[65:66], v[65:66], v[74:75]
	s_cbranch_execz .LBB95_222
	s_branch .LBB95_223
.LBB95_221:
                                        ; implicit-def: $vgpr65_vgpr66
.LBB95_222:
	ds_load_b64 v[65:66], v68
.LBB95_223:
	s_and_saveexec_b32 s4, s1
	s_cbranch_execz .LBB95_227
; %bb.224:
	v_dual_mov_b32 v74, 0 :: v_dual_add_nc_u32 v75, -9, v0
	s_movk_i32 s5, 0x148
	s_mov_b32 s1, 0
	s_delay_alu instid0(VALU_DEP_1)
	v_add_nc_u32_e32 v74, 0x48, v74
.LBB95_225:                             ; =>This Inner Loop Header: Depth=1
	scratch_load_b64 v[76:77], v74, off
	v_dual_mov_b32 v78, s5 :: v_dual_add_nc_u32 v75, -1, v75
	v_add_nc_u32_e32 v74, 8, v74
	s_add_i32 s5, s5, 8
	ds_load_b64 v[78:79], v78
	v_cmp_eq_u32_e32 vcc_lo, 0, v75
	s_or_b32 s1, vcc_lo, s1
	s_waitcnt vmcnt(0) lgkmcnt(0)
	v_fma_f64 v[65:66], v[76:77], v[78:79], v[65:66]
	s_and_not1_b32 exec_lo, exec_lo, s1
	s_cbranch_execnz .LBB95_225
; %bb.226:
	s_or_b32 exec_lo, exec_lo, s1
.LBB95_227:
	s_delay_alu instid0(SALU_CYCLE_1)
	s_or_b32 exec_lo, exec_lo, s4
	v_mov_b32_e32 v74, 0
	ds_load_b64 v[74:75], v74 offset:64
	s_waitcnt lgkmcnt(0)
	v_mul_f64 v[65:66], v[65:66], v[74:75]
	scratch_store_b64 off, v[65:66], off offset:64
.LBB95_228:
	s_or_b32 exec_lo, exec_lo, s3
	scratch_load_b64 v[65:66], off, off offset:56
	v_cmp_lt_u32_e64 s1, 7, v0
	s_waitcnt vmcnt(0)
	ds_store_b64 v68, v[65:66]
	s_waitcnt lgkmcnt(0)
	s_waitcnt_vscnt null, 0x0
	s_barrier
	buffer_gl0_inv
	s_and_saveexec_b32 s3, s1
	s_cbranch_execz .LBB95_238
; %bb.229:
	s_and_not1_b32 vcc_lo, exec_lo, s2
	s_cbranch_vccnz .LBB95_231
; %bb.230:
	scratch_load_b64 v[65:66], v69, off
	ds_load_b64 v[74:75], v68
	s_waitcnt vmcnt(0) lgkmcnt(0)
	v_mul_f64 v[65:66], v[65:66], v[74:75]
	s_cbranch_execz .LBB95_232
	s_branch .LBB95_233
.LBB95_231:
                                        ; implicit-def: $vgpr65_vgpr66
.LBB95_232:
	ds_load_b64 v[65:66], v68
.LBB95_233:
	s_and_saveexec_b32 s4, s0
	s_cbranch_execz .LBB95_237
; %bb.234:
	v_add_nc_u32_e32 v74, -8, v0
	s_movk_i32 s5, 0x140
	s_mov_b32 s0, 0
.LBB95_235:                             ; =>This Inner Loop Header: Depth=1
	scratch_load_b64 v[75:76], v73, off
	v_dual_mov_b32 v77, s5 :: v_dual_add_nc_u32 v74, -1, v74
	v_add_nc_u32_e32 v73, 8, v73
	s_add_i32 s5, s5, 8
	ds_load_b64 v[77:78], v77
	v_cmp_eq_u32_e32 vcc_lo, 0, v74
	s_or_b32 s0, vcc_lo, s0
	s_waitcnt vmcnt(0) lgkmcnt(0)
	v_fma_f64 v[65:66], v[75:76], v[77:78], v[65:66]
	s_and_not1_b32 exec_lo, exec_lo, s0
	s_cbranch_execnz .LBB95_235
; %bb.236:
	s_or_b32 exec_lo, exec_lo, s0
.LBB95_237:
	s_delay_alu instid0(SALU_CYCLE_1)
	s_or_b32 exec_lo, exec_lo, s4
	v_mov_b32_e32 v73, 0
	ds_load_b64 v[73:74], v73 offset:56
	s_waitcnt lgkmcnt(0)
	v_mul_f64 v[65:66], v[65:66], v[73:74]
	scratch_store_b64 off, v[65:66], off offset:56
.LBB95_238:
	s_or_b32 exec_lo, exec_lo, s3
	scratch_load_b64 v[65:66], off, off offset:48
	v_cmp_lt_u32_e64 s0, 6, v0
	s_waitcnt vmcnt(0)
	ds_store_b64 v68, v[65:66]
	s_waitcnt lgkmcnt(0)
	s_waitcnt_vscnt null, 0x0
	s_barrier
	buffer_gl0_inv
	s_and_saveexec_b32 s3, s0
	s_cbranch_execz .LBB95_248
; %bb.239:
	s_and_not1_b32 vcc_lo, exec_lo, s2
	s_cbranch_vccnz .LBB95_241
; %bb.240:
	scratch_load_b64 v[65:66], v69, off
	ds_load_b64 v[73:74], v68
	s_waitcnt vmcnt(0) lgkmcnt(0)
	v_mul_f64 v[65:66], v[65:66], v[73:74]
	s_cbranch_execz .LBB95_242
	s_branch .LBB95_243
.LBB95_241:
                                        ; implicit-def: $vgpr65_vgpr66
.LBB95_242:
	ds_load_b64 v[65:66], v68
.LBB95_243:
	s_and_saveexec_b32 s4, s1
	s_cbranch_execz .LBB95_247
; %bb.244:
	v_add_nc_u32_e64 v73, 0, 56
	v_add_nc_u32_e32 v74, -7, v0
	s_movk_i32 s5, 0x138
	s_mov_b32 s1, 0
.LBB95_245:                             ; =>This Inner Loop Header: Depth=1
	scratch_load_b64 v[75:76], v73, off
	v_dual_mov_b32 v77, s5 :: v_dual_add_nc_u32 v74, -1, v74
	v_add_nc_u32_e32 v73, 8, v73
	s_add_i32 s5, s5, 8
	ds_load_b64 v[77:78], v77
	v_cmp_eq_u32_e32 vcc_lo, 0, v74
	s_or_b32 s1, vcc_lo, s1
	s_waitcnt vmcnt(0) lgkmcnt(0)
	v_fma_f64 v[65:66], v[75:76], v[77:78], v[65:66]
	s_and_not1_b32 exec_lo, exec_lo, s1
	s_cbranch_execnz .LBB95_245
; %bb.246:
	s_or_b32 exec_lo, exec_lo, s1
.LBB95_247:
	s_delay_alu instid0(SALU_CYCLE_1)
	s_or_b32 exec_lo, exec_lo, s4
	v_mov_b32_e32 v73, 0
	ds_load_b64 v[73:74], v73 offset:48
	s_waitcnt lgkmcnt(0)
	v_mul_f64 v[65:66], v[65:66], v[73:74]
	scratch_store_b64 off, v[65:66], off offset:48
.LBB95_248:
	s_or_b32 exec_lo, exec_lo, s3
	scratch_load_b64 v[65:66], off, off offset:40
	v_cmp_lt_u32_e64 s1, 5, v0
	s_waitcnt vmcnt(0)
	ds_store_b64 v68, v[65:66]
	s_waitcnt lgkmcnt(0)
	s_waitcnt_vscnt null, 0x0
	s_barrier
	buffer_gl0_inv
	s_and_saveexec_b32 s3, s1
	s_cbranch_execz .LBB95_258
; %bb.249:
	s_and_not1_b32 vcc_lo, exec_lo, s2
	s_cbranch_vccnz .LBB95_251
; %bb.250:
	scratch_load_b64 v[65:66], v69, off
	ds_load_b64 v[73:74], v68
	s_waitcnt vmcnt(0) lgkmcnt(0)
	v_mul_f64 v[65:66], v[65:66], v[73:74]
	s_cbranch_execz .LBB95_252
	s_branch .LBB95_253
.LBB95_251:
                                        ; implicit-def: $vgpr65_vgpr66
.LBB95_252:
	ds_load_b64 v[65:66], v68
.LBB95_253:
	s_and_saveexec_b32 s4, s0
	s_cbranch_execz .LBB95_257
; %bb.254:
	v_add_nc_u32_e32 v73, -6, v0
	s_movk_i32 s5, 0x130
	s_mov_b32 s0, 0
.LBB95_255:                             ; =>This Inner Loop Header: Depth=1
	scratch_load_b64 v[74:75], v72, off
	v_dual_mov_b32 v76, s5 :: v_dual_add_nc_u32 v73, -1, v73
	v_add_nc_u32_e32 v72, 8, v72
	s_add_i32 s5, s5, 8
	ds_load_b64 v[76:77], v76
	v_cmp_eq_u32_e32 vcc_lo, 0, v73
	s_or_b32 s0, vcc_lo, s0
	s_waitcnt vmcnt(0) lgkmcnt(0)
	v_fma_f64 v[65:66], v[74:75], v[76:77], v[65:66]
	s_and_not1_b32 exec_lo, exec_lo, s0
	s_cbranch_execnz .LBB95_255
; %bb.256:
	s_or_b32 exec_lo, exec_lo, s0
.LBB95_257:
	s_delay_alu instid0(SALU_CYCLE_1)
	s_or_b32 exec_lo, exec_lo, s4
	v_mov_b32_e32 v72, 0
	ds_load_b64 v[72:73], v72 offset:40
	s_waitcnt lgkmcnt(0)
	v_mul_f64 v[65:66], v[65:66], v[72:73]
	scratch_store_b64 off, v[65:66], off offset:40
.LBB95_258:
	s_or_b32 exec_lo, exec_lo, s3
	scratch_load_b64 v[65:66], off, off offset:32
	v_cmp_lt_u32_e64 s0, 4, v0
	s_waitcnt vmcnt(0)
	ds_store_b64 v68, v[65:66]
	s_waitcnt lgkmcnt(0)
	s_waitcnt_vscnt null, 0x0
	s_barrier
	buffer_gl0_inv
	s_and_saveexec_b32 s3, s0
	s_cbranch_execz .LBB95_268
; %bb.259:
	s_and_not1_b32 vcc_lo, exec_lo, s2
	s_cbranch_vccnz .LBB95_261
; %bb.260:
	scratch_load_b64 v[65:66], v69, off
	ds_load_b64 v[72:73], v68
	s_waitcnt vmcnt(0) lgkmcnt(0)
	v_mul_f64 v[65:66], v[65:66], v[72:73]
	s_cbranch_execz .LBB95_262
	s_branch .LBB95_263
.LBB95_261:
                                        ; implicit-def: $vgpr65_vgpr66
.LBB95_262:
	ds_load_b64 v[65:66], v68
.LBB95_263:
	s_and_saveexec_b32 s4, s1
	s_cbranch_execz .LBB95_267
; %bb.264:
	v_add_nc_u32_e64 v72, 0, 40
	v_add_nc_u32_e32 v73, -5, v0
	s_movk_i32 s5, 0x128
	s_mov_b32 s1, 0
.LBB95_265:                             ; =>This Inner Loop Header: Depth=1
	scratch_load_b64 v[74:75], v72, off
	v_dual_mov_b32 v76, s5 :: v_dual_add_nc_u32 v73, -1, v73
	v_add_nc_u32_e32 v72, 8, v72
	s_add_i32 s5, s5, 8
	ds_load_b64 v[76:77], v76
	v_cmp_eq_u32_e32 vcc_lo, 0, v73
	s_or_b32 s1, vcc_lo, s1
	s_waitcnt vmcnt(0) lgkmcnt(0)
	v_fma_f64 v[65:66], v[74:75], v[76:77], v[65:66]
	s_and_not1_b32 exec_lo, exec_lo, s1
	s_cbranch_execnz .LBB95_265
; %bb.266:
	s_or_b32 exec_lo, exec_lo, s1
.LBB95_267:
	s_delay_alu instid0(SALU_CYCLE_1)
	s_or_b32 exec_lo, exec_lo, s4
	v_mov_b32_e32 v72, 0
	ds_load_b64 v[72:73], v72 offset:32
	s_waitcnt lgkmcnt(0)
	v_mul_f64 v[65:66], v[65:66], v[72:73]
	scratch_store_b64 off, v[65:66], off offset:32
.LBB95_268:
	s_or_b32 exec_lo, exec_lo, s3
	scratch_load_b64 v[65:66], off, off offset:24
	v_cmp_lt_u32_e64 s1, 3, v0
	s_waitcnt vmcnt(0)
	ds_store_b64 v68, v[65:66]
	s_waitcnt lgkmcnt(0)
	s_waitcnt_vscnt null, 0x0
	s_barrier
	buffer_gl0_inv
	s_and_saveexec_b32 s3, s1
	s_cbranch_execz .LBB95_278
; %bb.269:
	s_and_not1_b32 vcc_lo, exec_lo, s2
	s_cbranch_vccnz .LBB95_271
; %bb.270:
	scratch_load_b64 v[65:66], v69, off
	ds_load_b64 v[72:73], v68
	s_waitcnt vmcnt(0) lgkmcnt(0)
	v_mul_f64 v[65:66], v[65:66], v[72:73]
	s_cbranch_execz .LBB95_272
	s_branch .LBB95_273
.LBB95_271:
                                        ; implicit-def: $vgpr65_vgpr66
.LBB95_272:
	ds_load_b64 v[65:66], v68
.LBB95_273:
	s_and_saveexec_b32 s4, s0
	s_cbranch_execz .LBB95_277
; %bb.274:
	v_add_nc_u32_e32 v72, -4, v0
	s_movk_i32 s5, 0x120
	s_mov_b32 s0, 0
.LBB95_275:                             ; =>This Inner Loop Header: Depth=1
	scratch_load_b64 v[73:74], v71, off
	v_dual_mov_b32 v75, s5 :: v_dual_add_nc_u32 v72, -1, v72
	v_add_nc_u32_e32 v71, 8, v71
	s_add_i32 s5, s5, 8
	ds_load_b64 v[75:76], v75
	v_cmp_eq_u32_e32 vcc_lo, 0, v72
	s_or_b32 s0, vcc_lo, s0
	s_waitcnt vmcnt(0) lgkmcnt(0)
	v_fma_f64 v[65:66], v[73:74], v[75:76], v[65:66]
	s_and_not1_b32 exec_lo, exec_lo, s0
	s_cbranch_execnz .LBB95_275
; %bb.276:
	s_or_b32 exec_lo, exec_lo, s0
.LBB95_277:
	s_delay_alu instid0(SALU_CYCLE_1)
	s_or_b32 exec_lo, exec_lo, s4
	v_mov_b32_e32 v71, 0
	ds_load_b64 v[71:72], v71 offset:24
	s_waitcnt lgkmcnt(0)
	v_mul_f64 v[65:66], v[65:66], v[71:72]
	scratch_store_b64 off, v[65:66], off offset:24
.LBB95_278:
	s_or_b32 exec_lo, exec_lo, s3
	scratch_load_b64 v[65:66], off, off offset:16
	v_cmp_lt_u32_e64 s0, 2, v0
	s_waitcnt vmcnt(0)
	ds_store_b64 v68, v[65:66]
	s_waitcnt lgkmcnt(0)
	s_waitcnt_vscnt null, 0x0
	s_barrier
	buffer_gl0_inv
	s_and_saveexec_b32 s3, s0
	s_cbranch_execz .LBB95_288
; %bb.279:
	s_and_not1_b32 vcc_lo, exec_lo, s2
	s_cbranch_vccnz .LBB95_281
; %bb.280:
	scratch_load_b64 v[65:66], v69, off
	ds_load_b64 v[71:72], v68
	s_waitcnt vmcnt(0) lgkmcnt(0)
	v_mul_f64 v[65:66], v[65:66], v[71:72]
	s_cbranch_execz .LBB95_282
	s_branch .LBB95_283
.LBB95_281:
                                        ; implicit-def: $vgpr65_vgpr66
.LBB95_282:
	ds_load_b64 v[65:66], v68
.LBB95_283:
	s_and_saveexec_b32 s4, s1
	s_cbranch_execz .LBB95_287
; %bb.284:
	v_add_nc_u32_e64 v71, 0, 24
	v_add_nc_u32_e32 v72, -3, v0
	s_movk_i32 s5, 0x118
	s_mov_b32 s1, 0
.LBB95_285:                             ; =>This Inner Loop Header: Depth=1
	scratch_load_b64 v[73:74], v71, off
	v_dual_mov_b32 v75, s5 :: v_dual_add_nc_u32 v72, -1, v72
	v_add_nc_u32_e32 v71, 8, v71
	s_add_i32 s5, s5, 8
	ds_load_b64 v[75:76], v75
	v_cmp_eq_u32_e32 vcc_lo, 0, v72
	s_or_b32 s1, vcc_lo, s1
	s_waitcnt vmcnt(0) lgkmcnt(0)
	v_fma_f64 v[65:66], v[73:74], v[75:76], v[65:66]
	s_and_not1_b32 exec_lo, exec_lo, s1
	s_cbranch_execnz .LBB95_285
; %bb.286:
	s_or_b32 exec_lo, exec_lo, s1
.LBB95_287:
	s_delay_alu instid0(SALU_CYCLE_1)
	s_or_b32 exec_lo, exec_lo, s4
	v_mov_b32_e32 v71, 0
	ds_load_b64 v[71:72], v71 offset:16
	s_waitcnt lgkmcnt(0)
	v_mul_f64 v[65:66], v[65:66], v[71:72]
	scratch_store_b64 off, v[65:66], off offset:16
.LBB95_288:
	s_or_b32 exec_lo, exec_lo, s3
	scratch_load_b64 v[65:66], off, off offset:8
	v_cmp_lt_u32_e64 s1, 1, v0
	s_waitcnt vmcnt(0)
	ds_store_b64 v68, v[65:66]
	s_waitcnt lgkmcnt(0)
	s_waitcnt_vscnt null, 0x0
	s_barrier
	buffer_gl0_inv
	s_and_saveexec_b32 s3, s1
	s_cbranch_execz .LBB95_298
; %bb.289:
	s_and_not1_b32 vcc_lo, exec_lo, s2
	s_cbranch_vccnz .LBB95_291
; %bb.290:
	scratch_load_b64 v[65:66], v69, off
	ds_load_b64 v[71:72], v68
	s_waitcnt vmcnt(0) lgkmcnt(0)
	v_mul_f64 v[65:66], v[65:66], v[71:72]
	s_cbranch_execz .LBB95_292
	s_branch .LBB95_293
.LBB95_291:
                                        ; implicit-def: $vgpr65_vgpr66
.LBB95_292:
	ds_load_b64 v[65:66], v68
.LBB95_293:
	s_and_saveexec_b32 s4, s0
	s_cbranch_execz .LBB95_297
; %bb.294:
	v_add_nc_u32_e32 v71, -2, v0
	s_movk_i32 s5, 0x110
	s_mov_b32 s0, 0
.LBB95_295:                             ; =>This Inner Loop Header: Depth=1
	scratch_load_b64 v[72:73], v70, off
	v_dual_mov_b32 v74, s5 :: v_dual_add_nc_u32 v71, -1, v71
	v_add_nc_u32_e32 v70, 8, v70
	s_add_i32 s5, s5, 8
	ds_load_b64 v[74:75], v74
	v_cmp_eq_u32_e32 vcc_lo, 0, v71
	s_or_b32 s0, vcc_lo, s0
	s_waitcnt vmcnt(0) lgkmcnt(0)
	v_fma_f64 v[65:66], v[72:73], v[74:75], v[65:66]
	s_and_not1_b32 exec_lo, exec_lo, s0
	s_cbranch_execnz .LBB95_295
; %bb.296:
	s_or_b32 exec_lo, exec_lo, s0
.LBB95_297:
	s_delay_alu instid0(SALU_CYCLE_1)
	s_or_b32 exec_lo, exec_lo, s4
	v_mov_b32_e32 v70, 0
	ds_load_b64 v[70:71], v70 offset:8
	s_waitcnt lgkmcnt(0)
	v_mul_f64 v[65:66], v[65:66], v[70:71]
	scratch_store_b64 off, v[65:66], off offset:8
.LBB95_298:
	s_or_b32 exec_lo, exec_lo, s3
	scratch_load_b64 v[65:66], off, off
	s_mov_b32 s0, 0
	s_mov_b32 s3, exec_lo
	s_waitcnt vmcnt(0)
	ds_store_b64 v68, v[65:66]
	s_waitcnt lgkmcnt(0)
	s_waitcnt_vscnt null, 0x0
	s_barrier
	buffer_gl0_inv
	v_cmpx_ne_u32_e32 0, v0
	s_cbranch_execz .LBB95_308
; %bb.299:
	s_and_not1_b32 vcc_lo, exec_lo, s2
	s_cbranch_vccnz .LBB95_301
; %bb.300:
	scratch_load_b64 v[65:66], v69, off
	ds_load_b64 v[70:71], v68
	s_waitcnt vmcnt(0) lgkmcnt(0)
	v_mul_f64 v[65:66], v[65:66], v[70:71]
	s_cbranch_execz .LBB95_302
	s_branch .LBB95_303
.LBB95_301:
                                        ; implicit-def: $vgpr65_vgpr66
.LBB95_302:
	ds_load_b64 v[65:66], v68
.LBB95_303:
	s_and_saveexec_b32 s4, s1
	s_cbranch_execz .LBB95_307
; %bb.304:
	v_or_b32_e64 v70, 0, 8
	v_add_nc_u32_e32 v71, -1, v0
	s_movk_i32 s5, 0x108
	s_mov_b32 s1, 0
.LBB95_305:                             ; =>This Inner Loop Header: Depth=1
	scratch_load_b64 v[72:73], v70, off
	v_dual_mov_b32 v74, s5 :: v_dual_add_nc_u32 v71, -1, v71
	v_add_nc_u32_e32 v70, 8, v70
	s_add_i32 s5, s5, 8
	ds_load_b64 v[74:75], v74
	v_cmp_eq_u32_e32 vcc_lo, 0, v71
	s_or_b32 s1, vcc_lo, s1
	s_waitcnt vmcnt(0) lgkmcnt(0)
	v_fma_f64 v[65:66], v[72:73], v[74:75], v[65:66]
	s_and_not1_b32 exec_lo, exec_lo, s1
	s_cbranch_execnz .LBB95_305
; %bb.306:
	s_or_b32 exec_lo, exec_lo, s1
.LBB95_307:
	s_delay_alu instid0(SALU_CYCLE_1)
	s_or_b32 exec_lo, exec_lo, s4
	v_mov_b32_e32 v70, 0
	ds_load_b64 v[70:71], v70
	s_waitcnt lgkmcnt(0)
	v_mul_f64 v[65:66], v[65:66], v[70:71]
	scratch_store_b64 off, v[65:66], off
.LBB95_308:
	s_or_b32 exec_lo, exec_lo, s3
.LBB95_309:
	s_delay_alu instid0(SALU_CYCLE_1)
	s_and_b32 vcc_lo, exec_lo, s0
	s_cbranch_vccz .LBB95_615
; %bb.310:
	scratch_load_b64 v[65:66], off, off offset:8
	v_cmp_eq_u32_e64 s0, 0, v0
	s_waitcnt vmcnt(0)
	ds_store_b64 v68, v[65:66]
	s_waitcnt lgkmcnt(0)
	s_waitcnt_vscnt null, 0x0
	s_barrier
	buffer_gl0_inv
	s_and_saveexec_b32 s1, s0
	s_cbranch_execz .LBB95_316
; %bb.311:
	s_and_b32 vcc_lo, exec_lo, s2
	s_cbranch_vccz .LBB95_313
; %bb.312:
	scratch_load_b64 v[65:66], v69, off
	ds_load_b64 v[70:71], v68
	s_waitcnt vmcnt(0) lgkmcnt(0)
	v_mul_f64 v[65:66], v[65:66], v[70:71]
	s_cbranch_execz .LBB95_314
	s_branch .LBB95_315
.LBB95_313:
                                        ; implicit-def: $vgpr65_vgpr66
.LBB95_314:
	ds_load_b64 v[65:66], v68
.LBB95_315:
	v_mov_b32_e32 v70, 0
	ds_load_b64 v[70:71], v70 offset:8
	s_waitcnt lgkmcnt(0)
	v_mul_f64 v[65:66], v[65:66], v[70:71]
	scratch_store_b64 off, v[65:66], off offset:8
.LBB95_316:
	s_or_b32 exec_lo, exec_lo, s1
	scratch_load_b64 v[65:66], off, off offset:16
	v_cndmask_b32_e64 v70, 0, 1, s2
	s_mov_b32 s1, exec_lo
	s_waitcnt vmcnt(0)
	ds_store_b64 v68, v[65:66]
	s_waitcnt lgkmcnt(0)
	s_waitcnt_vscnt null, 0x0
	s_barrier
	buffer_gl0_inv
	v_cmpx_gt_u32_e32 2, v0
	s_cbranch_execz .LBB95_324
; %bb.317:
	s_and_not1_b32 vcc_lo, exec_lo, s2
	s_cbranch_vccnz .LBB95_319
; %bb.318:
	scratch_load_b64 v[65:66], v69, off
	ds_load_b64 v[71:72], v68
	s_waitcnt vmcnt(0) lgkmcnt(0)
	v_mul_f64 v[65:66], v[65:66], v[71:72]
	s_cbranch_execz .LBB95_320
	s_branch .LBB95_321
.LBB95_319:
                                        ; implicit-def: $vgpr65_vgpr66
.LBB95_320:
	ds_load_b64 v[65:66], v68
.LBB95_321:
	s_and_saveexec_b32 s2, s0
	s_cbranch_execz .LBB95_323
; %bb.322:
	scratch_load_b64 v[71:72], v69, off offset:8
	ds_load_b64 v[73:74], v68 offset:8
	s_waitcnt vmcnt(0) lgkmcnt(0)
	v_fma_f64 v[65:66], v[71:72], v[73:74], v[65:66]
.LBB95_323:
	s_or_b32 exec_lo, exec_lo, s2
	v_mov_b32_e32 v71, 0
	ds_load_b64 v[71:72], v71 offset:16
	s_waitcnt lgkmcnt(0)
	v_mul_f64 v[65:66], v[65:66], v[71:72]
	scratch_store_b64 off, v[65:66], off offset:16
.LBB95_324:
	s_or_b32 exec_lo, exec_lo, s1
	scratch_load_b64 v[65:66], off, off offset:24
	s_mov_b32 s1, exec_lo
	s_waitcnt vmcnt(0)
	ds_store_b64 v68, v[65:66]
	s_waitcnt lgkmcnt(0)
	s_waitcnt_vscnt null, 0x0
	s_barrier
	buffer_gl0_inv
	v_cmpx_gt_u32_e32 3, v0
	s_cbranch_execz .LBB95_334
; %bb.325:
	v_cmp_ne_u32_e32 vcc_lo, 1, v70
	s_cbranch_vccnz .LBB95_327
; %bb.326:
	scratch_load_b64 v[65:66], v69, off
	ds_load_b64 v[71:72], v68
	s_waitcnt vmcnt(0) lgkmcnt(0)
	v_mul_f64 v[65:66], v[65:66], v[71:72]
	s_cbranch_execz .LBB95_328
	s_branch .LBB95_329
.LBB95_327:
                                        ; implicit-def: $vgpr65_vgpr66
.LBB95_328:
	ds_load_b64 v[65:66], v68
.LBB95_329:
	s_mov_b32 s2, exec_lo
	v_cmpx_ne_u32_e32 2, v0
	s_cbranch_execz .LBB95_333
; %bb.330:
	scratch_load_b64 v[71:72], v69, off offset:8
	ds_load_b64 v[73:74], v68 offset:8
	s_waitcnt vmcnt(0) lgkmcnt(0)
	v_fma_f64 v[65:66], v[71:72], v[73:74], v[65:66]
	s_and_saveexec_b32 s3, s0
	s_cbranch_execz .LBB95_332
; %bb.331:
	scratch_load_b64 v[71:72], off, off offset:16
	v_mov_b32_e32 v73, 0
	ds_load_b64 v[73:74], v73 offset:272
	s_waitcnt vmcnt(0) lgkmcnt(0)
	v_fma_f64 v[65:66], v[71:72], v[73:74], v[65:66]
.LBB95_332:
	s_or_b32 exec_lo, exec_lo, s3
.LBB95_333:
	s_delay_alu instid0(SALU_CYCLE_1)
	s_or_b32 exec_lo, exec_lo, s2
	v_mov_b32_e32 v71, 0
	ds_load_b64 v[71:72], v71 offset:24
	s_waitcnt lgkmcnt(0)
	v_mul_f64 v[65:66], v[65:66], v[71:72]
	scratch_store_b64 off, v[65:66], off offset:24
.LBB95_334:
	s_or_b32 exec_lo, exec_lo, s1
	scratch_load_b64 v[65:66], off, off offset:32
	s_mov_b32 s0, exec_lo
	s_waitcnt vmcnt(0)
	ds_store_b64 v68, v[65:66]
	s_waitcnt lgkmcnt(0)
	s_waitcnt_vscnt null, 0x0
	s_barrier
	buffer_gl0_inv
	v_cmpx_gt_u32_e32 4, v0
	s_cbranch_execz .LBB95_344
; %bb.335:
	v_cmp_ne_u32_e32 vcc_lo, 1, v70
	s_cbranch_vccnz .LBB95_337
; %bb.336:
	scratch_load_b64 v[65:66], v69, off
	ds_load_b64 v[71:72], v68
	s_waitcnt vmcnt(0) lgkmcnt(0)
	v_mul_f64 v[65:66], v[65:66], v[71:72]
	s_cbranch_execz .LBB95_338
	s_branch .LBB95_339
.LBB95_337:
                                        ; implicit-def: $vgpr65_vgpr66
.LBB95_338:
	ds_load_b64 v[65:66], v68
.LBB95_339:
	s_mov_b32 s1, exec_lo
	v_cmpx_ne_u32_e32 3, v0
	s_cbranch_execz .LBB95_343
; %bb.340:
	v_add_nc_u32_e32 v71, 0x108, v67
	v_add3_u32 v72, 0, v67, 8
	v_mov_b32_e32 v73, v0
	s_mov_b32 s2, 0
.LBB95_341:                             ; =>This Inner Loop Header: Depth=1
	scratch_load_b64 v[74:75], v72, off
	ds_load_b64 v[76:77], v71
	v_add_nc_u32_e32 v73, 1, v73
	v_add_nc_u32_e32 v71, 8, v71
	v_add_nc_u32_e32 v72, 8, v72
	s_delay_alu instid0(VALU_DEP_3)
	v_cmp_lt_u32_e32 vcc_lo, 2, v73
	s_or_b32 s2, vcc_lo, s2
	s_waitcnt vmcnt(0) lgkmcnt(0)
	v_fma_f64 v[65:66], v[74:75], v[76:77], v[65:66]
	s_and_not1_b32 exec_lo, exec_lo, s2
	s_cbranch_execnz .LBB95_341
; %bb.342:
	s_or_b32 exec_lo, exec_lo, s2
.LBB95_343:
	s_delay_alu instid0(SALU_CYCLE_1)
	s_or_b32 exec_lo, exec_lo, s1
	v_mov_b32_e32 v71, 0
	ds_load_b64 v[71:72], v71 offset:32
	s_waitcnt lgkmcnt(0)
	v_mul_f64 v[65:66], v[65:66], v[71:72]
	scratch_store_b64 off, v[65:66], off offset:32
.LBB95_344:
	s_or_b32 exec_lo, exec_lo, s0
	scratch_load_b64 v[65:66], off, off offset:40
	s_mov_b32 s0, exec_lo
	s_waitcnt vmcnt(0)
	ds_store_b64 v68, v[65:66]
	s_waitcnt lgkmcnt(0)
	s_waitcnt_vscnt null, 0x0
	s_barrier
	buffer_gl0_inv
	v_cmpx_gt_u32_e32 5, v0
	s_cbranch_execz .LBB95_354
; %bb.345:
	v_cmp_ne_u32_e32 vcc_lo, 1, v70
	s_cbranch_vccnz .LBB95_347
; %bb.346:
	scratch_load_b64 v[65:66], v69, off
	ds_load_b64 v[71:72], v68
	s_waitcnt vmcnt(0) lgkmcnt(0)
	v_mul_f64 v[65:66], v[65:66], v[71:72]
	s_cbranch_execz .LBB95_348
	s_branch .LBB95_349
.LBB95_347:
                                        ; implicit-def: $vgpr65_vgpr66
.LBB95_348:
	ds_load_b64 v[65:66], v68
.LBB95_349:
	s_mov_b32 s1, exec_lo
	v_cmpx_ne_u32_e32 4, v0
	s_cbranch_execz .LBB95_353
; %bb.350:
	v_add_nc_u32_e32 v71, 0x108, v67
	v_add3_u32 v72, 0, v67, 8
	v_mov_b32_e32 v73, v0
	s_mov_b32 s2, 0
.LBB95_351:                             ; =>This Inner Loop Header: Depth=1
	scratch_load_b64 v[74:75], v72, off
	ds_load_b64 v[76:77], v71
	v_add_nc_u32_e32 v73, 1, v73
	v_add_nc_u32_e32 v71, 8, v71
	v_add_nc_u32_e32 v72, 8, v72
	s_delay_alu instid0(VALU_DEP_3)
	v_cmp_lt_u32_e32 vcc_lo, 3, v73
	s_or_b32 s2, vcc_lo, s2
	s_waitcnt vmcnt(0) lgkmcnt(0)
	v_fma_f64 v[65:66], v[74:75], v[76:77], v[65:66]
	s_and_not1_b32 exec_lo, exec_lo, s2
	s_cbranch_execnz .LBB95_351
; %bb.352:
	s_or_b32 exec_lo, exec_lo, s2
.LBB95_353:
	s_delay_alu instid0(SALU_CYCLE_1)
	s_or_b32 exec_lo, exec_lo, s1
	v_mov_b32_e32 v71, 0
	ds_load_b64 v[71:72], v71 offset:40
	s_waitcnt lgkmcnt(0)
	v_mul_f64 v[65:66], v[65:66], v[71:72]
	scratch_store_b64 off, v[65:66], off offset:40
.LBB95_354:
	;; [unrolled: 58-line block ×26, first 2 shown]
	s_or_b32 exec_lo, exec_lo, s0
	scratch_load_b64 v[65:66], off, off offset:240
	v_cmp_gt_u32_e64 s0, 30, v0
	s_waitcnt vmcnt(0)
	ds_store_b64 v68, v[65:66]
	s_waitcnt lgkmcnt(0)
	s_waitcnt_vscnt null, 0x0
	s_barrier
	buffer_gl0_inv
	s_and_saveexec_b32 s1, s0
	s_cbranch_execz .LBB95_604
; %bb.595:
	v_cmp_ne_u32_e32 vcc_lo, 1, v70
	s_cbranch_vccnz .LBB95_597
; %bb.596:
	scratch_load_b64 v[65:66], v69, off
	ds_load_b64 v[71:72], v68
	s_waitcnt vmcnt(0) lgkmcnt(0)
	v_mul_f64 v[65:66], v[65:66], v[71:72]
	s_cbranch_execz .LBB95_598
	s_branch .LBB95_599
.LBB95_597:
                                        ; implicit-def: $vgpr65_vgpr66
.LBB95_598:
	ds_load_b64 v[65:66], v68
.LBB95_599:
	s_mov_b32 s2, exec_lo
	v_cmpx_ne_u32_e32 29, v0
	s_cbranch_execz .LBB95_603
; %bb.600:
	v_add_nc_u32_e32 v71, 0x108, v67
	v_add3_u32 v72, 0, v67, 8
	v_mov_b32_e32 v73, v0
	s_mov_b32 s3, 0
.LBB95_601:                             ; =>This Inner Loop Header: Depth=1
	scratch_load_b64 v[74:75], v72, off
	ds_load_b64 v[76:77], v71
	v_add_nc_u32_e32 v73, 1, v73
	v_add_nc_u32_e32 v71, 8, v71
	v_add_nc_u32_e32 v72, 8, v72
	s_delay_alu instid0(VALU_DEP_3)
	v_cmp_lt_u32_e32 vcc_lo, 28, v73
	s_or_b32 s3, vcc_lo, s3
	s_waitcnt vmcnt(0) lgkmcnt(0)
	v_fma_f64 v[65:66], v[74:75], v[76:77], v[65:66]
	s_and_not1_b32 exec_lo, exec_lo, s3
	s_cbranch_execnz .LBB95_601
; %bb.602:
	s_or_b32 exec_lo, exec_lo, s3
.LBB95_603:
	s_delay_alu instid0(SALU_CYCLE_1)
	s_or_b32 exec_lo, exec_lo, s2
	v_mov_b32_e32 v71, 0
	ds_load_b64 v[71:72], v71 offset:240
	s_waitcnt lgkmcnt(0)
	v_mul_f64 v[65:66], v[65:66], v[71:72]
	scratch_store_b64 off, v[65:66], off offset:240
.LBB95_604:
	s_or_b32 exec_lo, exec_lo, s1
	scratch_load_b64 v[65:66], off, off offset:248
	s_mov_b32 s1, exec_lo
	s_waitcnt vmcnt(0)
	ds_store_b64 v68, v[65:66]
	s_waitcnt lgkmcnt(0)
	s_waitcnt_vscnt null, 0x0
	s_barrier
	buffer_gl0_inv
	v_cmpx_ne_u32_e32 31, v0
	s_cbranch_execz .LBB95_614
; %bb.605:
	v_cmp_ne_u32_e32 vcc_lo, 1, v70
	s_cbranch_vccnz .LBB95_607
; %bb.606:
	scratch_load_b64 v[65:66], v69, off
	ds_load_b64 v[69:70], v68
	s_waitcnt vmcnt(0) lgkmcnt(0)
	v_mul_f64 v[65:66], v[65:66], v[69:70]
	s_cbranch_execz .LBB95_608
	s_branch .LBB95_609
.LBB95_607:
                                        ; implicit-def: $vgpr65_vgpr66
.LBB95_608:
	ds_load_b64 v[65:66], v68
.LBB95_609:
	s_and_saveexec_b32 s2, s0
	s_cbranch_execz .LBB95_613
; %bb.610:
	v_add_nc_u32_e32 v68, 0x108, v67
	v_add3_u32 v67, 0, v67, 8
	s_mov_b32 s0, 0
.LBB95_611:                             ; =>This Inner Loop Header: Depth=1
	scratch_load_b64 v[69:70], v67, off
	ds_load_b64 v[71:72], v68
	v_add_nc_u32_e32 v0, 1, v0
	v_add_nc_u32_e32 v68, 8, v68
	;; [unrolled: 1-line block ×3, first 2 shown]
	s_delay_alu instid0(VALU_DEP_3)
	v_cmp_lt_u32_e32 vcc_lo, 29, v0
	s_or_b32 s0, vcc_lo, s0
	s_waitcnt vmcnt(0) lgkmcnt(0)
	v_fma_f64 v[65:66], v[69:70], v[71:72], v[65:66]
	s_and_not1_b32 exec_lo, exec_lo, s0
	s_cbranch_execnz .LBB95_611
; %bb.612:
	s_or_b32 exec_lo, exec_lo, s0
.LBB95_613:
	s_delay_alu instid0(SALU_CYCLE_1)
	s_or_b32 exec_lo, exec_lo, s2
	v_mov_b32_e32 v0, 0
	ds_load_b64 v[67:68], v0 offset:248
	s_waitcnt lgkmcnt(0)
	v_mul_f64 v[65:66], v[65:66], v[67:68]
	scratch_store_b64 off, v[65:66], off offset:248
.LBB95_614:
	s_or_b32 exec_lo, exec_lo, s1
.LBB95_615:
	s_clause 0x7
	scratch_load_b128 v[65:68], off, off
	scratch_load_b128 v[69:72], off, off offset:16
	scratch_load_b128 v[73:76], off, off offset:32
	;; [unrolled: 1-line block ×7, first 2 shown]
	s_waitcnt vmcnt(7)
	s_clause 0x1
	global_store_b64 v[11:12], v[65:66], off
	global_store_b64 v[5:6], v[67:68], off
	scratch_load_b128 v[65:68], off, off offset:112
	s_waitcnt vmcnt(7)
	s_clause 0x1
	global_store_b64 v[17:18], v[69:70], off
	global_store_b64 v[9:10], v[71:72], off
	scratch_load_b128 v[9:12], off, off offset:144
	s_waitcnt vmcnt(7)
	global_store_b64 v[3:4], v[73:74], off
	s_clause 0x1
	scratch_load_b128 v[3:6], off, off offset:160
	scratch_load_b128 v[69:72], off, off offset:176
	global_store_b64 v[1:2], v[75:76], off
	s_waitcnt vmcnt(8)
	global_store_b64 v[19:20], v[77:78], off
	s_clause 0x1
	scratch_load_b128 v[17:20], off, off offset:192
	scratch_load_b128 v[73:76], off, off offset:208
	global_store_b64 v[15:16], v[79:80], off
	;; [unrolled: 6-line block ×3, first 2 shown]
	s_waitcnt vmcnt(10)
	s_clause 0x1
	global_store_b64 v[23:24], v[85:86], off
	global_store_b64 v[25:26], v[87:88], off
	s_waitcnt vmcnt(9)
	s_clause 0x1
	global_store_b64 v[27:28], v[89:90], off
	global_store_b64 v[29:30], v[91:92], off
	;; [unrolled: 4-line block ×3, first 2 shown]
	global_store_b64 v[35:36], v[93:94], off
	global_store_b64 v[37:38], v[95:96], off
	s_waitcnt vmcnt(6)
	s_clause 0x1
	global_store_b64 v[39:40], v[9:10], off
	global_store_b64 v[41:42], v[11:12], off
	s_waitcnt vmcnt(5)
	s_clause 0x1
	;; [unrolled: 4-line block ×7, first 2 shown]
	global_store_b64 v[57:58], v[77:78], off
	global_store_b64 v[21:22], v[79:80], off
.LBB95_616:
	s_endpgm
	.section	.rodata,"a",@progbits
	.p2align	6, 0x0
	.amdhsa_kernel _ZN9rocsolver6v33100L18trti2_kernel_smallILi32EdPKPdEEv13rocblas_fill_17rocblas_diagonal_T1_iil
		.amdhsa_group_segment_fixed_size 512
		.amdhsa_private_segment_fixed_size 272
		.amdhsa_kernarg_size 32
		.amdhsa_user_sgpr_count 15
		.amdhsa_user_sgpr_dispatch_ptr 0
		.amdhsa_user_sgpr_queue_ptr 0
		.amdhsa_user_sgpr_kernarg_segment_ptr 1
		.amdhsa_user_sgpr_dispatch_id 0
		.amdhsa_user_sgpr_private_segment_size 0
		.amdhsa_wavefront_size32 1
		.amdhsa_uses_dynamic_stack 0
		.amdhsa_enable_private_segment 1
		.amdhsa_system_sgpr_workgroup_id_x 1
		.amdhsa_system_sgpr_workgroup_id_y 0
		.amdhsa_system_sgpr_workgroup_id_z 0
		.amdhsa_system_sgpr_workgroup_info 0
		.amdhsa_system_vgpr_workitem_id 0
		.amdhsa_next_free_vgpr 102
		.amdhsa_next_free_sgpr 16
		.amdhsa_reserve_vcc 1
		.amdhsa_float_round_mode_32 0
		.amdhsa_float_round_mode_16_64 0
		.amdhsa_float_denorm_mode_32 3
		.amdhsa_float_denorm_mode_16_64 3
		.amdhsa_dx10_clamp 1
		.amdhsa_ieee_mode 1
		.amdhsa_fp16_overflow 0
		.amdhsa_workgroup_processor_mode 1
		.amdhsa_memory_ordered 1
		.amdhsa_forward_progress 0
		.amdhsa_shared_vgpr_count 0
		.amdhsa_exception_fp_ieee_invalid_op 0
		.amdhsa_exception_fp_denorm_src 0
		.amdhsa_exception_fp_ieee_div_zero 0
		.amdhsa_exception_fp_ieee_overflow 0
		.amdhsa_exception_fp_ieee_underflow 0
		.amdhsa_exception_fp_ieee_inexact 0
		.amdhsa_exception_int_div_zero 0
	.end_amdhsa_kernel
	.section	.text._ZN9rocsolver6v33100L18trti2_kernel_smallILi32EdPKPdEEv13rocblas_fill_17rocblas_diagonal_T1_iil,"axG",@progbits,_ZN9rocsolver6v33100L18trti2_kernel_smallILi32EdPKPdEEv13rocblas_fill_17rocblas_diagonal_T1_iil,comdat
.Lfunc_end95:
	.size	_ZN9rocsolver6v33100L18trti2_kernel_smallILi32EdPKPdEEv13rocblas_fill_17rocblas_diagonal_T1_iil, .Lfunc_end95-_ZN9rocsolver6v33100L18trti2_kernel_smallILi32EdPKPdEEv13rocblas_fill_17rocblas_diagonal_T1_iil
                                        ; -- End function
	.section	.AMDGPU.csdata,"",@progbits
; Kernel info:
; codeLenInByte = 17316
; NumSgprs: 18
; NumVgprs: 102
; ScratchSize: 272
; MemoryBound: 0
; FloatMode: 240
; IeeeMode: 1
; LDSByteSize: 512 bytes/workgroup (compile time only)
; SGPRBlocks: 2
; VGPRBlocks: 12
; NumSGPRsForWavesPerEU: 18
; NumVGPRsForWavesPerEU: 102
; Occupancy: 12
; WaveLimiterHint : 1
; COMPUTE_PGM_RSRC2:SCRATCH_EN: 1
; COMPUTE_PGM_RSRC2:USER_SGPR: 15
; COMPUTE_PGM_RSRC2:TRAP_HANDLER: 0
; COMPUTE_PGM_RSRC2:TGID_X_EN: 1
; COMPUTE_PGM_RSRC2:TGID_Y_EN: 0
; COMPUTE_PGM_RSRC2:TGID_Z_EN: 0
; COMPUTE_PGM_RSRC2:TIDIG_COMP_CNT: 0
	.section	.text._ZN9rocsolver6v33100L18trti2_kernel_smallILi33EdPKPdEEv13rocblas_fill_17rocblas_diagonal_T1_iil,"axG",@progbits,_ZN9rocsolver6v33100L18trti2_kernel_smallILi33EdPKPdEEv13rocblas_fill_17rocblas_diagonal_T1_iil,comdat
	.globl	_ZN9rocsolver6v33100L18trti2_kernel_smallILi33EdPKPdEEv13rocblas_fill_17rocblas_diagonal_T1_iil ; -- Begin function _ZN9rocsolver6v33100L18trti2_kernel_smallILi33EdPKPdEEv13rocblas_fill_17rocblas_diagonal_T1_iil
	.p2align	8
	.type	_ZN9rocsolver6v33100L18trti2_kernel_smallILi33EdPKPdEEv13rocblas_fill_17rocblas_diagonal_T1_iil,@function
_ZN9rocsolver6v33100L18trti2_kernel_smallILi33EdPKPdEEv13rocblas_fill_17rocblas_diagonal_T1_iil: ; @_ZN9rocsolver6v33100L18trti2_kernel_smallILi33EdPKPdEEv13rocblas_fill_17rocblas_diagonal_T1_iil
; %bb.0:
	s_mov_b32 s2, exec_lo
	v_cmpx_gt_u32_e32 33, v0
	s_cbranch_execz .LBB96_636
; %bb.1:
	s_clause 0x1
	s_load_b64 s[4:5], s[0:1], 0x10
	s_load_b128 s[0:3], s[0:1], 0x0
	s_mov_b32 s6, s15
	s_ashr_i32 s7, s15, 31
	v_mov_b32_e32 v67, 0
	s_lshl_b64 s[6:7], s[6:7], 3
	v_dual_mov_b32 v68, 0xbff00000 :: v_dual_lshlrev_b32 v69, 3, v0
	s_waitcnt lgkmcnt(0)
	s_ashr_i32 s9, s4, 31
	s_add_u32 s2, s2, s6
	s_addc_u32 s3, s3, s7
	v_add3_u32 v1, s5, s5, v0
	s_load_b64 s[2:3], s[2:3], 0x0
	s_mov_b32 s8, s4
	s_mov_b32 s6, s5
	s_lshl_b64 s[8:9], s[8:9], 3
	v_add_nc_u32_e32 v3, s5, v1
	v_ashrrev_i32_e32 v2, 31, v1
	s_delay_alu instid0(VALU_DEP_2) | instskip(SKIP_1) | instid1(VALU_DEP_3)
	v_add_nc_u32_e32 v5, s5, v3
	v_ashrrev_i32_e32 v4, 31, v3
	v_lshlrev_b64 v[1:2], 3, v[1:2]
	s_delay_alu instid0(VALU_DEP_3) | instskip(SKIP_1) | instid1(VALU_DEP_4)
	v_add_nc_u32_e32 v7, s5, v5
	v_ashrrev_i32_e32 v6, 31, v5
	v_lshlrev_b64 v[3:4], 3, v[3:4]
	s_delay_alu instid0(VALU_DEP_3)
	v_add_nc_u32_e32 v11, s5, v7
	s_waitcnt lgkmcnt(0)
	s_add_u32 s2, s2, s8
	v_lshlrev_b64 v[5:6], 3, v[5:6]
	s_addc_u32 s3, s3, s9
	v_add_co_u32 v15, vcc_lo, s2, v1
	v_ashrrev_i32_e32 v8, 31, v7
	v_add_co_ci_u32_e32 v16, vcc_lo, s3, v2, vcc_lo
	v_add_nc_u32_e32 v13, s5, v11
	v_add_co_u32 v9, vcc_lo, s2, v3
	v_add_co_u32 v21, s4, s2, v69
	s_ashr_i32 s7, s5, 31
	v_add_co_ci_u32_e32 v10, vcc_lo, s3, v4, vcc_lo
	v_lshlrev_b64 v[7:8], 3, v[7:8]
	v_add_co_ci_u32_e64 v22, null, s3, 0, s4
	v_add_co_u32 v5, vcc_lo, s2, v5
	s_lshl_b64 s[6:7], s[6:7], 3
	v_add_co_ci_u32_e32 v6, vcc_lo, s3, v6, vcc_lo
	v_add_nc_u32_e32 v3, s5, v13
	v_add_co_u32 v19, vcc_lo, v21, s6
	v_ashrrev_i32_e32 v12, 31, v11
	v_add_co_ci_u32_e32 v20, vcc_lo, s7, v22, vcc_lo
	v_add_co_u32 v1, vcc_lo, s2, v7
	v_ashrrev_i32_e32 v14, 31, v13
	v_add_nc_u32_e32 v17, s5, v3
	v_add_co_ci_u32_e32 v2, vcc_lo, s3, v8, vcc_lo
	v_lshlrev_b64 v[7:8], 3, v[11:12]
	v_ashrrev_i32_e32 v4, 31, v3
	v_lshlrev_b64 v[11:12], 3, v[13:14]
	v_ashrrev_i32_e32 v18, 31, v17
	s_clause 0x4
	global_load_b64 v[70:71], v69, s[2:3]
	global_load_b64 v[72:73], v[19:20], off
	global_load_b64 v[74:75], v[15:16], off
	;; [unrolled: 1-line block ×4, first 2 shown]
	v_add_co_u32 v13, vcc_lo, s2, v7
	v_lshlrev_b64 v[3:4], 3, v[3:4]
	v_add_co_ci_u32_e32 v14, vcc_lo, s3, v8, vcc_lo
	v_add_co_u32 v11, vcc_lo, s2, v11
	v_lshlrev_b64 v[23:24], 3, v[17:18]
	v_add_co_ci_u32_e32 v12, vcc_lo, s3, v12, vcc_lo
	v_add_co_u32 v7, vcc_lo, s2, v3
	v_add_co_ci_u32_e32 v8, vcc_lo, s3, v4, vcc_lo
	s_delay_alu instid0(VALU_DEP_4)
	v_add_co_u32 v3, vcc_lo, s2, v23
	v_add_co_ci_u32_e32 v4, vcc_lo, s3, v24, vcc_lo
	s_clause 0x4
	global_load_b64 v[80:81], v[1:2], off
	global_load_b64 v[82:83], v[13:14], off
	;; [unrolled: 1-line block ×5, first 2 shown]
	v_add_nc_u32_e32 v17, s5, v17
	s_cmpk_lg_i32 s1, 0x84
	s_delay_alu instid0(VALU_DEP_1) | instskip(SKIP_1) | instid1(VALU_DEP_2)
	v_add_nc_u32_e32 v23, s5, v17
	v_ashrrev_i32_e32 v18, 31, v17
	v_add_nc_u32_e32 v25, s5, v23
	v_ashrrev_i32_e32 v24, 31, v23
	s_delay_alu instid0(VALU_DEP_3) | instskip(NEXT) | instid1(VALU_DEP_3)
	v_lshlrev_b64 v[17:18], 3, v[17:18]
	v_add_nc_u32_e32 v27, s5, v25
	v_ashrrev_i32_e32 v26, 31, v25
	s_delay_alu instid0(VALU_DEP_4) | instskip(NEXT) | instid1(VALU_DEP_4)
	v_lshlrev_b64 v[23:24], 3, v[23:24]
	v_add_co_u32 v17, vcc_lo, s2, v17
	s_delay_alu instid0(VALU_DEP_4) | instskip(SKIP_3) | instid1(VALU_DEP_4)
	v_add_nc_u32_e32 v29, s5, v27
	v_ashrrev_i32_e32 v28, 31, v27
	v_lshlrev_b64 v[25:26], 3, v[25:26]
	v_add_co_ci_u32_e32 v18, vcc_lo, s3, v18, vcc_lo
	v_add_nc_u32_e32 v31, s5, v29
	v_ashrrev_i32_e32 v30, 31, v29
	v_add_co_u32 v23, vcc_lo, s2, v23
	v_lshlrev_b64 v[27:28], 3, v[27:28]
	s_delay_alu instid0(VALU_DEP_4) | instskip(SKIP_3) | instid1(VALU_DEP_4)
	v_add_nc_u32_e32 v33, s5, v31
	v_ashrrev_i32_e32 v32, 31, v31
	v_add_co_ci_u32_e32 v24, vcc_lo, s3, v24, vcc_lo
	v_add_co_u32 v25, vcc_lo, s2, v25
	v_add_nc_u32_e32 v35, s5, v33
	v_lshlrev_b64 v[29:30], 3, v[29:30]
	v_ashrrev_i32_e32 v34, 31, v33
	v_add_co_ci_u32_e32 v26, vcc_lo, s3, v26, vcc_lo
	s_delay_alu instid0(VALU_DEP_4) | instskip(SKIP_3) | instid1(VALU_DEP_4)
	v_add_nc_u32_e32 v37, s5, v35
	v_add_co_u32 v27, vcc_lo, s2, v27
	v_lshlrev_b64 v[31:32], 3, v[31:32]
	v_ashrrev_i32_e32 v36, 31, v35
	v_add_nc_u32_e32 v39, s5, v37
	v_add_co_ci_u32_e32 v28, vcc_lo, s3, v28, vcc_lo
	v_add_co_u32 v29, vcc_lo, s2, v29
	v_lshlrev_b64 v[33:34], 3, v[33:34]
	s_delay_alu instid0(VALU_DEP_4)
	v_add_nc_u32_e32 v41, s5, v39
	v_ashrrev_i32_e32 v38, 31, v37
	v_add_co_ci_u32_e32 v30, vcc_lo, s3, v30, vcc_lo
	v_add_co_u32 v31, vcc_lo, s2, v31
	v_lshlrev_b64 v[35:36], 3, v[35:36]
	v_ashrrev_i32_e32 v40, 31, v39
	v_add_co_ci_u32_e32 v32, vcc_lo, s3, v32, vcc_lo
	v_add_nc_u32_e32 v43, s5, v41
	v_add_co_u32 v33, vcc_lo, s2, v33
	v_lshlrev_b64 v[37:38], 3, v[37:38]
	v_ashrrev_i32_e32 v42, 31, v41
	v_add_co_ci_u32_e32 v34, vcc_lo, s3, v34, vcc_lo
	v_add_co_u32 v35, vcc_lo, s2, v35
	v_lshlrev_b64 v[39:40], 3, v[39:40]
	v_ashrrev_i32_e32 v44, 31, v43
	v_add_co_ci_u32_e32 v36, vcc_lo, s3, v36, vcc_lo
	v_add_co_u32 v37, vcc_lo, s2, v37
	v_lshlrev_b64 v[41:42], 3, v[41:42]
	v_add_co_ci_u32_e32 v38, vcc_lo, s3, v38, vcc_lo
	v_add_nc_u32_e32 v45, s5, v43
	v_add_co_u32 v39, vcc_lo, s2, v39
	v_lshlrev_b64 v[43:44], 3, v[43:44]
	v_add_co_ci_u32_e32 v40, vcc_lo, s3, v40, vcc_lo
	v_add_co_u32 v41, vcc_lo, s2, v41
	v_add_co_ci_u32_e32 v42, vcc_lo, s3, v42, vcc_lo
	s_delay_alu instid0(VALU_DEP_4) | instskip(SKIP_3) | instid1(VALU_DEP_2)
	v_add_co_u32 v43, vcc_lo, s2, v43
	v_add_co_ci_u32_e32 v44, vcc_lo, s3, v44, vcc_lo
	v_add_nc_u32_e32 v47, s5, v45
	v_ashrrev_i32_e32 v46, 31, v45
	v_add_nc_u32_e32 v49, s5, v47
	v_ashrrev_i32_e32 v48, 31, v47
	s_delay_alu instid0(VALU_DEP_3) | instskip(NEXT) | instid1(VALU_DEP_3)
	v_lshlrev_b64 v[45:46], 3, v[45:46]
	v_add_nc_u32_e32 v51, s5, v49
	v_ashrrev_i32_e32 v50, 31, v49
	s_delay_alu instid0(VALU_DEP_4) | instskip(NEXT) | instid1(VALU_DEP_4)
	v_lshlrev_b64 v[47:48], 3, v[47:48]
	v_add_co_u32 v45, vcc_lo, s2, v45
	s_delay_alu instid0(VALU_DEP_4) | instskip(SKIP_3) | instid1(VALU_DEP_4)
	v_add_nc_u32_e32 v53, s5, v51
	v_ashrrev_i32_e32 v52, 31, v51
	v_lshlrev_b64 v[49:50], 3, v[49:50]
	v_add_co_ci_u32_e32 v46, vcc_lo, s3, v46, vcc_lo
	v_add_nc_u32_e32 v55, s5, v53
	v_ashrrev_i32_e32 v54, 31, v53
	v_add_co_u32 v47, vcc_lo, s2, v47
	v_lshlrev_b64 v[51:52], 3, v[51:52]
	s_delay_alu instid0(VALU_DEP_4) | instskip(SKIP_3) | instid1(VALU_DEP_4)
	v_add_nc_u32_e32 v57, s5, v55
	v_ashrrev_i32_e32 v56, 31, v55
	v_add_co_ci_u32_e32 v48, vcc_lo, s3, v48, vcc_lo
	v_add_co_u32 v49, vcc_lo, s2, v49
	v_add_nc_u32_e32 v59, s5, v57
	v_lshlrev_b64 v[53:54], 3, v[53:54]
	v_ashrrev_i32_e32 v58, 31, v57
	v_add_co_ci_u32_e32 v50, vcc_lo, s3, v50, vcc_lo
	s_delay_alu instid0(VALU_DEP_4) | instskip(SKIP_3) | instid1(VALU_DEP_4)
	v_add_nc_u32_e32 v61, s5, v59
	v_add_co_u32 v51, vcc_lo, s2, v51
	v_lshlrev_b64 v[55:56], 3, v[55:56]
	v_ashrrev_i32_e32 v60, 31, v59
	v_add_nc_u32_e32 v63, s5, v61
	v_add_co_ci_u32_e32 v52, vcc_lo, s3, v52, vcc_lo
	v_add_co_u32 v53, vcc_lo, s2, v53
	v_lshlrev_b64 v[57:58], 3, v[57:58]
	v_ashrrev_i32_e32 v62, 31, v61
	v_add_co_ci_u32_e32 v54, vcc_lo, s3, v54, vcc_lo
	v_add_nc_u32_e32 v65, s5, v63
	v_add_co_u32 v55, vcc_lo, s2, v55
	v_lshlrev_b64 v[59:60], 3, v[59:60]
	v_ashrrev_i32_e32 v64, 31, v63
	v_add_co_ci_u32_e32 v56, vcc_lo, s3, v56, vcc_lo
	v_add_co_u32 v57, vcc_lo, s2, v57
	v_lshlrev_b64 v[61:62], 3, v[61:62]
	v_ashrrev_i32_e32 v66, 31, v65
	v_add_co_ci_u32_e32 v58, vcc_lo, s3, v58, vcc_lo
	v_add_co_u32 v59, vcc_lo, s2, v59
	v_lshlrev_b64 v[63:64], 3, v[63:64]
	v_add_co_ci_u32_e32 v60, vcc_lo, s3, v60, vcc_lo
	v_add_co_u32 v61, vcc_lo, s2, v61
	v_lshlrev_b64 v[65:66], 3, v[65:66]
	v_add_co_ci_u32_e32 v62, vcc_lo, s3, v62, vcc_lo
	v_add_co_u32 v63, vcc_lo, s2, v63
	v_add_co_ci_u32_e32 v64, vcc_lo, s3, v64, vcc_lo
	s_delay_alu instid0(VALU_DEP_4)
	v_add_co_u32 v65, vcc_lo, s2, v65
	v_add_co_ci_u32_e32 v66, vcc_lo, s3, v66, vcc_lo
	s_cselect_b32 s2, -1, 0
	s_cmpk_eq_i32 s1, 0x84
	s_waitcnt vmcnt(8)
	scratch_store_b128 off, v[70:73], off
	s_clause 0x2
	global_load_b64 v[70:71], v[17:18], off
	global_load_b64 v[72:73], v[23:24], off
	;; [unrolled: 1-line block ×3, first 2 shown]
	s_waitcnt vmcnt(9)
	scratch_store_b128 off, v[74:77], off offset:16
	global_load_b64 v[92:93], v[27:28], off
	s_waitcnt vmcnt(8)
	scratch_store_b128 off, v[78:81], off offset:32
	s_clause 0x3
	global_load_b64 v[74:75], v[29:30], off
	global_load_b64 v[76:77], v[31:32], off
	global_load_b64 v[78:79], v[33:34], off
	global_load_b64 v[80:81], v[35:36], off
	s_waitcnt vmcnt(10)
	scratch_store_b128 off, v[82:85], off offset:48
	s_waitcnt vmcnt(8)
	scratch_store_b128 off, v[86:89], off offset:64
	s_clause 0x3
	global_load_b64 v[82:83], v[37:38], off
	global_load_b64 v[84:85], v[39:40], off
	;; [unrolled: 1-line block ×4, first 2 shown]
	s_waitcnt vmcnt(10)
	scratch_store_b128 off, v[70:73], off offset:80
	s_waitcnt vmcnt(8)
	scratch_store_b128 off, v[90:93], off offset:96
	s_clause 0x2
	global_load_b64 v[70:71], v[45:46], off
	global_load_b64 v[72:73], v[47:48], off
	;; [unrolled: 1-line block ×3, first 2 shown]
	s_waitcnt vmcnt(9)
	scratch_store_b128 off, v[74:77], off offset:112
	s_waitcnt vmcnt(7)
	scratch_store_b128 off, v[78:81], off offset:128
	s_clause 0x3
	global_load_b64 v[92:93], v[51:52], off
	global_load_b64 v[74:75], v[53:54], off
	;; [unrolled: 1-line block ×4, first 2 shown]
	s_waitcnt vmcnt(9)
	scratch_store_b128 off, v[82:85], off offset:144
	s_waitcnt vmcnt(7)
	scratch_store_b128 off, v[86:89], off offset:160
	s_clause 0x3
	global_load_b64 v[80:81], v[59:60], off
	global_load_b64 v[82:83], v[61:62], off
	;; [unrolled: 1-line block ×4, first 2 shown]
	s_waitcnt vmcnt(9)
	scratch_store_b128 off, v[70:73], off offset:176
	s_waitcnt vmcnt(7)
	scratch_store_b128 off, v[90:93], off offset:192
	;; [unrolled: 2-line block ×5, first 2 shown]
	s_waitcnt vmcnt(0)
	scratch_store_b64 off, v[86:87], off offset:256
	s_cbranch_scc1 .LBB96_3
; %bb.2:
	scratch_load_b64 v[67:68], v69, off
	s_waitcnt vmcnt(0)
	v_div_scale_f64 v[70:71], null, v[67:68], v[67:68], 1.0
	v_div_scale_f64 v[76:77], vcc_lo, 1.0, v[67:68], 1.0
	s_delay_alu instid0(VALU_DEP_2) | instskip(SKIP_2) | instid1(VALU_DEP_1)
	v_rcp_f64_e32 v[72:73], v[70:71]
	s_waitcnt_depctr 0xfff
	v_fma_f64 v[74:75], -v[70:71], v[72:73], 1.0
	v_fma_f64 v[72:73], v[72:73], v[74:75], v[72:73]
	s_delay_alu instid0(VALU_DEP_1) | instskip(NEXT) | instid1(VALU_DEP_1)
	v_fma_f64 v[74:75], -v[70:71], v[72:73], 1.0
	v_fma_f64 v[72:73], v[72:73], v[74:75], v[72:73]
	s_delay_alu instid0(VALU_DEP_1) | instskip(NEXT) | instid1(VALU_DEP_1)
	v_mul_f64 v[74:75], v[76:77], v[72:73]
	v_fma_f64 v[70:71], -v[70:71], v[74:75], v[76:77]
	s_delay_alu instid0(VALU_DEP_1) | instskip(NEXT) | instid1(VALU_DEP_1)
	v_div_fmas_f64 v[70:71], v[70:71], v[72:73], v[74:75]
	v_div_fixup_f64 v[67:68], v[70:71], v[67:68], 1.0
	scratch_store_b64 v69, v[67:68], off
	v_xor_b32_e32 v68, 0x80000000, v68
.LBB96_3:
	v_add_nc_u32_e32 v70, 0x110, v69
	v_add_nc_u32_e32 v71, 0, v69
	s_cmpk_eq_i32 s0, 0x79
	s_mov_b32 s0, -1
	ds_store_b64 v69, v[67:68]
	s_cbranch_scc1 .LBB96_319
; %bb.4:
	scratch_load_b64 v[67:68], off, off offset:248
	v_cmp_eq_u32_e64 s1, 32, v0
	s_movk_i32 s0, 0x50
	s_movk_i32 s3, 0x60
	;; [unrolled: 1-line block ×11, first 2 shown]
	s_waitcnt vmcnt(0)
	ds_store_b64 v70, v[67:68]
	s_waitcnt lgkmcnt(0)
	s_waitcnt_vscnt null, 0x0
	s_barrier
	buffer_gl0_inv
	s_and_saveexec_b32 s13, s1
	s_cbranch_execz .LBB96_10
; %bb.5:
	s_and_b32 vcc_lo, exec_lo, s2
	s_cbranch_vccz .LBB96_7
; %bb.6:
	scratch_load_b64 v[67:68], v71, off
	ds_load_b64 v[72:73], v70
	s_waitcnt vmcnt(0) lgkmcnt(0)
	v_mul_f64 v[67:68], v[67:68], v[72:73]
	s_cbranch_execz .LBB96_8
	s_branch .LBB96_9
.LBB96_7:
                                        ; implicit-def: $vgpr67_vgpr68
.LBB96_8:
	ds_load_b64 v[67:68], v70
.LBB96_9:
	v_mov_b32_e32 v72, 0
	ds_load_b64 v[72:73], v72 offset:248
	s_waitcnt lgkmcnt(0)
	v_mul_f64 v[67:68], v[67:68], v[72:73]
	scratch_store_b64 off, v[67:68], off offset:248
.LBB96_10:
	s_or_b32 exec_lo, exec_lo, s13
	scratch_load_b64 v[67:68], off, off offset:240
	v_add_nc_u32_e64 v72, 0, 16
	v_add_nc_u32_e64 v73, 0, 32
	;; [unrolled: 1-line block ×15, first 2 shown]
	v_cmp_lt_u32_e64 s0, 30, v0
	s_waitcnt vmcnt(0)
	ds_store_b64 v70, v[67:68]
	s_waitcnt lgkmcnt(0)
	s_waitcnt_vscnt null, 0x0
	s_barrier
	buffer_gl0_inv
	s_and_saveexec_b32 s3, s0
	s_cbranch_execz .LBB96_18
; %bb.11:
	s_and_not1_b32 vcc_lo, exec_lo, s2
	s_cbranch_vccnz .LBB96_13
; %bb.12:
	scratch_load_b64 v[67:68], v71, off
	ds_load_b64 v[87:88], v70
	s_waitcnt vmcnt(0) lgkmcnt(0)
	v_mul_f64 v[67:68], v[67:68], v[87:88]
	s_cbranch_execz .LBB96_14
	s_branch .LBB96_15
.LBB96_13:
                                        ; implicit-def: $vgpr67_vgpr68
.LBB96_14:
	ds_load_b64 v[67:68], v70
.LBB96_15:
	s_and_saveexec_b32 s4, s1
	s_cbranch_execz .LBB96_17
; %bb.16:
	scratch_load_b64 v[87:88], off, off offset:248
	v_mov_b32_e32 v89, 0
	ds_load_b64 v[89:90], v89 offset:520
	s_waitcnt vmcnt(0) lgkmcnt(0)
	v_fma_f64 v[67:68], v[87:88], v[89:90], v[67:68]
.LBB96_17:
	s_or_b32 exec_lo, exec_lo, s4
	v_mov_b32_e32 v87, 0
	ds_load_b64 v[87:88], v87 offset:240
	s_waitcnt lgkmcnt(0)
	v_mul_f64 v[67:68], v[67:68], v[87:88]
	scratch_store_b64 off, v[67:68], off offset:240
.LBB96_18:
	s_or_b32 exec_lo, exec_lo, s3
	scratch_load_b64 v[67:68], off, off offset:232
	v_cmp_lt_u32_e64 s1, 29, v0
	s_waitcnt vmcnt(0)
	ds_store_b64 v70, v[67:68]
	s_waitcnt lgkmcnt(0)
	s_waitcnt_vscnt null, 0x0
	s_barrier
	buffer_gl0_inv
	s_and_saveexec_b32 s3, s1
	s_cbranch_execz .LBB96_28
; %bb.19:
	s_and_not1_b32 vcc_lo, exec_lo, s2
	s_cbranch_vccnz .LBB96_21
; %bb.20:
	scratch_load_b64 v[67:68], v71, off
	ds_load_b64 v[87:88], v70
	s_waitcnt vmcnt(0) lgkmcnt(0)
	v_mul_f64 v[67:68], v[67:68], v[87:88]
	s_cbranch_execz .LBB96_22
	s_branch .LBB96_23
.LBB96_21:
                                        ; implicit-def: $vgpr67_vgpr68
.LBB96_22:
	ds_load_b64 v[67:68], v70
.LBB96_23:
	s_and_saveexec_b32 s4, s0
	s_cbranch_execz .LBB96_27
; %bb.24:
	v_subrev_nc_u32_e32 v87, 30, v0
	s_movk_i32 s5, 0x200
	s_mov_b32 s0, 0
.LBB96_25:                              ; =>This Inner Loop Header: Depth=1
	scratch_load_b64 v[88:89], v86, off
	v_dual_mov_b32 v90, s5 :: v_dual_add_nc_u32 v87, -1, v87
	v_add_nc_u32_e32 v86, 8, v86
	s_add_i32 s5, s5, 8
	ds_load_b64 v[90:91], v90
	v_cmp_eq_u32_e32 vcc_lo, 0, v87
	s_or_b32 s0, vcc_lo, s0
	s_waitcnt vmcnt(0) lgkmcnt(0)
	v_fma_f64 v[67:68], v[88:89], v[90:91], v[67:68]
	s_and_not1_b32 exec_lo, exec_lo, s0
	s_cbranch_execnz .LBB96_25
; %bb.26:
	s_or_b32 exec_lo, exec_lo, s0
.LBB96_27:
	s_delay_alu instid0(SALU_CYCLE_1)
	s_or_b32 exec_lo, exec_lo, s4
	v_mov_b32_e32 v86, 0
	ds_load_b64 v[86:87], v86 offset:232
	s_waitcnt lgkmcnt(0)
	v_mul_f64 v[67:68], v[67:68], v[86:87]
	scratch_store_b64 off, v[67:68], off offset:232
.LBB96_28:
	s_or_b32 exec_lo, exec_lo, s3
	scratch_load_b64 v[67:68], off, off offset:224
	v_cmp_lt_u32_e64 s0, 28, v0
	s_waitcnt vmcnt(0)
	ds_store_b64 v70, v[67:68]
	s_waitcnt lgkmcnt(0)
	s_waitcnt_vscnt null, 0x0
	s_barrier
	buffer_gl0_inv
	s_and_saveexec_b32 s3, s0
	s_cbranch_execz .LBB96_38
; %bb.29:
	s_and_not1_b32 vcc_lo, exec_lo, s2
	s_cbranch_vccnz .LBB96_31
; %bb.30:
	scratch_load_b64 v[67:68], v71, off
	ds_load_b64 v[86:87], v70
	s_waitcnt vmcnt(0) lgkmcnt(0)
	v_mul_f64 v[67:68], v[67:68], v[86:87]
	s_cbranch_execz .LBB96_32
	s_branch .LBB96_33
.LBB96_31:
                                        ; implicit-def: $vgpr67_vgpr68
.LBB96_32:
	ds_load_b64 v[67:68], v70
.LBB96_33:
	s_and_saveexec_b32 s4, s1
	s_cbranch_execz .LBB96_37
; %bb.34:
	v_mov_b32_e32 v86, 0
	v_subrev_nc_u32_e32 v87, 29, v0
	s_movk_i32 s5, 0x1f8
	s_mov_b32 s1, 0
	s_delay_alu instid0(VALU_DEP_2)
	v_add_nc_u32_e32 v86, 0xe8, v86
.LBB96_35:                              ; =>This Inner Loop Header: Depth=1
	scratch_load_b64 v[88:89], v86, off
	v_dual_mov_b32 v90, s5 :: v_dual_add_nc_u32 v87, -1, v87
	v_add_nc_u32_e32 v86, 8, v86
	s_add_i32 s5, s5, 8
	ds_load_b64 v[90:91], v90
	v_cmp_eq_u32_e32 vcc_lo, 0, v87
	s_or_b32 s1, vcc_lo, s1
	s_waitcnt vmcnt(0) lgkmcnt(0)
	v_fma_f64 v[67:68], v[88:89], v[90:91], v[67:68]
	s_and_not1_b32 exec_lo, exec_lo, s1
	s_cbranch_execnz .LBB96_35
; %bb.36:
	s_or_b32 exec_lo, exec_lo, s1
.LBB96_37:
	s_delay_alu instid0(SALU_CYCLE_1)
	s_or_b32 exec_lo, exec_lo, s4
	v_mov_b32_e32 v86, 0
	ds_load_b64 v[86:87], v86 offset:224
	s_waitcnt lgkmcnt(0)
	v_mul_f64 v[67:68], v[67:68], v[86:87]
	scratch_store_b64 off, v[67:68], off offset:224
.LBB96_38:
	s_or_b32 exec_lo, exec_lo, s3
	scratch_load_b64 v[67:68], off, off offset:216
	v_cmp_lt_u32_e64 s1, 27, v0
	s_waitcnt vmcnt(0)
	ds_store_b64 v70, v[67:68]
	s_waitcnt lgkmcnt(0)
	s_waitcnt_vscnt null, 0x0
	s_barrier
	buffer_gl0_inv
	s_and_saveexec_b32 s3, s1
	s_cbranch_execz .LBB96_48
; %bb.39:
	s_and_not1_b32 vcc_lo, exec_lo, s2
	s_cbranch_vccnz .LBB96_41
; %bb.40:
	scratch_load_b64 v[67:68], v71, off
	ds_load_b64 v[86:87], v70
	s_waitcnt vmcnt(0) lgkmcnt(0)
	v_mul_f64 v[67:68], v[67:68], v[86:87]
	s_cbranch_execz .LBB96_42
	s_branch .LBB96_43
.LBB96_41:
                                        ; implicit-def: $vgpr67_vgpr68
.LBB96_42:
	ds_load_b64 v[67:68], v70
.LBB96_43:
	s_and_saveexec_b32 s4, s0
	s_cbranch_execz .LBB96_47
; %bb.44:
	v_subrev_nc_u32_e32 v86, 28, v0
	s_movk_i32 s5, 0x1f0
	s_mov_b32 s0, 0
.LBB96_45:                              ; =>This Inner Loop Header: Depth=1
	scratch_load_b64 v[87:88], v85, off
	v_dual_mov_b32 v89, s5 :: v_dual_add_nc_u32 v86, -1, v86
	v_add_nc_u32_e32 v85, 8, v85
	s_add_i32 s5, s5, 8
	ds_load_b64 v[89:90], v89
	v_cmp_eq_u32_e32 vcc_lo, 0, v86
	s_or_b32 s0, vcc_lo, s0
	s_waitcnt vmcnt(0) lgkmcnt(0)
	v_fma_f64 v[67:68], v[87:88], v[89:90], v[67:68]
	s_and_not1_b32 exec_lo, exec_lo, s0
	s_cbranch_execnz .LBB96_45
; %bb.46:
	s_or_b32 exec_lo, exec_lo, s0
.LBB96_47:
	s_delay_alu instid0(SALU_CYCLE_1)
	s_or_b32 exec_lo, exec_lo, s4
	v_mov_b32_e32 v85, 0
	ds_load_b64 v[85:86], v85 offset:216
	s_waitcnt lgkmcnt(0)
	v_mul_f64 v[67:68], v[67:68], v[85:86]
	scratch_store_b64 off, v[67:68], off offset:216
.LBB96_48:
	s_or_b32 exec_lo, exec_lo, s3
	scratch_load_b64 v[67:68], off, off offset:208
	v_cmp_lt_u32_e64 s0, 26, v0
	s_waitcnt vmcnt(0)
	ds_store_b64 v70, v[67:68]
	s_waitcnt lgkmcnt(0)
	s_waitcnt_vscnt null, 0x0
	s_barrier
	buffer_gl0_inv
	s_and_saveexec_b32 s3, s0
	s_cbranch_execz .LBB96_58
; %bb.49:
	s_and_not1_b32 vcc_lo, exec_lo, s2
	s_cbranch_vccnz .LBB96_51
; %bb.50:
	scratch_load_b64 v[67:68], v71, off
	ds_load_b64 v[85:86], v70
	s_waitcnt vmcnt(0) lgkmcnt(0)
	v_mul_f64 v[67:68], v[67:68], v[85:86]
	s_cbranch_execz .LBB96_52
	s_branch .LBB96_53
.LBB96_51:
                                        ; implicit-def: $vgpr67_vgpr68
.LBB96_52:
	ds_load_b64 v[67:68], v70
.LBB96_53:
	s_and_saveexec_b32 s4, s1
	s_cbranch_execz .LBB96_57
; %bb.54:
	v_mov_b32_e32 v85, 0
	v_subrev_nc_u32_e32 v86, 27, v0
	s_movk_i32 s5, 0x1e8
	s_mov_b32 s1, 0
	s_delay_alu instid0(VALU_DEP_2)
	v_add_nc_u32_e32 v85, 0xd8, v85
.LBB96_55:                              ; =>This Inner Loop Header: Depth=1
	scratch_load_b64 v[87:88], v85, off
	v_dual_mov_b32 v89, s5 :: v_dual_add_nc_u32 v86, -1, v86
	v_add_nc_u32_e32 v85, 8, v85
	s_add_i32 s5, s5, 8
	ds_load_b64 v[89:90], v89
	v_cmp_eq_u32_e32 vcc_lo, 0, v86
	s_or_b32 s1, vcc_lo, s1
	s_waitcnt vmcnt(0) lgkmcnt(0)
	v_fma_f64 v[67:68], v[87:88], v[89:90], v[67:68]
	s_and_not1_b32 exec_lo, exec_lo, s1
	s_cbranch_execnz .LBB96_55
; %bb.56:
	s_or_b32 exec_lo, exec_lo, s1
.LBB96_57:
	s_delay_alu instid0(SALU_CYCLE_1)
	s_or_b32 exec_lo, exec_lo, s4
	v_mov_b32_e32 v85, 0
	ds_load_b64 v[85:86], v85 offset:208
	s_waitcnt lgkmcnt(0)
	v_mul_f64 v[67:68], v[67:68], v[85:86]
	scratch_store_b64 off, v[67:68], off offset:208
.LBB96_58:
	s_or_b32 exec_lo, exec_lo, s3
	scratch_load_b64 v[67:68], off, off offset:200
	v_cmp_lt_u32_e64 s1, 25, v0
	s_waitcnt vmcnt(0)
	ds_store_b64 v70, v[67:68]
	s_waitcnt lgkmcnt(0)
	s_waitcnt_vscnt null, 0x0
	s_barrier
	buffer_gl0_inv
	s_and_saveexec_b32 s3, s1
	s_cbranch_execz .LBB96_68
; %bb.59:
	s_and_not1_b32 vcc_lo, exec_lo, s2
	s_cbranch_vccnz .LBB96_61
; %bb.60:
	scratch_load_b64 v[67:68], v71, off
	ds_load_b64 v[85:86], v70
	s_waitcnt vmcnt(0) lgkmcnt(0)
	v_mul_f64 v[67:68], v[67:68], v[85:86]
	s_cbranch_execz .LBB96_62
	s_branch .LBB96_63
.LBB96_61:
                                        ; implicit-def: $vgpr67_vgpr68
.LBB96_62:
	ds_load_b64 v[67:68], v70
.LBB96_63:
	s_and_saveexec_b32 s4, s0
	s_cbranch_execz .LBB96_67
; %bb.64:
	v_subrev_nc_u32_e32 v85, 26, v0
	s_movk_i32 s5, 0x1e0
	s_mov_b32 s0, 0
.LBB96_65:                              ; =>This Inner Loop Header: Depth=1
	scratch_load_b64 v[86:87], v84, off
	v_dual_mov_b32 v88, s5 :: v_dual_add_nc_u32 v85, -1, v85
	v_add_nc_u32_e32 v84, 8, v84
	s_add_i32 s5, s5, 8
	ds_load_b64 v[88:89], v88
	v_cmp_eq_u32_e32 vcc_lo, 0, v85
	s_or_b32 s0, vcc_lo, s0
	s_waitcnt vmcnt(0) lgkmcnt(0)
	v_fma_f64 v[67:68], v[86:87], v[88:89], v[67:68]
	s_and_not1_b32 exec_lo, exec_lo, s0
	s_cbranch_execnz .LBB96_65
; %bb.66:
	s_or_b32 exec_lo, exec_lo, s0
.LBB96_67:
	s_delay_alu instid0(SALU_CYCLE_1)
	s_or_b32 exec_lo, exec_lo, s4
	v_mov_b32_e32 v84, 0
	ds_load_b64 v[84:85], v84 offset:200
	s_waitcnt lgkmcnt(0)
	v_mul_f64 v[67:68], v[67:68], v[84:85]
	scratch_store_b64 off, v[67:68], off offset:200
.LBB96_68:
	s_or_b32 exec_lo, exec_lo, s3
	scratch_load_b64 v[67:68], off, off offset:192
	v_cmp_lt_u32_e64 s0, 24, v0
	s_waitcnt vmcnt(0)
	ds_store_b64 v70, v[67:68]
	s_waitcnt lgkmcnt(0)
	s_waitcnt_vscnt null, 0x0
	s_barrier
	buffer_gl0_inv
	s_and_saveexec_b32 s3, s0
	s_cbranch_execz .LBB96_78
; %bb.69:
	s_and_not1_b32 vcc_lo, exec_lo, s2
	s_cbranch_vccnz .LBB96_71
; %bb.70:
	scratch_load_b64 v[67:68], v71, off
	ds_load_b64 v[84:85], v70
	s_waitcnt vmcnt(0) lgkmcnt(0)
	v_mul_f64 v[67:68], v[67:68], v[84:85]
	s_cbranch_execz .LBB96_72
	s_branch .LBB96_73
.LBB96_71:
                                        ; implicit-def: $vgpr67_vgpr68
.LBB96_72:
	ds_load_b64 v[67:68], v70
.LBB96_73:
	s_and_saveexec_b32 s4, s1
	s_cbranch_execz .LBB96_77
; %bb.74:
	v_mov_b32_e32 v84, 0
	v_subrev_nc_u32_e32 v85, 25, v0
	s_movk_i32 s5, 0x1d8
	s_mov_b32 s1, 0
	s_delay_alu instid0(VALU_DEP_2)
	v_add_nc_u32_e32 v84, 0xc8, v84
.LBB96_75:                              ; =>This Inner Loop Header: Depth=1
	scratch_load_b64 v[86:87], v84, off
	v_dual_mov_b32 v88, s5 :: v_dual_add_nc_u32 v85, -1, v85
	v_add_nc_u32_e32 v84, 8, v84
	s_add_i32 s5, s5, 8
	ds_load_b64 v[88:89], v88
	v_cmp_eq_u32_e32 vcc_lo, 0, v85
	s_or_b32 s1, vcc_lo, s1
	s_waitcnt vmcnt(0) lgkmcnt(0)
	v_fma_f64 v[67:68], v[86:87], v[88:89], v[67:68]
	s_and_not1_b32 exec_lo, exec_lo, s1
	s_cbranch_execnz .LBB96_75
; %bb.76:
	s_or_b32 exec_lo, exec_lo, s1
.LBB96_77:
	s_delay_alu instid0(SALU_CYCLE_1)
	s_or_b32 exec_lo, exec_lo, s4
	v_mov_b32_e32 v84, 0
	ds_load_b64 v[84:85], v84 offset:192
	s_waitcnt lgkmcnt(0)
	v_mul_f64 v[67:68], v[67:68], v[84:85]
	scratch_store_b64 off, v[67:68], off offset:192
.LBB96_78:
	s_or_b32 exec_lo, exec_lo, s3
	scratch_load_b64 v[67:68], off, off offset:184
	v_cmp_lt_u32_e64 s1, 23, v0
	s_waitcnt vmcnt(0)
	ds_store_b64 v70, v[67:68]
	s_waitcnt lgkmcnt(0)
	s_waitcnt_vscnt null, 0x0
	s_barrier
	buffer_gl0_inv
	s_and_saveexec_b32 s3, s1
	s_cbranch_execz .LBB96_88
; %bb.79:
	s_and_not1_b32 vcc_lo, exec_lo, s2
	s_cbranch_vccnz .LBB96_81
; %bb.80:
	scratch_load_b64 v[67:68], v71, off
	ds_load_b64 v[84:85], v70
	s_waitcnt vmcnt(0) lgkmcnt(0)
	v_mul_f64 v[67:68], v[67:68], v[84:85]
	s_cbranch_execz .LBB96_82
	s_branch .LBB96_83
.LBB96_81:
                                        ; implicit-def: $vgpr67_vgpr68
.LBB96_82:
	ds_load_b64 v[67:68], v70
.LBB96_83:
	s_and_saveexec_b32 s4, s0
	s_cbranch_execz .LBB96_87
; %bb.84:
	v_subrev_nc_u32_e32 v84, 24, v0
	s_movk_i32 s5, 0x1d0
	s_mov_b32 s0, 0
.LBB96_85:                              ; =>This Inner Loop Header: Depth=1
	scratch_load_b64 v[85:86], v83, off
	v_dual_mov_b32 v87, s5 :: v_dual_add_nc_u32 v84, -1, v84
	v_add_nc_u32_e32 v83, 8, v83
	s_add_i32 s5, s5, 8
	ds_load_b64 v[87:88], v87
	v_cmp_eq_u32_e32 vcc_lo, 0, v84
	s_or_b32 s0, vcc_lo, s0
	s_waitcnt vmcnt(0) lgkmcnt(0)
	v_fma_f64 v[67:68], v[85:86], v[87:88], v[67:68]
	s_and_not1_b32 exec_lo, exec_lo, s0
	s_cbranch_execnz .LBB96_85
; %bb.86:
	s_or_b32 exec_lo, exec_lo, s0
.LBB96_87:
	s_delay_alu instid0(SALU_CYCLE_1)
	s_or_b32 exec_lo, exec_lo, s4
	v_mov_b32_e32 v83, 0
	ds_load_b64 v[83:84], v83 offset:184
	s_waitcnt lgkmcnt(0)
	v_mul_f64 v[67:68], v[67:68], v[83:84]
	scratch_store_b64 off, v[67:68], off offset:184
.LBB96_88:
	s_or_b32 exec_lo, exec_lo, s3
	scratch_load_b64 v[67:68], off, off offset:176
	v_cmp_lt_u32_e64 s0, 22, v0
	s_waitcnt vmcnt(0)
	ds_store_b64 v70, v[67:68]
	s_waitcnt lgkmcnt(0)
	s_waitcnt_vscnt null, 0x0
	s_barrier
	buffer_gl0_inv
	s_and_saveexec_b32 s3, s0
	s_cbranch_execz .LBB96_98
; %bb.89:
	s_and_not1_b32 vcc_lo, exec_lo, s2
	s_cbranch_vccnz .LBB96_91
; %bb.90:
	scratch_load_b64 v[67:68], v71, off
	ds_load_b64 v[83:84], v70
	s_waitcnt vmcnt(0) lgkmcnt(0)
	v_mul_f64 v[67:68], v[67:68], v[83:84]
	s_cbranch_execz .LBB96_92
	s_branch .LBB96_93
.LBB96_91:
                                        ; implicit-def: $vgpr67_vgpr68
.LBB96_92:
	ds_load_b64 v[67:68], v70
.LBB96_93:
	s_and_saveexec_b32 s4, s1
	s_cbranch_execz .LBB96_97
; %bb.94:
	v_mov_b32_e32 v83, 0
	v_subrev_nc_u32_e32 v84, 23, v0
	s_movk_i32 s5, 0x1c8
	s_mov_b32 s1, 0
	s_delay_alu instid0(VALU_DEP_2)
	v_add_nc_u32_e32 v83, 0xb8, v83
.LBB96_95:                              ; =>This Inner Loop Header: Depth=1
	scratch_load_b64 v[85:86], v83, off
	v_dual_mov_b32 v87, s5 :: v_dual_add_nc_u32 v84, -1, v84
	v_add_nc_u32_e32 v83, 8, v83
	s_add_i32 s5, s5, 8
	ds_load_b64 v[87:88], v87
	v_cmp_eq_u32_e32 vcc_lo, 0, v84
	s_or_b32 s1, vcc_lo, s1
	s_waitcnt vmcnt(0) lgkmcnt(0)
	v_fma_f64 v[67:68], v[85:86], v[87:88], v[67:68]
	s_and_not1_b32 exec_lo, exec_lo, s1
	s_cbranch_execnz .LBB96_95
; %bb.96:
	s_or_b32 exec_lo, exec_lo, s1
.LBB96_97:
	s_delay_alu instid0(SALU_CYCLE_1)
	s_or_b32 exec_lo, exec_lo, s4
	v_mov_b32_e32 v83, 0
	ds_load_b64 v[83:84], v83 offset:176
	s_waitcnt lgkmcnt(0)
	v_mul_f64 v[67:68], v[67:68], v[83:84]
	scratch_store_b64 off, v[67:68], off offset:176
.LBB96_98:
	s_or_b32 exec_lo, exec_lo, s3
	scratch_load_b64 v[67:68], off, off offset:168
	v_cmp_lt_u32_e64 s1, 21, v0
	s_waitcnt vmcnt(0)
	ds_store_b64 v70, v[67:68]
	s_waitcnt lgkmcnt(0)
	s_waitcnt_vscnt null, 0x0
	s_barrier
	buffer_gl0_inv
	s_and_saveexec_b32 s3, s1
	s_cbranch_execz .LBB96_108
; %bb.99:
	s_and_not1_b32 vcc_lo, exec_lo, s2
	s_cbranch_vccnz .LBB96_101
; %bb.100:
	scratch_load_b64 v[67:68], v71, off
	ds_load_b64 v[83:84], v70
	s_waitcnt vmcnt(0) lgkmcnt(0)
	v_mul_f64 v[67:68], v[67:68], v[83:84]
	s_cbranch_execz .LBB96_102
	s_branch .LBB96_103
.LBB96_101:
                                        ; implicit-def: $vgpr67_vgpr68
.LBB96_102:
	ds_load_b64 v[67:68], v70
.LBB96_103:
	s_and_saveexec_b32 s4, s0
	s_cbranch_execz .LBB96_107
; %bb.104:
	v_subrev_nc_u32_e32 v83, 22, v0
	s_movk_i32 s5, 0x1c0
	s_mov_b32 s0, 0
.LBB96_105:                             ; =>This Inner Loop Header: Depth=1
	scratch_load_b64 v[84:85], v82, off
	v_dual_mov_b32 v86, s5 :: v_dual_add_nc_u32 v83, -1, v83
	v_add_nc_u32_e32 v82, 8, v82
	s_add_i32 s5, s5, 8
	ds_load_b64 v[86:87], v86
	v_cmp_eq_u32_e32 vcc_lo, 0, v83
	s_or_b32 s0, vcc_lo, s0
	s_waitcnt vmcnt(0) lgkmcnt(0)
	v_fma_f64 v[67:68], v[84:85], v[86:87], v[67:68]
	s_and_not1_b32 exec_lo, exec_lo, s0
	s_cbranch_execnz .LBB96_105
; %bb.106:
	s_or_b32 exec_lo, exec_lo, s0
.LBB96_107:
	s_delay_alu instid0(SALU_CYCLE_1)
	s_or_b32 exec_lo, exec_lo, s4
	v_mov_b32_e32 v82, 0
	ds_load_b64 v[82:83], v82 offset:168
	s_waitcnt lgkmcnt(0)
	v_mul_f64 v[67:68], v[67:68], v[82:83]
	scratch_store_b64 off, v[67:68], off offset:168
.LBB96_108:
	s_or_b32 exec_lo, exec_lo, s3
	scratch_load_b64 v[67:68], off, off offset:160
	v_cmp_lt_u32_e64 s0, 20, v0
	s_waitcnt vmcnt(0)
	ds_store_b64 v70, v[67:68]
	s_waitcnt lgkmcnt(0)
	s_waitcnt_vscnt null, 0x0
	s_barrier
	buffer_gl0_inv
	s_and_saveexec_b32 s3, s0
	s_cbranch_execz .LBB96_118
; %bb.109:
	s_and_not1_b32 vcc_lo, exec_lo, s2
	s_cbranch_vccnz .LBB96_111
; %bb.110:
	scratch_load_b64 v[67:68], v71, off
	ds_load_b64 v[82:83], v70
	s_waitcnt vmcnt(0) lgkmcnt(0)
	v_mul_f64 v[67:68], v[67:68], v[82:83]
	s_cbranch_execz .LBB96_112
	s_branch .LBB96_113
.LBB96_111:
                                        ; implicit-def: $vgpr67_vgpr68
.LBB96_112:
	ds_load_b64 v[67:68], v70
.LBB96_113:
	s_and_saveexec_b32 s4, s1
	s_cbranch_execz .LBB96_117
; %bb.114:
	v_mov_b32_e32 v82, 0
	v_subrev_nc_u32_e32 v83, 21, v0
	s_movk_i32 s5, 0x1b8
	s_mov_b32 s1, 0
	s_delay_alu instid0(VALU_DEP_2)
	v_add_nc_u32_e32 v82, 0xa8, v82
.LBB96_115:                             ; =>This Inner Loop Header: Depth=1
	scratch_load_b64 v[84:85], v82, off
	v_dual_mov_b32 v86, s5 :: v_dual_add_nc_u32 v83, -1, v83
	v_add_nc_u32_e32 v82, 8, v82
	s_add_i32 s5, s5, 8
	ds_load_b64 v[86:87], v86
	v_cmp_eq_u32_e32 vcc_lo, 0, v83
	s_or_b32 s1, vcc_lo, s1
	s_waitcnt vmcnt(0) lgkmcnt(0)
	v_fma_f64 v[67:68], v[84:85], v[86:87], v[67:68]
	s_and_not1_b32 exec_lo, exec_lo, s1
	s_cbranch_execnz .LBB96_115
; %bb.116:
	s_or_b32 exec_lo, exec_lo, s1
.LBB96_117:
	s_delay_alu instid0(SALU_CYCLE_1)
	s_or_b32 exec_lo, exec_lo, s4
	v_mov_b32_e32 v82, 0
	ds_load_b64 v[82:83], v82 offset:160
	s_waitcnt lgkmcnt(0)
	v_mul_f64 v[67:68], v[67:68], v[82:83]
	scratch_store_b64 off, v[67:68], off offset:160
.LBB96_118:
	s_or_b32 exec_lo, exec_lo, s3
	scratch_load_b64 v[67:68], off, off offset:152
	v_cmp_lt_u32_e64 s1, 19, v0
	s_waitcnt vmcnt(0)
	ds_store_b64 v70, v[67:68]
	s_waitcnt lgkmcnt(0)
	s_waitcnt_vscnt null, 0x0
	s_barrier
	buffer_gl0_inv
	s_and_saveexec_b32 s3, s1
	s_cbranch_execz .LBB96_128
; %bb.119:
	s_and_not1_b32 vcc_lo, exec_lo, s2
	s_cbranch_vccnz .LBB96_121
; %bb.120:
	scratch_load_b64 v[67:68], v71, off
	ds_load_b64 v[82:83], v70
	s_waitcnt vmcnt(0) lgkmcnt(0)
	v_mul_f64 v[67:68], v[67:68], v[82:83]
	s_cbranch_execz .LBB96_122
	s_branch .LBB96_123
.LBB96_121:
                                        ; implicit-def: $vgpr67_vgpr68
.LBB96_122:
	ds_load_b64 v[67:68], v70
.LBB96_123:
	s_and_saveexec_b32 s4, s0
	s_cbranch_execz .LBB96_127
; %bb.124:
	v_subrev_nc_u32_e32 v82, 20, v0
	s_movk_i32 s5, 0x1b0
	s_mov_b32 s0, 0
.LBB96_125:                             ; =>This Inner Loop Header: Depth=1
	scratch_load_b64 v[83:84], v81, off
	v_dual_mov_b32 v85, s5 :: v_dual_add_nc_u32 v82, -1, v82
	v_add_nc_u32_e32 v81, 8, v81
	s_add_i32 s5, s5, 8
	ds_load_b64 v[85:86], v85
	v_cmp_eq_u32_e32 vcc_lo, 0, v82
	s_or_b32 s0, vcc_lo, s0
	s_waitcnt vmcnt(0) lgkmcnt(0)
	v_fma_f64 v[67:68], v[83:84], v[85:86], v[67:68]
	s_and_not1_b32 exec_lo, exec_lo, s0
	s_cbranch_execnz .LBB96_125
; %bb.126:
	s_or_b32 exec_lo, exec_lo, s0
.LBB96_127:
	s_delay_alu instid0(SALU_CYCLE_1)
	s_or_b32 exec_lo, exec_lo, s4
	v_mov_b32_e32 v81, 0
	ds_load_b64 v[81:82], v81 offset:152
	s_waitcnt lgkmcnt(0)
	v_mul_f64 v[67:68], v[67:68], v[81:82]
	scratch_store_b64 off, v[67:68], off offset:152
.LBB96_128:
	s_or_b32 exec_lo, exec_lo, s3
	scratch_load_b64 v[67:68], off, off offset:144
	v_cmp_lt_u32_e64 s0, 18, v0
	s_waitcnt vmcnt(0)
	ds_store_b64 v70, v[67:68]
	s_waitcnt lgkmcnt(0)
	s_waitcnt_vscnt null, 0x0
	s_barrier
	buffer_gl0_inv
	s_and_saveexec_b32 s3, s0
	s_cbranch_execz .LBB96_138
; %bb.129:
	s_and_not1_b32 vcc_lo, exec_lo, s2
	s_cbranch_vccnz .LBB96_131
; %bb.130:
	scratch_load_b64 v[67:68], v71, off
	ds_load_b64 v[81:82], v70
	s_waitcnt vmcnt(0) lgkmcnt(0)
	v_mul_f64 v[67:68], v[67:68], v[81:82]
	s_cbranch_execz .LBB96_132
	s_branch .LBB96_133
.LBB96_131:
                                        ; implicit-def: $vgpr67_vgpr68
.LBB96_132:
	ds_load_b64 v[67:68], v70
.LBB96_133:
	s_and_saveexec_b32 s4, s1
	s_cbranch_execz .LBB96_137
; %bb.134:
	v_mov_b32_e32 v81, 0
	v_subrev_nc_u32_e32 v82, 19, v0
	s_movk_i32 s5, 0x1a8
	s_mov_b32 s1, 0
	s_delay_alu instid0(VALU_DEP_2)
	v_add_nc_u32_e32 v81, 0x98, v81
.LBB96_135:                             ; =>This Inner Loop Header: Depth=1
	scratch_load_b64 v[83:84], v81, off
	v_dual_mov_b32 v85, s5 :: v_dual_add_nc_u32 v82, -1, v82
	v_add_nc_u32_e32 v81, 8, v81
	s_add_i32 s5, s5, 8
	ds_load_b64 v[85:86], v85
	v_cmp_eq_u32_e32 vcc_lo, 0, v82
	s_or_b32 s1, vcc_lo, s1
	s_waitcnt vmcnt(0) lgkmcnt(0)
	v_fma_f64 v[67:68], v[83:84], v[85:86], v[67:68]
	s_and_not1_b32 exec_lo, exec_lo, s1
	s_cbranch_execnz .LBB96_135
; %bb.136:
	s_or_b32 exec_lo, exec_lo, s1
.LBB96_137:
	s_delay_alu instid0(SALU_CYCLE_1)
	s_or_b32 exec_lo, exec_lo, s4
	v_mov_b32_e32 v81, 0
	ds_load_b64 v[81:82], v81 offset:144
	s_waitcnt lgkmcnt(0)
	v_mul_f64 v[67:68], v[67:68], v[81:82]
	scratch_store_b64 off, v[67:68], off offset:144
.LBB96_138:
	s_or_b32 exec_lo, exec_lo, s3
	scratch_load_b64 v[67:68], off, off offset:136
	v_cmp_lt_u32_e64 s1, 17, v0
	s_waitcnt vmcnt(0)
	ds_store_b64 v70, v[67:68]
	s_waitcnt lgkmcnt(0)
	s_waitcnt_vscnt null, 0x0
	s_barrier
	buffer_gl0_inv
	s_and_saveexec_b32 s3, s1
	s_cbranch_execz .LBB96_148
; %bb.139:
	s_and_not1_b32 vcc_lo, exec_lo, s2
	s_cbranch_vccnz .LBB96_141
; %bb.140:
	scratch_load_b64 v[67:68], v71, off
	ds_load_b64 v[81:82], v70
	s_waitcnt vmcnt(0) lgkmcnt(0)
	v_mul_f64 v[67:68], v[67:68], v[81:82]
	s_cbranch_execz .LBB96_142
	s_branch .LBB96_143
.LBB96_141:
                                        ; implicit-def: $vgpr67_vgpr68
.LBB96_142:
	ds_load_b64 v[67:68], v70
.LBB96_143:
	s_and_saveexec_b32 s4, s0
	s_cbranch_execz .LBB96_147
; %bb.144:
	v_subrev_nc_u32_e32 v81, 18, v0
	s_movk_i32 s5, 0x1a0
	s_mov_b32 s0, 0
.LBB96_145:                             ; =>This Inner Loop Header: Depth=1
	scratch_load_b64 v[82:83], v80, off
	v_dual_mov_b32 v84, s5 :: v_dual_add_nc_u32 v81, -1, v81
	v_add_nc_u32_e32 v80, 8, v80
	s_add_i32 s5, s5, 8
	ds_load_b64 v[84:85], v84
	v_cmp_eq_u32_e32 vcc_lo, 0, v81
	s_or_b32 s0, vcc_lo, s0
	s_waitcnt vmcnt(0) lgkmcnt(0)
	v_fma_f64 v[67:68], v[82:83], v[84:85], v[67:68]
	s_and_not1_b32 exec_lo, exec_lo, s0
	s_cbranch_execnz .LBB96_145
; %bb.146:
	s_or_b32 exec_lo, exec_lo, s0
.LBB96_147:
	s_delay_alu instid0(SALU_CYCLE_1)
	s_or_b32 exec_lo, exec_lo, s4
	v_mov_b32_e32 v80, 0
	ds_load_b64 v[80:81], v80 offset:136
	s_waitcnt lgkmcnt(0)
	v_mul_f64 v[67:68], v[67:68], v[80:81]
	scratch_store_b64 off, v[67:68], off offset:136
.LBB96_148:
	s_or_b32 exec_lo, exec_lo, s3
	scratch_load_b64 v[67:68], off, off offset:128
	v_cmp_lt_u32_e64 s0, 16, v0
	s_waitcnt vmcnt(0)
	ds_store_b64 v70, v[67:68]
	s_waitcnt lgkmcnt(0)
	s_waitcnt_vscnt null, 0x0
	s_barrier
	buffer_gl0_inv
	s_and_saveexec_b32 s3, s0
	s_cbranch_execz .LBB96_158
; %bb.149:
	s_and_not1_b32 vcc_lo, exec_lo, s2
	s_cbranch_vccnz .LBB96_151
; %bb.150:
	scratch_load_b64 v[67:68], v71, off
	ds_load_b64 v[80:81], v70
	s_waitcnt vmcnt(0) lgkmcnt(0)
	v_mul_f64 v[67:68], v[67:68], v[80:81]
	s_cbranch_execz .LBB96_152
	s_branch .LBB96_153
.LBB96_151:
                                        ; implicit-def: $vgpr67_vgpr68
.LBB96_152:
	ds_load_b64 v[67:68], v70
.LBB96_153:
	s_and_saveexec_b32 s4, s1
	s_cbranch_execz .LBB96_157
; %bb.154:
	v_mov_b32_e32 v80, 0
	v_subrev_nc_u32_e32 v81, 17, v0
	s_movk_i32 s5, 0x198
	s_mov_b32 s1, 0
	s_delay_alu instid0(VALU_DEP_2)
	v_add_nc_u32_e32 v80, 0x88, v80
.LBB96_155:                             ; =>This Inner Loop Header: Depth=1
	scratch_load_b64 v[82:83], v80, off
	v_dual_mov_b32 v84, s5 :: v_dual_add_nc_u32 v81, -1, v81
	v_add_nc_u32_e32 v80, 8, v80
	s_add_i32 s5, s5, 8
	ds_load_b64 v[84:85], v84
	v_cmp_eq_u32_e32 vcc_lo, 0, v81
	s_or_b32 s1, vcc_lo, s1
	s_waitcnt vmcnt(0) lgkmcnt(0)
	v_fma_f64 v[67:68], v[82:83], v[84:85], v[67:68]
	s_and_not1_b32 exec_lo, exec_lo, s1
	s_cbranch_execnz .LBB96_155
; %bb.156:
	s_or_b32 exec_lo, exec_lo, s1
.LBB96_157:
	s_delay_alu instid0(SALU_CYCLE_1)
	s_or_b32 exec_lo, exec_lo, s4
	v_mov_b32_e32 v80, 0
	ds_load_b64 v[80:81], v80 offset:128
	s_waitcnt lgkmcnt(0)
	v_mul_f64 v[67:68], v[67:68], v[80:81]
	scratch_store_b64 off, v[67:68], off offset:128
.LBB96_158:
	s_or_b32 exec_lo, exec_lo, s3
	scratch_load_b64 v[67:68], off, off offset:120
	v_cmp_lt_u32_e64 s1, 15, v0
	s_waitcnt vmcnt(0)
	ds_store_b64 v70, v[67:68]
	s_waitcnt lgkmcnt(0)
	s_waitcnt_vscnt null, 0x0
	s_barrier
	buffer_gl0_inv
	s_and_saveexec_b32 s3, s1
	s_cbranch_execz .LBB96_168
; %bb.159:
	s_and_not1_b32 vcc_lo, exec_lo, s2
	s_cbranch_vccnz .LBB96_161
; %bb.160:
	scratch_load_b64 v[67:68], v71, off
	ds_load_b64 v[80:81], v70
	s_waitcnt vmcnt(0) lgkmcnt(0)
	v_mul_f64 v[67:68], v[67:68], v[80:81]
	s_cbranch_execz .LBB96_162
	s_branch .LBB96_163
.LBB96_161:
                                        ; implicit-def: $vgpr67_vgpr68
.LBB96_162:
	ds_load_b64 v[67:68], v70
.LBB96_163:
	s_and_saveexec_b32 s4, s0
	s_cbranch_execz .LBB96_167
; %bb.164:
	v_add_nc_u32_e32 v80, -16, v0
	s_movk_i32 s5, 0x190
	s_mov_b32 s0, 0
.LBB96_165:                             ; =>This Inner Loop Header: Depth=1
	scratch_load_b64 v[81:82], v79, off
	v_dual_mov_b32 v83, s5 :: v_dual_add_nc_u32 v80, -1, v80
	v_add_nc_u32_e32 v79, 8, v79
	s_add_i32 s5, s5, 8
	ds_load_b64 v[83:84], v83
	v_cmp_eq_u32_e32 vcc_lo, 0, v80
	s_or_b32 s0, vcc_lo, s0
	s_waitcnt vmcnt(0) lgkmcnt(0)
	v_fma_f64 v[67:68], v[81:82], v[83:84], v[67:68]
	s_and_not1_b32 exec_lo, exec_lo, s0
	s_cbranch_execnz .LBB96_165
; %bb.166:
	s_or_b32 exec_lo, exec_lo, s0
.LBB96_167:
	s_delay_alu instid0(SALU_CYCLE_1)
	s_or_b32 exec_lo, exec_lo, s4
	v_mov_b32_e32 v79, 0
	ds_load_b64 v[79:80], v79 offset:120
	s_waitcnt lgkmcnt(0)
	v_mul_f64 v[67:68], v[67:68], v[79:80]
	scratch_store_b64 off, v[67:68], off offset:120
.LBB96_168:
	s_or_b32 exec_lo, exec_lo, s3
	scratch_load_b64 v[67:68], off, off offset:112
	v_cmp_lt_u32_e64 s0, 14, v0
	s_waitcnt vmcnt(0)
	ds_store_b64 v70, v[67:68]
	s_waitcnt lgkmcnt(0)
	s_waitcnt_vscnt null, 0x0
	s_barrier
	buffer_gl0_inv
	s_and_saveexec_b32 s3, s0
	s_cbranch_execz .LBB96_178
; %bb.169:
	s_and_not1_b32 vcc_lo, exec_lo, s2
	s_cbranch_vccnz .LBB96_171
; %bb.170:
	scratch_load_b64 v[67:68], v71, off
	ds_load_b64 v[79:80], v70
	s_waitcnt vmcnt(0) lgkmcnt(0)
	v_mul_f64 v[67:68], v[67:68], v[79:80]
	s_cbranch_execz .LBB96_172
	s_branch .LBB96_173
.LBB96_171:
                                        ; implicit-def: $vgpr67_vgpr68
.LBB96_172:
	ds_load_b64 v[67:68], v70
.LBB96_173:
	s_and_saveexec_b32 s4, s1
	s_cbranch_execz .LBB96_177
; %bb.174:
	v_dual_mov_b32 v79, 0 :: v_dual_add_nc_u32 v80, -15, v0
	s_movk_i32 s5, 0x188
	s_mov_b32 s1, 0
	s_delay_alu instid0(VALU_DEP_1)
	v_add_nc_u32_e32 v79, 0x78, v79
.LBB96_175:                             ; =>This Inner Loop Header: Depth=1
	scratch_load_b64 v[81:82], v79, off
	v_dual_mov_b32 v83, s5 :: v_dual_add_nc_u32 v80, -1, v80
	v_add_nc_u32_e32 v79, 8, v79
	s_add_i32 s5, s5, 8
	ds_load_b64 v[83:84], v83
	v_cmp_eq_u32_e32 vcc_lo, 0, v80
	s_or_b32 s1, vcc_lo, s1
	s_waitcnt vmcnt(0) lgkmcnt(0)
	v_fma_f64 v[67:68], v[81:82], v[83:84], v[67:68]
	s_and_not1_b32 exec_lo, exec_lo, s1
	s_cbranch_execnz .LBB96_175
; %bb.176:
	s_or_b32 exec_lo, exec_lo, s1
.LBB96_177:
	s_delay_alu instid0(SALU_CYCLE_1)
	s_or_b32 exec_lo, exec_lo, s4
	v_mov_b32_e32 v79, 0
	ds_load_b64 v[79:80], v79 offset:112
	s_waitcnt lgkmcnt(0)
	v_mul_f64 v[67:68], v[67:68], v[79:80]
	scratch_store_b64 off, v[67:68], off offset:112
.LBB96_178:
	s_or_b32 exec_lo, exec_lo, s3
	scratch_load_b64 v[67:68], off, off offset:104
	v_cmp_lt_u32_e64 s1, 13, v0
	s_waitcnt vmcnt(0)
	ds_store_b64 v70, v[67:68]
	s_waitcnt lgkmcnt(0)
	s_waitcnt_vscnt null, 0x0
	s_barrier
	buffer_gl0_inv
	s_and_saveexec_b32 s3, s1
	s_cbranch_execz .LBB96_188
; %bb.179:
	s_and_not1_b32 vcc_lo, exec_lo, s2
	s_cbranch_vccnz .LBB96_181
; %bb.180:
	scratch_load_b64 v[67:68], v71, off
	ds_load_b64 v[79:80], v70
	s_waitcnt vmcnt(0) lgkmcnt(0)
	v_mul_f64 v[67:68], v[67:68], v[79:80]
	s_cbranch_execz .LBB96_182
	s_branch .LBB96_183
.LBB96_181:
                                        ; implicit-def: $vgpr67_vgpr68
.LBB96_182:
	ds_load_b64 v[67:68], v70
.LBB96_183:
	s_and_saveexec_b32 s4, s0
	s_cbranch_execz .LBB96_187
; %bb.184:
	v_add_nc_u32_e32 v79, -14, v0
	s_movk_i32 s5, 0x180
	s_mov_b32 s0, 0
.LBB96_185:                             ; =>This Inner Loop Header: Depth=1
	scratch_load_b64 v[80:81], v78, off
	v_dual_mov_b32 v82, s5 :: v_dual_add_nc_u32 v79, -1, v79
	v_add_nc_u32_e32 v78, 8, v78
	s_add_i32 s5, s5, 8
	ds_load_b64 v[82:83], v82
	v_cmp_eq_u32_e32 vcc_lo, 0, v79
	s_or_b32 s0, vcc_lo, s0
	s_waitcnt vmcnt(0) lgkmcnt(0)
	v_fma_f64 v[67:68], v[80:81], v[82:83], v[67:68]
	s_and_not1_b32 exec_lo, exec_lo, s0
	s_cbranch_execnz .LBB96_185
; %bb.186:
	s_or_b32 exec_lo, exec_lo, s0
.LBB96_187:
	s_delay_alu instid0(SALU_CYCLE_1)
	s_or_b32 exec_lo, exec_lo, s4
	v_mov_b32_e32 v78, 0
	ds_load_b64 v[78:79], v78 offset:104
	s_waitcnt lgkmcnt(0)
	v_mul_f64 v[67:68], v[67:68], v[78:79]
	scratch_store_b64 off, v[67:68], off offset:104
.LBB96_188:
	s_or_b32 exec_lo, exec_lo, s3
	scratch_load_b64 v[67:68], off, off offset:96
	v_cmp_lt_u32_e64 s0, 12, v0
	s_waitcnt vmcnt(0)
	ds_store_b64 v70, v[67:68]
	s_waitcnt lgkmcnt(0)
	s_waitcnt_vscnt null, 0x0
	s_barrier
	buffer_gl0_inv
	s_and_saveexec_b32 s3, s0
	s_cbranch_execz .LBB96_198
; %bb.189:
	s_and_not1_b32 vcc_lo, exec_lo, s2
	s_cbranch_vccnz .LBB96_191
; %bb.190:
	scratch_load_b64 v[67:68], v71, off
	ds_load_b64 v[78:79], v70
	s_waitcnt vmcnt(0) lgkmcnt(0)
	v_mul_f64 v[67:68], v[67:68], v[78:79]
	s_cbranch_execz .LBB96_192
	s_branch .LBB96_193
.LBB96_191:
                                        ; implicit-def: $vgpr67_vgpr68
.LBB96_192:
	ds_load_b64 v[67:68], v70
.LBB96_193:
	s_and_saveexec_b32 s4, s1
	s_cbranch_execz .LBB96_197
; %bb.194:
	v_dual_mov_b32 v78, 0 :: v_dual_add_nc_u32 v79, -13, v0
	s_movk_i32 s5, 0x178
	s_mov_b32 s1, 0
	s_delay_alu instid0(VALU_DEP_1)
	v_add_nc_u32_e32 v78, 0x68, v78
.LBB96_195:                             ; =>This Inner Loop Header: Depth=1
	scratch_load_b64 v[80:81], v78, off
	v_dual_mov_b32 v82, s5 :: v_dual_add_nc_u32 v79, -1, v79
	v_add_nc_u32_e32 v78, 8, v78
	s_add_i32 s5, s5, 8
	ds_load_b64 v[82:83], v82
	v_cmp_eq_u32_e32 vcc_lo, 0, v79
	s_or_b32 s1, vcc_lo, s1
	s_waitcnt vmcnt(0) lgkmcnt(0)
	v_fma_f64 v[67:68], v[80:81], v[82:83], v[67:68]
	s_and_not1_b32 exec_lo, exec_lo, s1
	s_cbranch_execnz .LBB96_195
; %bb.196:
	s_or_b32 exec_lo, exec_lo, s1
.LBB96_197:
	s_delay_alu instid0(SALU_CYCLE_1)
	s_or_b32 exec_lo, exec_lo, s4
	v_mov_b32_e32 v78, 0
	ds_load_b64 v[78:79], v78 offset:96
	s_waitcnt lgkmcnt(0)
	v_mul_f64 v[67:68], v[67:68], v[78:79]
	scratch_store_b64 off, v[67:68], off offset:96
.LBB96_198:
	s_or_b32 exec_lo, exec_lo, s3
	scratch_load_b64 v[67:68], off, off offset:88
	v_cmp_lt_u32_e64 s1, 11, v0
	s_waitcnt vmcnt(0)
	ds_store_b64 v70, v[67:68]
	s_waitcnt lgkmcnt(0)
	s_waitcnt_vscnt null, 0x0
	s_barrier
	buffer_gl0_inv
	s_and_saveexec_b32 s3, s1
	s_cbranch_execz .LBB96_208
; %bb.199:
	s_and_not1_b32 vcc_lo, exec_lo, s2
	s_cbranch_vccnz .LBB96_201
; %bb.200:
	scratch_load_b64 v[67:68], v71, off
	ds_load_b64 v[78:79], v70
	s_waitcnt vmcnt(0) lgkmcnt(0)
	v_mul_f64 v[67:68], v[67:68], v[78:79]
	s_cbranch_execz .LBB96_202
	s_branch .LBB96_203
.LBB96_201:
                                        ; implicit-def: $vgpr67_vgpr68
.LBB96_202:
	ds_load_b64 v[67:68], v70
.LBB96_203:
	s_and_saveexec_b32 s4, s0
	s_cbranch_execz .LBB96_207
; %bb.204:
	v_add_nc_u32_e32 v78, -12, v0
	s_movk_i32 s5, 0x170
	s_mov_b32 s0, 0
.LBB96_205:                             ; =>This Inner Loop Header: Depth=1
	scratch_load_b64 v[79:80], v77, off
	v_dual_mov_b32 v81, s5 :: v_dual_add_nc_u32 v78, -1, v78
	v_add_nc_u32_e32 v77, 8, v77
	s_add_i32 s5, s5, 8
	ds_load_b64 v[81:82], v81
	v_cmp_eq_u32_e32 vcc_lo, 0, v78
	s_or_b32 s0, vcc_lo, s0
	s_waitcnt vmcnt(0) lgkmcnt(0)
	v_fma_f64 v[67:68], v[79:80], v[81:82], v[67:68]
	s_and_not1_b32 exec_lo, exec_lo, s0
	s_cbranch_execnz .LBB96_205
; %bb.206:
	s_or_b32 exec_lo, exec_lo, s0
.LBB96_207:
	s_delay_alu instid0(SALU_CYCLE_1)
	s_or_b32 exec_lo, exec_lo, s4
	v_mov_b32_e32 v77, 0
	ds_load_b64 v[77:78], v77 offset:88
	s_waitcnt lgkmcnt(0)
	v_mul_f64 v[67:68], v[67:68], v[77:78]
	scratch_store_b64 off, v[67:68], off offset:88
.LBB96_208:
	s_or_b32 exec_lo, exec_lo, s3
	scratch_load_b64 v[67:68], off, off offset:80
	v_cmp_lt_u32_e64 s0, 10, v0
	s_waitcnt vmcnt(0)
	ds_store_b64 v70, v[67:68]
	s_waitcnt lgkmcnt(0)
	s_waitcnt_vscnt null, 0x0
	s_barrier
	buffer_gl0_inv
	s_and_saveexec_b32 s3, s0
	s_cbranch_execz .LBB96_218
; %bb.209:
	s_and_not1_b32 vcc_lo, exec_lo, s2
	s_cbranch_vccnz .LBB96_211
; %bb.210:
	scratch_load_b64 v[67:68], v71, off
	ds_load_b64 v[77:78], v70
	s_waitcnt vmcnt(0) lgkmcnt(0)
	v_mul_f64 v[67:68], v[67:68], v[77:78]
	s_cbranch_execz .LBB96_212
	s_branch .LBB96_213
.LBB96_211:
                                        ; implicit-def: $vgpr67_vgpr68
.LBB96_212:
	ds_load_b64 v[67:68], v70
.LBB96_213:
	s_and_saveexec_b32 s4, s1
	s_cbranch_execz .LBB96_217
; %bb.214:
	v_dual_mov_b32 v77, 0 :: v_dual_add_nc_u32 v78, -11, v0
	s_movk_i32 s5, 0x168
	s_mov_b32 s1, 0
	s_delay_alu instid0(VALU_DEP_1)
	v_add_nc_u32_e32 v77, 0x58, v77
.LBB96_215:                             ; =>This Inner Loop Header: Depth=1
	scratch_load_b64 v[79:80], v77, off
	v_dual_mov_b32 v81, s5 :: v_dual_add_nc_u32 v78, -1, v78
	v_add_nc_u32_e32 v77, 8, v77
	s_add_i32 s5, s5, 8
	ds_load_b64 v[81:82], v81
	v_cmp_eq_u32_e32 vcc_lo, 0, v78
	s_or_b32 s1, vcc_lo, s1
	s_waitcnt vmcnt(0) lgkmcnt(0)
	v_fma_f64 v[67:68], v[79:80], v[81:82], v[67:68]
	s_and_not1_b32 exec_lo, exec_lo, s1
	s_cbranch_execnz .LBB96_215
; %bb.216:
	s_or_b32 exec_lo, exec_lo, s1
.LBB96_217:
	s_delay_alu instid0(SALU_CYCLE_1)
	s_or_b32 exec_lo, exec_lo, s4
	v_mov_b32_e32 v77, 0
	ds_load_b64 v[77:78], v77 offset:80
	s_waitcnt lgkmcnt(0)
	v_mul_f64 v[67:68], v[67:68], v[77:78]
	scratch_store_b64 off, v[67:68], off offset:80
.LBB96_218:
	s_or_b32 exec_lo, exec_lo, s3
	scratch_load_b64 v[67:68], off, off offset:72
	v_cmp_lt_u32_e64 s1, 9, v0
	s_waitcnt vmcnt(0)
	ds_store_b64 v70, v[67:68]
	s_waitcnt lgkmcnt(0)
	s_waitcnt_vscnt null, 0x0
	s_barrier
	buffer_gl0_inv
	s_and_saveexec_b32 s3, s1
	s_cbranch_execz .LBB96_228
; %bb.219:
	s_and_not1_b32 vcc_lo, exec_lo, s2
	s_cbranch_vccnz .LBB96_221
; %bb.220:
	scratch_load_b64 v[67:68], v71, off
	ds_load_b64 v[77:78], v70
	s_waitcnt vmcnt(0) lgkmcnt(0)
	v_mul_f64 v[67:68], v[67:68], v[77:78]
	s_cbranch_execz .LBB96_222
	s_branch .LBB96_223
.LBB96_221:
                                        ; implicit-def: $vgpr67_vgpr68
.LBB96_222:
	ds_load_b64 v[67:68], v70
.LBB96_223:
	s_and_saveexec_b32 s4, s0
	s_cbranch_execz .LBB96_227
; %bb.224:
	v_add_nc_u32_e32 v77, -10, v0
	s_movk_i32 s5, 0x160
	s_mov_b32 s0, 0
.LBB96_225:                             ; =>This Inner Loop Header: Depth=1
	scratch_load_b64 v[78:79], v76, off
	v_dual_mov_b32 v80, s5 :: v_dual_add_nc_u32 v77, -1, v77
	v_add_nc_u32_e32 v76, 8, v76
	s_add_i32 s5, s5, 8
	ds_load_b64 v[80:81], v80
	v_cmp_eq_u32_e32 vcc_lo, 0, v77
	s_or_b32 s0, vcc_lo, s0
	s_waitcnt vmcnt(0) lgkmcnt(0)
	v_fma_f64 v[67:68], v[78:79], v[80:81], v[67:68]
	s_and_not1_b32 exec_lo, exec_lo, s0
	s_cbranch_execnz .LBB96_225
; %bb.226:
	s_or_b32 exec_lo, exec_lo, s0
.LBB96_227:
	s_delay_alu instid0(SALU_CYCLE_1)
	s_or_b32 exec_lo, exec_lo, s4
	v_mov_b32_e32 v76, 0
	ds_load_b64 v[76:77], v76 offset:72
	s_waitcnt lgkmcnt(0)
	v_mul_f64 v[67:68], v[67:68], v[76:77]
	scratch_store_b64 off, v[67:68], off offset:72
.LBB96_228:
	s_or_b32 exec_lo, exec_lo, s3
	scratch_load_b64 v[67:68], off, off offset:64
	v_cmp_lt_u32_e64 s0, 8, v0
	s_waitcnt vmcnt(0)
	ds_store_b64 v70, v[67:68]
	s_waitcnt lgkmcnt(0)
	s_waitcnt_vscnt null, 0x0
	s_barrier
	buffer_gl0_inv
	s_and_saveexec_b32 s3, s0
	s_cbranch_execz .LBB96_238
; %bb.229:
	s_and_not1_b32 vcc_lo, exec_lo, s2
	s_cbranch_vccnz .LBB96_231
; %bb.230:
	scratch_load_b64 v[67:68], v71, off
	ds_load_b64 v[76:77], v70
	s_waitcnt vmcnt(0) lgkmcnt(0)
	v_mul_f64 v[67:68], v[67:68], v[76:77]
	s_cbranch_execz .LBB96_232
	s_branch .LBB96_233
.LBB96_231:
                                        ; implicit-def: $vgpr67_vgpr68
.LBB96_232:
	ds_load_b64 v[67:68], v70
.LBB96_233:
	s_and_saveexec_b32 s4, s1
	s_cbranch_execz .LBB96_237
; %bb.234:
	v_dual_mov_b32 v76, 0 :: v_dual_add_nc_u32 v77, -9, v0
	s_movk_i32 s5, 0x158
	s_mov_b32 s1, 0
	s_delay_alu instid0(VALU_DEP_1)
	v_add_nc_u32_e32 v76, 0x48, v76
.LBB96_235:                             ; =>This Inner Loop Header: Depth=1
	scratch_load_b64 v[78:79], v76, off
	v_dual_mov_b32 v80, s5 :: v_dual_add_nc_u32 v77, -1, v77
	v_add_nc_u32_e32 v76, 8, v76
	s_add_i32 s5, s5, 8
	ds_load_b64 v[80:81], v80
	v_cmp_eq_u32_e32 vcc_lo, 0, v77
	s_or_b32 s1, vcc_lo, s1
	s_waitcnt vmcnt(0) lgkmcnt(0)
	v_fma_f64 v[67:68], v[78:79], v[80:81], v[67:68]
	s_and_not1_b32 exec_lo, exec_lo, s1
	s_cbranch_execnz .LBB96_235
; %bb.236:
	s_or_b32 exec_lo, exec_lo, s1
.LBB96_237:
	s_delay_alu instid0(SALU_CYCLE_1)
	s_or_b32 exec_lo, exec_lo, s4
	v_mov_b32_e32 v76, 0
	ds_load_b64 v[76:77], v76 offset:64
	s_waitcnt lgkmcnt(0)
	v_mul_f64 v[67:68], v[67:68], v[76:77]
	scratch_store_b64 off, v[67:68], off offset:64
.LBB96_238:
	s_or_b32 exec_lo, exec_lo, s3
	scratch_load_b64 v[67:68], off, off offset:56
	v_cmp_lt_u32_e64 s1, 7, v0
	s_waitcnt vmcnt(0)
	ds_store_b64 v70, v[67:68]
	s_waitcnt lgkmcnt(0)
	s_waitcnt_vscnt null, 0x0
	s_barrier
	buffer_gl0_inv
	s_and_saveexec_b32 s3, s1
	s_cbranch_execz .LBB96_248
; %bb.239:
	s_and_not1_b32 vcc_lo, exec_lo, s2
	s_cbranch_vccnz .LBB96_241
; %bb.240:
	scratch_load_b64 v[67:68], v71, off
	ds_load_b64 v[76:77], v70
	s_waitcnt vmcnt(0) lgkmcnt(0)
	v_mul_f64 v[67:68], v[67:68], v[76:77]
	s_cbranch_execz .LBB96_242
	s_branch .LBB96_243
.LBB96_241:
                                        ; implicit-def: $vgpr67_vgpr68
.LBB96_242:
	ds_load_b64 v[67:68], v70
.LBB96_243:
	s_and_saveexec_b32 s4, s0
	s_cbranch_execz .LBB96_247
; %bb.244:
	v_add_nc_u32_e32 v76, -8, v0
	s_movk_i32 s5, 0x150
	s_mov_b32 s0, 0
.LBB96_245:                             ; =>This Inner Loop Header: Depth=1
	scratch_load_b64 v[77:78], v75, off
	v_dual_mov_b32 v79, s5 :: v_dual_add_nc_u32 v76, -1, v76
	v_add_nc_u32_e32 v75, 8, v75
	s_add_i32 s5, s5, 8
	ds_load_b64 v[79:80], v79
	v_cmp_eq_u32_e32 vcc_lo, 0, v76
	s_or_b32 s0, vcc_lo, s0
	s_waitcnt vmcnt(0) lgkmcnt(0)
	v_fma_f64 v[67:68], v[77:78], v[79:80], v[67:68]
	s_and_not1_b32 exec_lo, exec_lo, s0
	s_cbranch_execnz .LBB96_245
; %bb.246:
	s_or_b32 exec_lo, exec_lo, s0
.LBB96_247:
	s_delay_alu instid0(SALU_CYCLE_1)
	s_or_b32 exec_lo, exec_lo, s4
	v_mov_b32_e32 v75, 0
	ds_load_b64 v[75:76], v75 offset:56
	s_waitcnt lgkmcnt(0)
	v_mul_f64 v[67:68], v[67:68], v[75:76]
	scratch_store_b64 off, v[67:68], off offset:56
.LBB96_248:
	s_or_b32 exec_lo, exec_lo, s3
	scratch_load_b64 v[67:68], off, off offset:48
	v_cmp_lt_u32_e64 s0, 6, v0
	s_waitcnt vmcnt(0)
	ds_store_b64 v70, v[67:68]
	s_waitcnt lgkmcnt(0)
	s_waitcnt_vscnt null, 0x0
	s_barrier
	buffer_gl0_inv
	s_and_saveexec_b32 s3, s0
	s_cbranch_execz .LBB96_258
; %bb.249:
	s_and_not1_b32 vcc_lo, exec_lo, s2
	s_cbranch_vccnz .LBB96_251
; %bb.250:
	scratch_load_b64 v[67:68], v71, off
	ds_load_b64 v[75:76], v70
	s_waitcnt vmcnt(0) lgkmcnt(0)
	v_mul_f64 v[67:68], v[67:68], v[75:76]
	s_cbranch_execz .LBB96_252
	s_branch .LBB96_253
.LBB96_251:
                                        ; implicit-def: $vgpr67_vgpr68
.LBB96_252:
	ds_load_b64 v[67:68], v70
.LBB96_253:
	s_and_saveexec_b32 s4, s1
	s_cbranch_execz .LBB96_257
; %bb.254:
	v_add_nc_u32_e64 v75, 0, 56
	v_add_nc_u32_e32 v76, -7, v0
	s_movk_i32 s5, 0x148
	s_mov_b32 s1, 0
.LBB96_255:                             ; =>This Inner Loop Header: Depth=1
	scratch_load_b64 v[77:78], v75, off
	v_dual_mov_b32 v79, s5 :: v_dual_add_nc_u32 v76, -1, v76
	v_add_nc_u32_e32 v75, 8, v75
	s_add_i32 s5, s5, 8
	ds_load_b64 v[79:80], v79
	v_cmp_eq_u32_e32 vcc_lo, 0, v76
	s_or_b32 s1, vcc_lo, s1
	s_waitcnt vmcnt(0) lgkmcnt(0)
	v_fma_f64 v[67:68], v[77:78], v[79:80], v[67:68]
	s_and_not1_b32 exec_lo, exec_lo, s1
	s_cbranch_execnz .LBB96_255
; %bb.256:
	s_or_b32 exec_lo, exec_lo, s1
.LBB96_257:
	s_delay_alu instid0(SALU_CYCLE_1)
	s_or_b32 exec_lo, exec_lo, s4
	v_mov_b32_e32 v75, 0
	ds_load_b64 v[75:76], v75 offset:48
	s_waitcnt lgkmcnt(0)
	v_mul_f64 v[67:68], v[67:68], v[75:76]
	scratch_store_b64 off, v[67:68], off offset:48
.LBB96_258:
	s_or_b32 exec_lo, exec_lo, s3
	scratch_load_b64 v[67:68], off, off offset:40
	v_cmp_lt_u32_e64 s1, 5, v0
	s_waitcnt vmcnt(0)
	ds_store_b64 v70, v[67:68]
	s_waitcnt lgkmcnt(0)
	s_waitcnt_vscnt null, 0x0
	s_barrier
	buffer_gl0_inv
	s_and_saveexec_b32 s3, s1
	s_cbranch_execz .LBB96_268
; %bb.259:
	s_and_not1_b32 vcc_lo, exec_lo, s2
	s_cbranch_vccnz .LBB96_261
; %bb.260:
	scratch_load_b64 v[67:68], v71, off
	ds_load_b64 v[75:76], v70
	s_waitcnt vmcnt(0) lgkmcnt(0)
	v_mul_f64 v[67:68], v[67:68], v[75:76]
	s_cbranch_execz .LBB96_262
	s_branch .LBB96_263
.LBB96_261:
                                        ; implicit-def: $vgpr67_vgpr68
.LBB96_262:
	ds_load_b64 v[67:68], v70
.LBB96_263:
	s_and_saveexec_b32 s4, s0
	s_cbranch_execz .LBB96_267
; %bb.264:
	v_add_nc_u32_e32 v75, -6, v0
	s_movk_i32 s5, 0x140
	s_mov_b32 s0, 0
.LBB96_265:                             ; =>This Inner Loop Header: Depth=1
	scratch_load_b64 v[76:77], v74, off
	v_dual_mov_b32 v78, s5 :: v_dual_add_nc_u32 v75, -1, v75
	v_add_nc_u32_e32 v74, 8, v74
	s_add_i32 s5, s5, 8
	ds_load_b64 v[78:79], v78
	v_cmp_eq_u32_e32 vcc_lo, 0, v75
	s_or_b32 s0, vcc_lo, s0
	s_waitcnt vmcnt(0) lgkmcnt(0)
	v_fma_f64 v[67:68], v[76:77], v[78:79], v[67:68]
	s_and_not1_b32 exec_lo, exec_lo, s0
	s_cbranch_execnz .LBB96_265
; %bb.266:
	s_or_b32 exec_lo, exec_lo, s0
.LBB96_267:
	s_delay_alu instid0(SALU_CYCLE_1)
	s_or_b32 exec_lo, exec_lo, s4
	v_mov_b32_e32 v74, 0
	ds_load_b64 v[74:75], v74 offset:40
	s_waitcnt lgkmcnt(0)
	v_mul_f64 v[67:68], v[67:68], v[74:75]
	scratch_store_b64 off, v[67:68], off offset:40
.LBB96_268:
	s_or_b32 exec_lo, exec_lo, s3
	scratch_load_b64 v[67:68], off, off offset:32
	v_cmp_lt_u32_e64 s0, 4, v0
	s_waitcnt vmcnt(0)
	ds_store_b64 v70, v[67:68]
	s_waitcnt lgkmcnt(0)
	s_waitcnt_vscnt null, 0x0
	s_barrier
	buffer_gl0_inv
	s_and_saveexec_b32 s3, s0
	s_cbranch_execz .LBB96_278
; %bb.269:
	s_and_not1_b32 vcc_lo, exec_lo, s2
	s_cbranch_vccnz .LBB96_271
; %bb.270:
	scratch_load_b64 v[67:68], v71, off
	ds_load_b64 v[74:75], v70
	s_waitcnt vmcnt(0) lgkmcnt(0)
	v_mul_f64 v[67:68], v[67:68], v[74:75]
	s_cbranch_execz .LBB96_272
	s_branch .LBB96_273
.LBB96_271:
                                        ; implicit-def: $vgpr67_vgpr68
.LBB96_272:
	ds_load_b64 v[67:68], v70
.LBB96_273:
	s_and_saveexec_b32 s4, s1
	s_cbranch_execz .LBB96_277
; %bb.274:
	v_add_nc_u32_e64 v74, 0, 40
	v_add_nc_u32_e32 v75, -5, v0
	s_movk_i32 s5, 0x138
	s_mov_b32 s1, 0
.LBB96_275:                             ; =>This Inner Loop Header: Depth=1
	scratch_load_b64 v[76:77], v74, off
	v_dual_mov_b32 v78, s5 :: v_dual_add_nc_u32 v75, -1, v75
	v_add_nc_u32_e32 v74, 8, v74
	s_add_i32 s5, s5, 8
	ds_load_b64 v[78:79], v78
	v_cmp_eq_u32_e32 vcc_lo, 0, v75
	s_or_b32 s1, vcc_lo, s1
	s_waitcnt vmcnt(0) lgkmcnt(0)
	v_fma_f64 v[67:68], v[76:77], v[78:79], v[67:68]
	s_and_not1_b32 exec_lo, exec_lo, s1
	s_cbranch_execnz .LBB96_275
; %bb.276:
	s_or_b32 exec_lo, exec_lo, s1
.LBB96_277:
	s_delay_alu instid0(SALU_CYCLE_1)
	s_or_b32 exec_lo, exec_lo, s4
	v_mov_b32_e32 v74, 0
	ds_load_b64 v[74:75], v74 offset:32
	s_waitcnt lgkmcnt(0)
	v_mul_f64 v[67:68], v[67:68], v[74:75]
	scratch_store_b64 off, v[67:68], off offset:32
.LBB96_278:
	s_or_b32 exec_lo, exec_lo, s3
	scratch_load_b64 v[67:68], off, off offset:24
	v_cmp_lt_u32_e64 s1, 3, v0
	s_waitcnt vmcnt(0)
	ds_store_b64 v70, v[67:68]
	s_waitcnt lgkmcnt(0)
	s_waitcnt_vscnt null, 0x0
	s_barrier
	buffer_gl0_inv
	s_and_saveexec_b32 s3, s1
	s_cbranch_execz .LBB96_288
; %bb.279:
	s_and_not1_b32 vcc_lo, exec_lo, s2
	s_cbranch_vccnz .LBB96_281
; %bb.280:
	scratch_load_b64 v[67:68], v71, off
	ds_load_b64 v[74:75], v70
	s_waitcnt vmcnt(0) lgkmcnt(0)
	v_mul_f64 v[67:68], v[67:68], v[74:75]
	s_cbranch_execz .LBB96_282
	s_branch .LBB96_283
.LBB96_281:
                                        ; implicit-def: $vgpr67_vgpr68
.LBB96_282:
	ds_load_b64 v[67:68], v70
.LBB96_283:
	s_and_saveexec_b32 s4, s0
	s_cbranch_execz .LBB96_287
; %bb.284:
	v_add_nc_u32_e32 v74, -4, v0
	s_movk_i32 s5, 0x130
	s_mov_b32 s0, 0
.LBB96_285:                             ; =>This Inner Loop Header: Depth=1
	scratch_load_b64 v[75:76], v73, off
	v_dual_mov_b32 v77, s5 :: v_dual_add_nc_u32 v74, -1, v74
	v_add_nc_u32_e32 v73, 8, v73
	s_add_i32 s5, s5, 8
	ds_load_b64 v[77:78], v77
	v_cmp_eq_u32_e32 vcc_lo, 0, v74
	s_or_b32 s0, vcc_lo, s0
	s_waitcnt vmcnt(0) lgkmcnt(0)
	v_fma_f64 v[67:68], v[75:76], v[77:78], v[67:68]
	s_and_not1_b32 exec_lo, exec_lo, s0
	s_cbranch_execnz .LBB96_285
; %bb.286:
	s_or_b32 exec_lo, exec_lo, s0
.LBB96_287:
	s_delay_alu instid0(SALU_CYCLE_1)
	s_or_b32 exec_lo, exec_lo, s4
	v_mov_b32_e32 v73, 0
	ds_load_b64 v[73:74], v73 offset:24
	s_waitcnt lgkmcnt(0)
	v_mul_f64 v[67:68], v[67:68], v[73:74]
	scratch_store_b64 off, v[67:68], off offset:24
.LBB96_288:
	s_or_b32 exec_lo, exec_lo, s3
	scratch_load_b64 v[67:68], off, off offset:16
	v_cmp_lt_u32_e64 s0, 2, v0
	s_waitcnt vmcnt(0)
	ds_store_b64 v70, v[67:68]
	s_waitcnt lgkmcnt(0)
	s_waitcnt_vscnt null, 0x0
	s_barrier
	buffer_gl0_inv
	s_and_saveexec_b32 s3, s0
	s_cbranch_execz .LBB96_298
; %bb.289:
	s_and_not1_b32 vcc_lo, exec_lo, s2
	s_cbranch_vccnz .LBB96_291
; %bb.290:
	scratch_load_b64 v[67:68], v71, off
	ds_load_b64 v[73:74], v70
	s_waitcnt vmcnt(0) lgkmcnt(0)
	v_mul_f64 v[67:68], v[67:68], v[73:74]
	s_cbranch_execz .LBB96_292
	s_branch .LBB96_293
.LBB96_291:
                                        ; implicit-def: $vgpr67_vgpr68
.LBB96_292:
	ds_load_b64 v[67:68], v70
.LBB96_293:
	s_and_saveexec_b32 s4, s1
	s_cbranch_execz .LBB96_297
; %bb.294:
	v_add_nc_u32_e64 v73, 0, 24
	v_add_nc_u32_e32 v74, -3, v0
	s_movk_i32 s5, 0x128
	s_mov_b32 s1, 0
.LBB96_295:                             ; =>This Inner Loop Header: Depth=1
	scratch_load_b64 v[75:76], v73, off
	v_dual_mov_b32 v77, s5 :: v_dual_add_nc_u32 v74, -1, v74
	v_add_nc_u32_e32 v73, 8, v73
	s_add_i32 s5, s5, 8
	ds_load_b64 v[77:78], v77
	v_cmp_eq_u32_e32 vcc_lo, 0, v74
	s_or_b32 s1, vcc_lo, s1
	s_waitcnt vmcnt(0) lgkmcnt(0)
	v_fma_f64 v[67:68], v[75:76], v[77:78], v[67:68]
	s_and_not1_b32 exec_lo, exec_lo, s1
	s_cbranch_execnz .LBB96_295
; %bb.296:
	s_or_b32 exec_lo, exec_lo, s1
.LBB96_297:
	s_delay_alu instid0(SALU_CYCLE_1)
	s_or_b32 exec_lo, exec_lo, s4
	v_mov_b32_e32 v73, 0
	ds_load_b64 v[73:74], v73 offset:16
	s_waitcnt lgkmcnt(0)
	v_mul_f64 v[67:68], v[67:68], v[73:74]
	scratch_store_b64 off, v[67:68], off offset:16
.LBB96_298:
	s_or_b32 exec_lo, exec_lo, s3
	scratch_load_b64 v[67:68], off, off offset:8
	v_cmp_lt_u32_e64 s1, 1, v0
	s_waitcnt vmcnt(0)
	ds_store_b64 v70, v[67:68]
	s_waitcnt lgkmcnt(0)
	s_waitcnt_vscnt null, 0x0
	s_barrier
	buffer_gl0_inv
	s_and_saveexec_b32 s3, s1
	s_cbranch_execz .LBB96_308
; %bb.299:
	s_and_not1_b32 vcc_lo, exec_lo, s2
	s_cbranch_vccnz .LBB96_301
; %bb.300:
	scratch_load_b64 v[67:68], v71, off
	ds_load_b64 v[73:74], v70
	s_waitcnt vmcnt(0) lgkmcnt(0)
	v_mul_f64 v[67:68], v[67:68], v[73:74]
	s_cbranch_execz .LBB96_302
	s_branch .LBB96_303
.LBB96_301:
                                        ; implicit-def: $vgpr67_vgpr68
.LBB96_302:
	ds_load_b64 v[67:68], v70
.LBB96_303:
	s_and_saveexec_b32 s4, s0
	s_cbranch_execz .LBB96_307
; %bb.304:
	v_add_nc_u32_e32 v73, -2, v0
	s_movk_i32 s5, 0x120
	s_mov_b32 s0, 0
.LBB96_305:                             ; =>This Inner Loop Header: Depth=1
	scratch_load_b64 v[74:75], v72, off
	v_dual_mov_b32 v76, s5 :: v_dual_add_nc_u32 v73, -1, v73
	v_add_nc_u32_e32 v72, 8, v72
	s_add_i32 s5, s5, 8
	ds_load_b64 v[76:77], v76
	v_cmp_eq_u32_e32 vcc_lo, 0, v73
	s_or_b32 s0, vcc_lo, s0
	s_waitcnt vmcnt(0) lgkmcnt(0)
	v_fma_f64 v[67:68], v[74:75], v[76:77], v[67:68]
	s_and_not1_b32 exec_lo, exec_lo, s0
	s_cbranch_execnz .LBB96_305
; %bb.306:
	s_or_b32 exec_lo, exec_lo, s0
.LBB96_307:
	s_delay_alu instid0(SALU_CYCLE_1)
	s_or_b32 exec_lo, exec_lo, s4
	v_mov_b32_e32 v72, 0
	ds_load_b64 v[72:73], v72 offset:8
	s_waitcnt lgkmcnt(0)
	v_mul_f64 v[67:68], v[67:68], v[72:73]
	scratch_store_b64 off, v[67:68], off offset:8
.LBB96_308:
	s_or_b32 exec_lo, exec_lo, s3
	scratch_load_b64 v[67:68], off, off
	s_mov_b32 s0, 0
	s_mov_b32 s3, exec_lo
	s_waitcnt vmcnt(0)
	ds_store_b64 v70, v[67:68]
	s_waitcnt lgkmcnt(0)
	s_waitcnt_vscnt null, 0x0
	s_barrier
	buffer_gl0_inv
	v_cmpx_ne_u32_e32 0, v0
	s_cbranch_execz .LBB96_318
; %bb.309:
	s_and_not1_b32 vcc_lo, exec_lo, s2
	s_cbranch_vccnz .LBB96_311
; %bb.310:
	scratch_load_b64 v[67:68], v71, off
	ds_load_b64 v[72:73], v70
	s_waitcnt vmcnt(0) lgkmcnt(0)
	v_mul_f64 v[67:68], v[67:68], v[72:73]
	s_cbranch_execz .LBB96_312
	s_branch .LBB96_313
.LBB96_311:
                                        ; implicit-def: $vgpr67_vgpr68
.LBB96_312:
	ds_load_b64 v[67:68], v70
.LBB96_313:
	s_and_saveexec_b32 s4, s1
	s_cbranch_execz .LBB96_317
; %bb.314:
	v_or_b32_e64 v72, 0, 8
	v_add_nc_u32_e32 v73, -1, v0
	s_movk_i32 s5, 0x118
	s_mov_b32 s1, 0
.LBB96_315:                             ; =>This Inner Loop Header: Depth=1
	scratch_load_b64 v[74:75], v72, off
	v_dual_mov_b32 v76, s5 :: v_dual_add_nc_u32 v73, -1, v73
	v_add_nc_u32_e32 v72, 8, v72
	s_add_i32 s5, s5, 8
	ds_load_b64 v[76:77], v76
	v_cmp_eq_u32_e32 vcc_lo, 0, v73
	s_or_b32 s1, vcc_lo, s1
	s_waitcnt vmcnt(0) lgkmcnt(0)
	v_fma_f64 v[67:68], v[74:75], v[76:77], v[67:68]
	s_and_not1_b32 exec_lo, exec_lo, s1
	s_cbranch_execnz .LBB96_315
; %bb.316:
	s_or_b32 exec_lo, exec_lo, s1
.LBB96_317:
	s_delay_alu instid0(SALU_CYCLE_1)
	s_or_b32 exec_lo, exec_lo, s4
	v_mov_b32_e32 v72, 0
	ds_load_b64 v[72:73], v72
	s_waitcnt lgkmcnt(0)
	v_mul_f64 v[67:68], v[67:68], v[72:73]
	scratch_store_b64 off, v[67:68], off
.LBB96_318:
	s_or_b32 exec_lo, exec_lo, s3
.LBB96_319:
	s_delay_alu instid0(SALU_CYCLE_1)
	s_and_b32 vcc_lo, exec_lo, s0
	s_cbranch_vccz .LBB96_635
; %bb.320:
	scratch_load_b64 v[67:68], off, off offset:8
	v_cmp_eq_u32_e64 s0, 0, v0
	s_waitcnt vmcnt(0)
	ds_store_b64 v70, v[67:68]
	s_waitcnt lgkmcnt(0)
	s_waitcnt_vscnt null, 0x0
	s_barrier
	buffer_gl0_inv
	s_and_saveexec_b32 s1, s0
	s_cbranch_execz .LBB96_326
; %bb.321:
	s_and_b32 vcc_lo, exec_lo, s2
	s_cbranch_vccz .LBB96_323
; %bb.322:
	scratch_load_b64 v[67:68], v71, off
	ds_load_b64 v[72:73], v70
	s_waitcnt vmcnt(0) lgkmcnt(0)
	v_mul_f64 v[67:68], v[67:68], v[72:73]
	s_cbranch_execz .LBB96_324
	s_branch .LBB96_325
.LBB96_323:
                                        ; implicit-def: $vgpr67_vgpr68
.LBB96_324:
	ds_load_b64 v[67:68], v70
.LBB96_325:
	v_mov_b32_e32 v72, 0
	ds_load_b64 v[72:73], v72 offset:8
	s_waitcnt lgkmcnt(0)
	v_mul_f64 v[67:68], v[67:68], v[72:73]
	scratch_store_b64 off, v[67:68], off offset:8
.LBB96_326:
	s_or_b32 exec_lo, exec_lo, s1
	scratch_load_b64 v[67:68], off, off offset:16
	v_cndmask_b32_e64 v72, 0, 1, s2
	s_mov_b32 s1, exec_lo
	s_waitcnt vmcnt(0)
	ds_store_b64 v70, v[67:68]
	s_waitcnt lgkmcnt(0)
	s_waitcnt_vscnt null, 0x0
	s_barrier
	buffer_gl0_inv
	v_cmpx_gt_u32_e32 2, v0
	s_cbranch_execz .LBB96_334
; %bb.327:
	s_and_not1_b32 vcc_lo, exec_lo, s2
	s_cbranch_vccnz .LBB96_329
; %bb.328:
	scratch_load_b64 v[67:68], v71, off
	ds_load_b64 v[73:74], v70
	s_waitcnt vmcnt(0) lgkmcnt(0)
	v_mul_f64 v[67:68], v[67:68], v[73:74]
	s_cbranch_execz .LBB96_330
	s_branch .LBB96_331
.LBB96_329:
                                        ; implicit-def: $vgpr67_vgpr68
.LBB96_330:
	ds_load_b64 v[67:68], v70
.LBB96_331:
	s_and_saveexec_b32 s2, s0
	s_cbranch_execz .LBB96_333
; %bb.332:
	scratch_load_b64 v[73:74], v71, off offset:8
	ds_load_b64 v[75:76], v70 offset:8
	s_waitcnt vmcnt(0) lgkmcnt(0)
	v_fma_f64 v[67:68], v[73:74], v[75:76], v[67:68]
.LBB96_333:
	s_or_b32 exec_lo, exec_lo, s2
	v_mov_b32_e32 v73, 0
	ds_load_b64 v[73:74], v73 offset:16
	s_waitcnt lgkmcnt(0)
	v_mul_f64 v[67:68], v[67:68], v[73:74]
	scratch_store_b64 off, v[67:68], off offset:16
.LBB96_334:
	s_or_b32 exec_lo, exec_lo, s1
	scratch_load_b64 v[67:68], off, off offset:24
	s_mov_b32 s1, exec_lo
	s_waitcnt vmcnt(0)
	ds_store_b64 v70, v[67:68]
	s_waitcnt lgkmcnt(0)
	s_waitcnt_vscnt null, 0x0
	s_barrier
	buffer_gl0_inv
	v_cmpx_gt_u32_e32 3, v0
	s_cbranch_execz .LBB96_344
; %bb.335:
	v_cmp_ne_u32_e32 vcc_lo, 1, v72
	s_cbranch_vccnz .LBB96_337
; %bb.336:
	scratch_load_b64 v[67:68], v71, off
	ds_load_b64 v[73:74], v70
	s_waitcnt vmcnt(0) lgkmcnt(0)
	v_mul_f64 v[67:68], v[67:68], v[73:74]
	s_cbranch_execz .LBB96_338
	s_branch .LBB96_339
.LBB96_337:
                                        ; implicit-def: $vgpr67_vgpr68
.LBB96_338:
	ds_load_b64 v[67:68], v70
.LBB96_339:
	s_mov_b32 s2, exec_lo
	v_cmpx_ne_u32_e32 2, v0
	s_cbranch_execz .LBB96_343
; %bb.340:
	scratch_load_b64 v[73:74], v71, off offset:8
	ds_load_b64 v[75:76], v70 offset:8
	s_waitcnt vmcnt(0) lgkmcnt(0)
	v_fma_f64 v[67:68], v[73:74], v[75:76], v[67:68]
	s_and_saveexec_b32 s3, s0
	s_cbranch_execz .LBB96_342
; %bb.341:
	scratch_load_b64 v[73:74], off, off offset:16
	v_mov_b32_e32 v75, 0
	ds_load_b64 v[75:76], v75 offset:288
	s_waitcnt vmcnt(0) lgkmcnt(0)
	v_fma_f64 v[67:68], v[73:74], v[75:76], v[67:68]
.LBB96_342:
	s_or_b32 exec_lo, exec_lo, s3
.LBB96_343:
	s_delay_alu instid0(SALU_CYCLE_1)
	s_or_b32 exec_lo, exec_lo, s2
	v_mov_b32_e32 v73, 0
	ds_load_b64 v[73:74], v73 offset:24
	s_waitcnt lgkmcnt(0)
	v_mul_f64 v[67:68], v[67:68], v[73:74]
	scratch_store_b64 off, v[67:68], off offset:24
.LBB96_344:
	s_or_b32 exec_lo, exec_lo, s1
	scratch_load_b64 v[67:68], off, off offset:32
	s_mov_b32 s0, exec_lo
	s_waitcnt vmcnt(0)
	ds_store_b64 v70, v[67:68]
	s_waitcnt lgkmcnt(0)
	s_waitcnt_vscnt null, 0x0
	s_barrier
	buffer_gl0_inv
	v_cmpx_gt_u32_e32 4, v0
	s_cbranch_execz .LBB96_354
; %bb.345:
	v_cmp_ne_u32_e32 vcc_lo, 1, v72
	s_cbranch_vccnz .LBB96_347
; %bb.346:
	scratch_load_b64 v[67:68], v71, off
	ds_load_b64 v[73:74], v70
	s_waitcnt vmcnt(0) lgkmcnt(0)
	v_mul_f64 v[67:68], v[67:68], v[73:74]
	s_cbranch_execz .LBB96_348
	s_branch .LBB96_349
.LBB96_347:
                                        ; implicit-def: $vgpr67_vgpr68
.LBB96_348:
	ds_load_b64 v[67:68], v70
.LBB96_349:
	s_mov_b32 s1, exec_lo
	v_cmpx_ne_u32_e32 3, v0
	s_cbranch_execz .LBB96_353
; %bb.350:
	v_add_nc_u32_e32 v73, 0x118, v69
	v_add3_u32 v74, 0, v69, 8
	v_mov_b32_e32 v75, v0
	s_mov_b32 s2, 0
.LBB96_351:                             ; =>This Inner Loop Header: Depth=1
	scratch_load_b64 v[76:77], v74, off
	ds_load_b64 v[78:79], v73
	v_add_nc_u32_e32 v75, 1, v75
	v_add_nc_u32_e32 v73, 8, v73
	v_add_nc_u32_e32 v74, 8, v74
	s_delay_alu instid0(VALU_DEP_3)
	v_cmp_lt_u32_e32 vcc_lo, 2, v75
	s_or_b32 s2, vcc_lo, s2
	s_waitcnt vmcnt(0) lgkmcnt(0)
	v_fma_f64 v[67:68], v[76:77], v[78:79], v[67:68]
	s_and_not1_b32 exec_lo, exec_lo, s2
	s_cbranch_execnz .LBB96_351
; %bb.352:
	s_or_b32 exec_lo, exec_lo, s2
.LBB96_353:
	s_delay_alu instid0(SALU_CYCLE_1)
	s_or_b32 exec_lo, exec_lo, s1
	v_mov_b32_e32 v73, 0
	ds_load_b64 v[73:74], v73 offset:32
	s_waitcnt lgkmcnt(0)
	v_mul_f64 v[67:68], v[67:68], v[73:74]
	scratch_store_b64 off, v[67:68], off offset:32
.LBB96_354:
	s_or_b32 exec_lo, exec_lo, s0
	scratch_load_b64 v[67:68], off, off offset:40
	s_mov_b32 s0, exec_lo
	s_waitcnt vmcnt(0)
	ds_store_b64 v70, v[67:68]
	s_waitcnt lgkmcnt(0)
	s_waitcnt_vscnt null, 0x0
	s_barrier
	buffer_gl0_inv
	v_cmpx_gt_u32_e32 5, v0
	s_cbranch_execz .LBB96_364
; %bb.355:
	v_cmp_ne_u32_e32 vcc_lo, 1, v72
	s_cbranch_vccnz .LBB96_357
; %bb.356:
	scratch_load_b64 v[67:68], v71, off
	ds_load_b64 v[73:74], v70
	s_waitcnt vmcnt(0) lgkmcnt(0)
	v_mul_f64 v[67:68], v[67:68], v[73:74]
	s_cbranch_execz .LBB96_358
	s_branch .LBB96_359
.LBB96_357:
                                        ; implicit-def: $vgpr67_vgpr68
.LBB96_358:
	ds_load_b64 v[67:68], v70
.LBB96_359:
	s_mov_b32 s1, exec_lo
	v_cmpx_ne_u32_e32 4, v0
	s_cbranch_execz .LBB96_363
; %bb.360:
	v_add_nc_u32_e32 v73, 0x118, v69
	v_add3_u32 v74, 0, v69, 8
	v_mov_b32_e32 v75, v0
	s_mov_b32 s2, 0
.LBB96_361:                             ; =>This Inner Loop Header: Depth=1
	scratch_load_b64 v[76:77], v74, off
	ds_load_b64 v[78:79], v73
	v_add_nc_u32_e32 v75, 1, v75
	v_add_nc_u32_e32 v73, 8, v73
	v_add_nc_u32_e32 v74, 8, v74
	s_delay_alu instid0(VALU_DEP_3)
	v_cmp_lt_u32_e32 vcc_lo, 3, v75
	s_or_b32 s2, vcc_lo, s2
	s_waitcnt vmcnt(0) lgkmcnt(0)
	v_fma_f64 v[67:68], v[76:77], v[78:79], v[67:68]
	s_and_not1_b32 exec_lo, exec_lo, s2
	s_cbranch_execnz .LBB96_361
; %bb.362:
	s_or_b32 exec_lo, exec_lo, s2
.LBB96_363:
	s_delay_alu instid0(SALU_CYCLE_1)
	s_or_b32 exec_lo, exec_lo, s1
	v_mov_b32_e32 v73, 0
	ds_load_b64 v[73:74], v73 offset:40
	s_waitcnt lgkmcnt(0)
	v_mul_f64 v[67:68], v[67:68], v[73:74]
	scratch_store_b64 off, v[67:68], off offset:40
.LBB96_364:
	;; [unrolled: 58-line block ×27, first 2 shown]
	s_or_b32 exec_lo, exec_lo, s0
	scratch_load_b64 v[67:68], off, off offset:248
	v_cmp_gt_u32_e64 s0, 31, v0
	s_waitcnt vmcnt(0)
	ds_store_b64 v70, v[67:68]
	s_waitcnt lgkmcnt(0)
	s_waitcnt_vscnt null, 0x0
	s_barrier
	buffer_gl0_inv
	s_and_saveexec_b32 s1, s0
	s_cbranch_execz .LBB96_624
; %bb.615:
	v_cmp_ne_u32_e32 vcc_lo, 1, v72
	s_cbranch_vccnz .LBB96_617
; %bb.616:
	scratch_load_b64 v[67:68], v71, off
	ds_load_b64 v[73:74], v70
	s_waitcnt vmcnt(0) lgkmcnt(0)
	v_mul_f64 v[67:68], v[67:68], v[73:74]
	s_cbranch_execz .LBB96_618
	s_branch .LBB96_619
.LBB96_617:
                                        ; implicit-def: $vgpr67_vgpr68
.LBB96_618:
	ds_load_b64 v[67:68], v70
.LBB96_619:
	s_mov_b32 s2, exec_lo
	v_cmpx_ne_u32_e32 30, v0
	s_cbranch_execz .LBB96_623
; %bb.620:
	v_add_nc_u32_e32 v73, 0x118, v69
	v_add3_u32 v74, 0, v69, 8
	v_mov_b32_e32 v75, v0
	s_mov_b32 s3, 0
.LBB96_621:                             ; =>This Inner Loop Header: Depth=1
	scratch_load_b64 v[76:77], v74, off
	ds_load_b64 v[78:79], v73
	v_add_nc_u32_e32 v75, 1, v75
	v_add_nc_u32_e32 v73, 8, v73
	;; [unrolled: 1-line block ×3, first 2 shown]
	s_delay_alu instid0(VALU_DEP_3)
	v_cmp_lt_u32_e32 vcc_lo, 29, v75
	s_or_b32 s3, vcc_lo, s3
	s_waitcnt vmcnt(0) lgkmcnt(0)
	v_fma_f64 v[67:68], v[76:77], v[78:79], v[67:68]
	s_and_not1_b32 exec_lo, exec_lo, s3
	s_cbranch_execnz .LBB96_621
; %bb.622:
	s_or_b32 exec_lo, exec_lo, s3
.LBB96_623:
	s_delay_alu instid0(SALU_CYCLE_1)
	s_or_b32 exec_lo, exec_lo, s2
	v_mov_b32_e32 v73, 0
	ds_load_b64 v[73:74], v73 offset:248
	s_waitcnt lgkmcnt(0)
	v_mul_f64 v[67:68], v[67:68], v[73:74]
	scratch_store_b64 off, v[67:68], off offset:248
.LBB96_624:
	s_or_b32 exec_lo, exec_lo, s1
	scratch_load_b64 v[67:68], off, off offset:256
	s_mov_b32 s1, exec_lo
	s_waitcnt vmcnt(0)
	ds_store_b64 v70, v[67:68]
	s_waitcnt lgkmcnt(0)
	s_waitcnt_vscnt null, 0x0
	s_barrier
	buffer_gl0_inv
	v_cmpx_ne_u32_e32 32, v0
	s_cbranch_execz .LBB96_634
; %bb.625:
	v_cmp_ne_u32_e32 vcc_lo, 1, v72
	s_cbranch_vccnz .LBB96_627
; %bb.626:
	scratch_load_b64 v[67:68], v71, off
	ds_load_b64 v[71:72], v70
	s_waitcnt vmcnt(0) lgkmcnt(0)
	v_mul_f64 v[67:68], v[67:68], v[71:72]
	s_cbranch_execz .LBB96_628
	s_branch .LBB96_629
.LBB96_627:
                                        ; implicit-def: $vgpr67_vgpr68
.LBB96_628:
	ds_load_b64 v[67:68], v70
.LBB96_629:
	s_and_saveexec_b32 s2, s0
	s_cbranch_execz .LBB96_633
; %bb.630:
	v_add_nc_u32_e32 v70, 0x118, v69
	v_add3_u32 v69, 0, v69, 8
	s_mov_b32 s0, 0
.LBB96_631:                             ; =>This Inner Loop Header: Depth=1
	scratch_load_b64 v[71:72], v69, off
	ds_load_b64 v[73:74], v70
	v_add_nc_u32_e32 v0, 1, v0
	v_add_nc_u32_e32 v70, 8, v70
	v_add_nc_u32_e32 v69, 8, v69
	s_delay_alu instid0(VALU_DEP_3)
	v_cmp_lt_u32_e32 vcc_lo, 30, v0
	s_or_b32 s0, vcc_lo, s0
	s_waitcnt vmcnt(0) lgkmcnt(0)
	v_fma_f64 v[67:68], v[71:72], v[73:74], v[67:68]
	s_and_not1_b32 exec_lo, exec_lo, s0
	s_cbranch_execnz .LBB96_631
; %bb.632:
	s_or_b32 exec_lo, exec_lo, s0
.LBB96_633:
	s_delay_alu instid0(SALU_CYCLE_1)
	s_or_b32 exec_lo, exec_lo, s2
	v_mov_b32_e32 v0, 0
	ds_load_b64 v[69:70], v0 offset:256
	s_waitcnt lgkmcnt(0)
	v_mul_f64 v[67:68], v[67:68], v[69:70]
	scratch_store_b64 off, v[67:68], off offset:256
.LBB96_634:
	s_or_b32 exec_lo, exec_lo, s1
.LBB96_635:
	s_clause 0x7
	scratch_load_b128 v[67:70], off, off
	scratch_load_b128 v[71:74], off, off offset:16
	scratch_load_b128 v[75:78], off, off offset:32
	;; [unrolled: 1-line block ×7, first 2 shown]
	s_waitcnt vmcnt(7)
	s_clause 0x1
	global_store_b64 v[21:22], v[67:68], off
	global_store_b64 v[19:20], v[69:70], off
	s_waitcnt vmcnt(6)
	s_clause 0x1
	global_store_b64 v[15:16], v[71:72], off
	global_store_b64 v[9:10], v[73:74], off
	;; [unrolled: 4-line block ×3, first 2 shown]
	scratch_load_b128 v[75:78], off, off offset:176
	s_waitcnt vmcnt(5)
	s_clause 0x1
	global_store_b64 v[13:14], v[79:80], off
	global_store_b64 v[11:12], v[81:82], off
	s_waitcnt vmcnt(4)
	s_clause 0x1
	global_store_b64 v[7:8], v[83:84], off
	global_store_b64 v[3:4], v[85:86], off
	s_clause 0x7
	scratch_load_b128 v[19:22], off, off offset:112
	scratch_load_b128 v[67:70], off, off offset:128
	;; [unrolled: 1-line block ×7, first 2 shown]
	scratch_load_b64 v[79:80], off, off offset:256
	s_waitcnt vmcnt(11)
	s_clause 0x1
	global_store_b64 v[17:18], v[87:88], off
	global_store_b64 v[23:24], v[89:90], off
	s_waitcnt vmcnt(10)
	s_clause 0x1
	global_store_b64 v[25:26], v[91:92], off
	global_store_b64 v[27:28], v[93:94], off
	;; [unrolled: 4-line block ×5, first 2 shown]
	global_store_b64 v[41:42], v[95:96], off
	global_store_b64 v[43:44], v[97:98], off
	;; [unrolled: 1-line block ×4, first 2 shown]
	s_waitcnt vmcnt(4)
	s_clause 0x1
	global_store_b64 v[49:50], v[13:14], off
	global_store_b64 v[51:52], v[15:16], off
	s_waitcnt vmcnt(3)
	s_clause 0x1
	global_store_b64 v[53:54], v[9:10], off
	global_store_b64 v[55:56], v[11:12], off
	;; [unrolled: 4-line block ×4, first 2 shown]
	s_waitcnt vmcnt(0)
	global_store_b64 v[65:66], v[79:80], off
.LBB96_636:
	s_endpgm
	.section	.rodata,"a",@progbits
	.p2align	6, 0x0
	.amdhsa_kernel _ZN9rocsolver6v33100L18trti2_kernel_smallILi33EdPKPdEEv13rocblas_fill_17rocblas_diagonal_T1_iil
		.amdhsa_group_segment_fixed_size 536
		.amdhsa_private_segment_fixed_size 272
		.amdhsa_kernarg_size 32
		.amdhsa_user_sgpr_count 15
		.amdhsa_user_sgpr_dispatch_ptr 0
		.amdhsa_user_sgpr_queue_ptr 0
		.amdhsa_user_sgpr_kernarg_segment_ptr 1
		.amdhsa_user_sgpr_dispatch_id 0
		.amdhsa_user_sgpr_private_segment_size 0
		.amdhsa_wavefront_size32 1
		.amdhsa_uses_dynamic_stack 0
		.amdhsa_enable_private_segment 1
		.amdhsa_system_sgpr_workgroup_id_x 1
		.amdhsa_system_sgpr_workgroup_id_y 0
		.amdhsa_system_sgpr_workgroup_id_z 0
		.amdhsa_system_sgpr_workgroup_info 0
		.amdhsa_system_vgpr_workitem_id 0
		.amdhsa_next_free_vgpr 99
		.amdhsa_next_free_sgpr 16
		.amdhsa_reserve_vcc 1
		.amdhsa_float_round_mode_32 0
		.amdhsa_float_round_mode_16_64 0
		.amdhsa_float_denorm_mode_32 3
		.amdhsa_float_denorm_mode_16_64 3
		.amdhsa_dx10_clamp 1
		.amdhsa_ieee_mode 1
		.amdhsa_fp16_overflow 0
		.amdhsa_workgroup_processor_mode 1
		.amdhsa_memory_ordered 1
		.amdhsa_forward_progress 0
		.amdhsa_shared_vgpr_count 0
		.amdhsa_exception_fp_ieee_invalid_op 0
		.amdhsa_exception_fp_denorm_src 0
		.amdhsa_exception_fp_ieee_div_zero 0
		.amdhsa_exception_fp_ieee_overflow 0
		.amdhsa_exception_fp_ieee_underflow 0
		.amdhsa_exception_fp_ieee_inexact 0
		.amdhsa_exception_int_div_zero 0
	.end_amdhsa_kernel
	.section	.text._ZN9rocsolver6v33100L18trti2_kernel_smallILi33EdPKPdEEv13rocblas_fill_17rocblas_diagonal_T1_iil,"axG",@progbits,_ZN9rocsolver6v33100L18trti2_kernel_smallILi33EdPKPdEEv13rocblas_fill_17rocblas_diagonal_T1_iil,comdat
.Lfunc_end96:
	.size	_ZN9rocsolver6v33100L18trti2_kernel_smallILi33EdPKPdEEv13rocblas_fill_17rocblas_diagonal_T1_iil, .Lfunc_end96-_ZN9rocsolver6v33100L18trti2_kernel_smallILi33EdPKPdEEv13rocblas_fill_17rocblas_diagonal_T1_iil
                                        ; -- End function
	.section	.AMDGPU.csdata,"",@progbits
; Kernel info:
; codeLenInByte = 17844
; NumSgprs: 18
; NumVgprs: 99
; ScratchSize: 272
; MemoryBound: 0
; FloatMode: 240
; IeeeMode: 1
; LDSByteSize: 536 bytes/workgroup (compile time only)
; SGPRBlocks: 2
; VGPRBlocks: 12
; NumSGPRsForWavesPerEU: 18
; NumVGPRsForWavesPerEU: 99
; Occupancy: 12
; WaveLimiterHint : 1
; COMPUTE_PGM_RSRC2:SCRATCH_EN: 1
; COMPUTE_PGM_RSRC2:USER_SGPR: 15
; COMPUTE_PGM_RSRC2:TRAP_HANDLER: 0
; COMPUTE_PGM_RSRC2:TGID_X_EN: 1
; COMPUTE_PGM_RSRC2:TGID_Y_EN: 0
; COMPUTE_PGM_RSRC2:TGID_Z_EN: 0
; COMPUTE_PGM_RSRC2:TIDIG_COMP_CNT: 0
	.section	.text._ZN9rocsolver6v33100L18trti2_kernel_smallILi34EdPKPdEEv13rocblas_fill_17rocblas_diagonal_T1_iil,"axG",@progbits,_ZN9rocsolver6v33100L18trti2_kernel_smallILi34EdPKPdEEv13rocblas_fill_17rocblas_diagonal_T1_iil,comdat
	.globl	_ZN9rocsolver6v33100L18trti2_kernel_smallILi34EdPKPdEEv13rocblas_fill_17rocblas_diagonal_T1_iil ; -- Begin function _ZN9rocsolver6v33100L18trti2_kernel_smallILi34EdPKPdEEv13rocblas_fill_17rocblas_diagonal_T1_iil
	.p2align	8
	.type	_ZN9rocsolver6v33100L18trti2_kernel_smallILi34EdPKPdEEv13rocblas_fill_17rocblas_diagonal_T1_iil,@function
_ZN9rocsolver6v33100L18trti2_kernel_smallILi34EdPKPdEEv13rocblas_fill_17rocblas_diagonal_T1_iil: ; @_ZN9rocsolver6v33100L18trti2_kernel_smallILi34EdPKPdEEv13rocblas_fill_17rocblas_diagonal_T1_iil
; %bb.0:
	s_mov_b32 s2, exec_lo
	v_cmpx_gt_u32_e32 34, v0
	s_cbranch_execz .LBB97_656
; %bb.1:
	s_clause 0x1
	s_load_b64 s[4:5], s[0:1], 0x10
	s_load_b128 s[0:3], s[0:1], 0x0
	s_mov_b32 s6, s15
	s_ashr_i32 s7, s15, 31
	v_lshlrev_b32_e32 v71, 3, v0
	s_lshl_b64 s[6:7], s[6:7], 3
	s_waitcnt lgkmcnt(0)
	s_ashr_i32 s9, s4, 31
	s_add_u32 s2, s2, s6
	s_addc_u32 s3, s3, s7
	v_add3_u32 v1, s5, s5, v0
	s_load_b64 s[2:3], s[2:3], 0x0
	s_mov_b32 s8, s4
	s_mov_b32 s6, s5
	s_lshl_b64 s[8:9], s[8:9], 3
	v_add_nc_u32_e32 v3, s5, v1
	v_ashrrev_i32_e32 v2, 31, v1
	s_delay_alu instid0(VALU_DEP_2) | instskip(SKIP_1) | instid1(VALU_DEP_3)
	v_add_nc_u32_e32 v5, s5, v3
	v_ashrrev_i32_e32 v4, 31, v3
	v_lshlrev_b64 v[1:2], 3, v[1:2]
	s_delay_alu instid0(VALU_DEP_3) | instskip(NEXT) | instid1(VALU_DEP_3)
	v_add_nc_u32_e32 v7, s5, v5
	v_lshlrev_b64 v[3:4], 3, v[3:4]
	v_ashrrev_i32_e32 v6, 31, v5
	s_delay_alu instid0(VALU_DEP_3)
	v_ashrrev_i32_e32 v8, 31, v7
	s_waitcnt lgkmcnt(0)
	s_add_u32 s2, s2, s8
	s_addc_u32 s3, s3, s9
	v_add_co_u32 v13, s4, s2, v71
	s_ashr_i32 s7, s5, 31
	v_add_co_ci_u32_e64 v14, null, s3, 0, s4
	s_lshl_b64 s[6:7], s[6:7], 3
	v_lshlrev_b64 v[17:18], 3, v[7:8]
	v_add_co_u32 v15, vcc_lo, v13, s6
	s_delay_alu instid0(VALU_DEP_3)
	v_add_co_ci_u32_e32 v16, vcc_lo, s7, v14, vcc_lo
	v_add_co_u32 v9, vcc_lo, s2, v1
	v_add_co_ci_u32_e32 v10, vcc_lo, s3, v2, vcc_lo
	v_lshlrev_b64 v[5:6], 3, v[5:6]
	v_add_co_u32 v11, vcc_lo, s2, v3
	v_add_co_ci_u32_e32 v12, vcc_lo, s3, v4, vcc_lo
	v_add_co_u32 v1, vcc_lo, s2, v17
	s_clause 0x1
	global_load_b64 v[19:20], v71, s[2:3]
	global_load_b64 v[21:22], v[15:16], off
	v_add_co_ci_u32_e32 v2, vcc_lo, s3, v18, vcc_lo
	v_add_co_u32 v3, vcc_lo, s2, v5
	v_add_nc_u32_e32 v5, s5, v7
	v_add_co_ci_u32_e32 v4, vcc_lo, s3, v6, vcc_lo
	s_clause 0x3
	global_load_b64 v[29:30], v[1:2], off
	global_load_b64 v[35:36], v[9:10], off
	;; [unrolled: 1-line block ×4, first 2 shown]
	s_cmpk_lg_i32 s1, 0x84
	v_add_nc_u32_e32 v17, s5, v5
	v_ashrrev_i32_e32 v6, 31, v5
	s_delay_alu instid0(VALU_DEP_2) | instskip(NEXT) | instid1(VALU_DEP_2)
	v_ashrrev_i32_e32 v18, 31, v17
	v_lshlrev_b64 v[5:6], 3, v[5:6]
	s_delay_alu instid0(VALU_DEP_2) | instskip(SKIP_1) | instid1(VALU_DEP_3)
	v_lshlrev_b64 v[7:8], 3, v[17:18]
	v_add_nc_u32_e32 v17, s5, v17
	v_add_co_u32 v5, vcc_lo, s2, v5
	s_delay_alu instid0(VALU_DEP_4) | instskip(NEXT) | instid1(VALU_DEP_4)
	v_add_co_ci_u32_e32 v6, vcc_lo, s3, v6, vcc_lo
	v_add_co_u32 v7, vcc_lo, s2, v7
	v_add_co_ci_u32_e32 v8, vcc_lo, s3, v8, vcc_lo
	s_clause 0x1
	global_load_b64 v[39:40], v[5:6], off
	global_load_b64 v[41:42], v[7:8], off
	v_add_nc_u32_e32 v23, s5, v17
	v_ashrrev_i32_e32 v18, 31, v17
	s_delay_alu instid0(VALU_DEP_2) | instskip(NEXT) | instid1(VALU_DEP_2)
	v_add_nc_u32_e32 v25, s5, v23
	v_lshlrev_b64 v[17:18], 3, v[17:18]
	v_ashrrev_i32_e32 v24, 31, v23
	s_delay_alu instid0(VALU_DEP_3) | instskip(SKIP_1) | instid1(VALU_DEP_3)
	v_add_nc_u32_e32 v45, s5, v25
	v_ashrrev_i32_e32 v26, 31, v25
	v_lshlrev_b64 v[23:24], 3, v[23:24]
	s_delay_alu instid0(VALU_DEP_3) | instskip(SKIP_1) | instid1(VALU_DEP_4)
	v_add_nc_u32_e32 v47, s5, v45
	v_ashrrev_i32_e32 v46, 31, v45
	v_lshlrev_b64 v[25:26], 3, v[25:26]
	s_delay_alu instid0(VALU_DEP_3) | instskip(SKIP_1) | instid1(VALU_DEP_2)
	v_add_nc_u32_e32 v49, s5, v47
	v_ashrrev_i32_e32 v48, 31, v47
	v_add_nc_u32_e32 v55, s5, v49
	v_ashrrev_i32_e32 v50, 31, v49
	s_delay_alu instid0(VALU_DEP_2) | instskip(SKIP_1) | instid1(VALU_DEP_2)
	v_add_nc_u32_e32 v57, s5, v55
	v_ashrrev_i32_e32 v56, 31, v55
	v_add_nc_u32_e32 v59, s5, v57
	v_ashrrev_i32_e32 v58, 31, v57
	s_delay_alu instid0(VALU_DEP_2) | instskip(SKIP_1) | instid1(VALU_DEP_2)
	;; [unrolled: 5-line block ×10, first 2 shown]
	v_add_nc_u32_e32 v31, s5, v96
	v_ashrrev_i32_e32 v97, 31, v96
	v_ashrrev_i32_e32 v32, 31, v31
	s_delay_alu instid0(VALU_DEP_1) | instskip(SKIP_2) | instid1(VALU_DEP_3)
	v_lshlrev_b64 v[33:34], 3, v[31:32]
	v_add_co_u32 v31, vcc_lo, s2, v17
	v_add_co_ci_u32_e32 v32, vcc_lo, s3, v18, vcc_lo
	v_add_co_u32 v17, vcc_lo, s2, v33
	s_delay_alu instid0(VALU_DEP_4)
	v_add_co_ci_u32_e32 v18, vcc_lo, s3, v34, vcc_lo
	v_add_co_u32 v33, vcc_lo, s2, v23
	v_add_co_ci_u32_e32 v34, vcc_lo, s3, v24, vcc_lo
	v_add_co_u32 v23, vcc_lo, s2, v25
	s_clause 0x1
	global_load_b64 v[74:75], v[17:18], off
	global_load_b64 v[43:44], v[31:32], off
	v_add_co_ci_u32_e32 v24, vcc_lo, s3, v26, vcc_lo
	s_waitcnt vmcnt(8)
	scratch_store_b128 off, v[19:22], off
	v_lshlrev_b64 v[19:20], 3, v[45:46]
	global_load_b64 v[45:46], v[33:34], off
	v_lshlrev_b64 v[21:22], 3, v[47:48]
	v_lshlrev_b64 v[47:48], 3, v[49:50]
	s_waitcnt vmcnt(6)
	scratch_store_b128 off, v[35:38], off offset:16
	s_waitcnt vmcnt(5)
	scratch_store_b128 off, v[27:30], off offset:32
	v_add_co_u32 v25, vcc_lo, s2, v19
	v_add_co_ci_u32_e32 v26, vcc_lo, s3, v20, vcc_lo
	v_add_co_u32 v19, vcc_lo, s2, v21
	v_add_co_ci_u32_e32 v20, vcc_lo, s3, v22, vcc_lo
	;; [unrolled: 2-line block ×3, first 2 shown]
	v_lshlrev_b64 v[27:28], 3, v[55:56]
	s_clause 0x3
	global_load_b64 v[47:48], v[23:24], off
	global_load_b64 v[49:50], v[25:26], off
	;; [unrolled: 1-line block ×4, first 2 shown]
	v_lshlrev_b64 v[29:30], 3, v[57:58]
	v_lshlrev_b64 v[35:36], 3, v[59:60]
	;; [unrolled: 1-line block ×3, first 2 shown]
	v_add_co_u32 v27, vcc_lo, s2, v27
	v_add_co_ci_u32_e32 v28, vcc_lo, s3, v28, vcc_lo
	v_add_co_u32 v29, vcc_lo, s2, v29
	v_add_co_ci_u32_e32 v30, vcc_lo, s3, v30, vcc_lo
	s_waitcnt vmcnt(7)
	scratch_store_b128 off, v[39:42], off offset:48
	s_clause 0x1
	global_load_b64 v[55:56], v[27:28], off
	global_load_b64 v[57:58], v[29:30], off
	v_add_co_u32 v35, vcc_lo, s2, v35
	v_lshlrev_b64 v[39:40], 3, v[63:64]
	v_add_co_ci_u32_e32 v36, vcc_lo, s3, v36, vcc_lo
	v_add_co_u32 v37, vcc_lo, s2, v37
	v_lshlrev_b64 v[41:42], 3, v[65:66]
	v_add_co_ci_u32_e32 v38, vcc_lo, s3, v38, vcc_lo
	v_add_co_u32 v39, vcc_lo, s2, v39
	v_add_co_ci_u32_e32 v40, vcc_lo, s3, v40, vcc_lo
	s_delay_alu instid0(VALU_DEP_4)
	v_add_co_u32 v41, vcc_lo, s2, v41
	v_add_co_ci_u32_e32 v42, vcc_lo, s3, v42, vcc_lo
	s_waitcnt vmcnt(6)
	scratch_store_b128 off, v[43:46], off offset:64
	v_lshlrev_b64 v[43:44], 3, v[67:68]
	v_lshlrev_b64 v[45:46], 3, v[69:70]
	s_clause 0x1
	global_load_b64 v[59:60], v[35:36], off
	global_load_b64 v[61:62], v[37:38], off
	s_waitcnt vmcnt(6)
	scratch_store_b128 off, v[47:50], off offset:80
	s_waitcnt vmcnt(4)
	scratch_store_b128 off, v[51:54], off offset:96
	v_add_co_u32 v43, vcc_lo, s2, v43
	v_add_co_ci_u32_e32 v44, vcc_lo, s3, v44, vcc_lo
	v_add_co_u32 v45, vcc_lo, s2, v45
	v_add_co_ci_u32_e32 v46, vcc_lo, s3, v46, vcc_lo
	v_lshlrev_b64 v[47:48], 3, v[72:73]
	s_clause 0x3
	global_load_b64 v[63:64], v[39:40], off
	global_load_b64 v[65:66], v[41:42], off
	;; [unrolled: 1-line block ×4, first 2 shown]
	v_lshlrev_b64 v[49:50], 3, v[76:77]
	v_lshlrev_b64 v[51:52], 3, v[80:81]
	;; [unrolled: 1-line block ×4, first 2 shown]
	v_add_co_u32 v47, vcc_lo, s2, v47
	v_add_co_ci_u32_e32 v48, vcc_lo, s3, v48, vcc_lo
	v_add_co_u32 v49, vcc_lo, s2, v49
	v_add_co_ci_u32_e32 v50, vcc_lo, s3, v50, vcc_lo
	s_waitcnt vmcnt(6)
	scratch_store_b128 off, v[55:58], off offset:112
	s_clause 0x1
	global_load_b64 v[76:77], v[47:48], off
	global_load_b64 v[78:79], v[49:50], off
	v_add_co_u32 v51, vcc_lo, s2, v51
	v_lshlrev_b64 v[55:56], 3, v[84:85]
	v_add_co_ci_u32_e32 v52, vcc_lo, s3, v52, vcc_lo
	v_add_co_u32 v53, vcc_lo, s2, v53
	v_lshlrev_b64 v[57:58], 3, v[86:87]
	v_add_co_ci_u32_e32 v54, vcc_lo, s3, v54, vcc_lo
	v_add_co_u32 v55, vcc_lo, s2, v55
	v_add_co_ci_u32_e32 v56, vcc_lo, s3, v56, vcc_lo
	s_delay_alu instid0(VALU_DEP_4)
	v_add_co_u32 v57, vcc_lo, s2, v57
	v_add_co_ci_u32_e32 v58, vcc_lo, s3, v58, vcc_lo
	global_load_b64 v[80:81], v[51:52], off
	s_waitcnt vmcnt(7)
	scratch_store_b128 off, v[59:62], off offset:128
	v_lshlrev_b64 v[59:60], 3, v[88:89]
	v_lshlrev_b64 v[61:62], 3, v[90:91]
	s_waitcnt vmcnt(5)
	scratch_store_b128 off, v[63:66], off offset:144
	s_waitcnt vmcnt(3)
	scratch_store_b128 off, v[67:70], off offset:160
	v_add_co_u32 v59, vcc_lo, s2, v59
	v_add_co_ci_u32_e32 v60, vcc_lo, s3, v60, vcc_lo
	v_add_co_u32 v63, vcc_lo, s2, v61
	v_add_co_ci_u32_e32 v64, vcc_lo, s3, v62, vcc_lo
	v_lshlrev_b64 v[61:62], 3, v[94:95]
	v_add_co_u32 v65, vcc_lo, s2, v72
	v_lshlrev_b64 v[69:70], 3, v[96:97]
	v_add_co_ci_u32_e32 v66, vcc_lo, s3, v73, vcc_lo
	s_delay_alu instid0(VALU_DEP_4) | instskip(SKIP_1) | instid1(VALU_DEP_4)
	v_add_co_u32 v67, vcc_lo, s2, v61
	v_add_co_ci_u32_e32 v68, vcc_lo, s3, v62, vcc_lo
	v_add_co_u32 v61, vcc_lo, s2, v69
	v_add_co_ci_u32_e32 v62, vcc_lo, s3, v70, vcc_lo
	s_clause 0x3
	global_load_b64 v[82:83], v[53:54], off
	global_load_b64 v[84:85], v[55:56], off
	global_load_b64 v[86:87], v[57:58], off
	global_load_b64 v[88:89], v[59:60], off
	s_waitcnt vmcnt(5)
	scratch_store_b128 off, v[76:79], off offset:176
	s_clause 0x3
	global_load_b64 v[90:91], v[63:64], off
	global_load_b64 v[76:77], v[65:66], off
	;; [unrolled: 1-line block ×4, first 2 shown]
	v_mov_b32_e32 v69, 0
	v_mov_b32_e32 v70, 0xbff00000
	s_cselect_b32 s2, -1, 0
	s_cmpk_eq_i32 s1, 0x84
	s_waitcnt vmcnt(7)
	scratch_store_b128 off, v[80:83], off offset:192
	s_waitcnt vmcnt(5)
	scratch_store_b128 off, v[84:87], off offset:208
	;; [unrolled: 2-line block ×5, first 2 shown]
	s_cbranch_scc1 .LBB97_3
; %bb.2:
	scratch_load_b64 v[69:70], v71, off
	s_waitcnt vmcnt(0)
	v_div_scale_f64 v[72:73], null, v[69:70], v[69:70], 1.0
	v_div_scale_f64 v[78:79], vcc_lo, 1.0, v[69:70], 1.0
	s_delay_alu instid0(VALU_DEP_2) | instskip(SKIP_2) | instid1(VALU_DEP_1)
	v_rcp_f64_e32 v[74:75], v[72:73]
	s_waitcnt_depctr 0xfff
	v_fma_f64 v[76:77], -v[72:73], v[74:75], 1.0
	v_fma_f64 v[74:75], v[74:75], v[76:77], v[74:75]
	s_delay_alu instid0(VALU_DEP_1) | instskip(NEXT) | instid1(VALU_DEP_1)
	v_fma_f64 v[76:77], -v[72:73], v[74:75], 1.0
	v_fma_f64 v[74:75], v[74:75], v[76:77], v[74:75]
	s_delay_alu instid0(VALU_DEP_1) | instskip(NEXT) | instid1(VALU_DEP_1)
	v_mul_f64 v[76:77], v[78:79], v[74:75]
	v_fma_f64 v[72:73], -v[72:73], v[76:77], v[78:79]
	s_delay_alu instid0(VALU_DEP_1) | instskip(NEXT) | instid1(VALU_DEP_1)
	v_div_fmas_f64 v[72:73], v[72:73], v[74:75], v[76:77]
	v_div_fixup_f64 v[69:70], v[72:73], v[69:70], 1.0
	scratch_store_b64 v71, v[69:70], off
	v_xor_b32_e32 v70, 0x80000000, v70
.LBB97_3:
	v_add_nc_u32_e32 v72, 0x110, v71
	v_add_nc_u32_e32 v73, 0, v71
	s_cmpk_eq_i32 s0, 0x79
	s_mov_b32 s0, -1
	ds_store_b64 v71, v[69:70]
	s_cbranch_scc1 .LBB97_329
; %bb.4:
	scratch_load_b64 v[69:70], off, off offset:256
	v_cmp_eq_u32_e64 s0, 33, v0
	s_movk_i32 s1, 0x50
	s_movk_i32 s3, 0x60
	;; [unrolled: 1-line block ×11, first 2 shown]
	s_waitcnt vmcnt(0)
	ds_store_b64 v72, v[69:70]
	s_waitcnt lgkmcnt(0)
	s_waitcnt_vscnt null, 0x0
	s_barrier
	buffer_gl0_inv
	s_and_saveexec_b32 s13, s0
	s_cbranch_execz .LBB97_10
; %bb.5:
	s_and_b32 vcc_lo, exec_lo, s2
	s_cbranch_vccz .LBB97_7
; %bb.6:
	scratch_load_b64 v[69:70], v73, off
	ds_load_b64 v[74:75], v72
	s_waitcnt vmcnt(0) lgkmcnt(0)
	v_mul_f64 v[69:70], v[69:70], v[74:75]
	s_cbranch_execz .LBB97_8
	s_branch .LBB97_9
.LBB97_7:
                                        ; implicit-def: $vgpr69_vgpr70
.LBB97_8:
	ds_load_b64 v[69:70], v72
.LBB97_9:
	v_mov_b32_e32 v74, 0
	ds_load_b64 v[74:75], v74 offset:256
	s_waitcnt lgkmcnt(0)
	v_mul_f64 v[69:70], v[69:70], v[74:75]
	scratch_store_b64 off, v[69:70], off offset:256
.LBB97_10:
	s_or_b32 exec_lo, exec_lo, s13
	scratch_load_b64 v[69:70], off, off offset:248
	v_add_nc_u32_e64 v74, 0, 16
	v_add_nc_u32_e64 v75, 0, 32
	;; [unrolled: 1-line block ×15, first 2 shown]
	v_cmp_lt_u32_e64 s1, 31, v0
	s_waitcnt vmcnt(0)
	ds_store_b64 v72, v[69:70]
	s_waitcnt lgkmcnt(0)
	s_waitcnt_vscnt null, 0x0
	s_barrier
	buffer_gl0_inv
	s_and_saveexec_b32 s3, s1
	s_cbranch_execz .LBB97_18
; %bb.11:
	s_and_not1_b32 vcc_lo, exec_lo, s2
	s_cbranch_vccnz .LBB97_13
; %bb.12:
	scratch_load_b64 v[69:70], v73, off
	ds_load_b64 v[89:90], v72
	s_waitcnt vmcnt(0) lgkmcnt(0)
	v_mul_f64 v[69:70], v[69:70], v[89:90]
	s_cbranch_execz .LBB97_14
	s_branch .LBB97_15
.LBB97_13:
                                        ; implicit-def: $vgpr69_vgpr70
.LBB97_14:
	ds_load_b64 v[69:70], v72
.LBB97_15:
	s_and_saveexec_b32 s4, s0
	s_cbranch_execz .LBB97_17
; %bb.16:
	scratch_load_b64 v[89:90], off, off offset:256
	v_mov_b32_e32 v91, 0
	ds_load_b64 v[91:92], v91 offset:528
	s_waitcnt vmcnt(0) lgkmcnt(0)
	v_fma_f64 v[69:70], v[89:90], v[91:92], v[69:70]
.LBB97_17:
	s_or_b32 exec_lo, exec_lo, s4
	v_mov_b32_e32 v89, 0
	ds_load_b64 v[89:90], v89 offset:248
	s_waitcnt lgkmcnt(0)
	v_mul_f64 v[69:70], v[69:70], v[89:90]
	scratch_store_b64 off, v[69:70], off offset:248
.LBB97_18:
	s_or_b32 exec_lo, exec_lo, s3
	scratch_load_b64 v[69:70], off, off offset:240
	v_cmp_lt_u32_e64 s0, 30, v0
	s_waitcnt vmcnt(0)
	ds_store_b64 v72, v[69:70]
	s_waitcnt lgkmcnt(0)
	s_waitcnt_vscnt null, 0x0
	s_barrier
	buffer_gl0_inv
	s_and_saveexec_b32 s3, s0
	s_cbranch_execz .LBB97_28
; %bb.19:
	s_and_not1_b32 vcc_lo, exec_lo, s2
	s_cbranch_vccnz .LBB97_21
; %bb.20:
	scratch_load_b64 v[69:70], v73, off
	ds_load_b64 v[89:90], v72
	s_waitcnt vmcnt(0) lgkmcnt(0)
	v_mul_f64 v[69:70], v[69:70], v[89:90]
	s_cbranch_execz .LBB97_22
	s_branch .LBB97_23
.LBB97_21:
                                        ; implicit-def: $vgpr69_vgpr70
.LBB97_22:
	ds_load_b64 v[69:70], v72
.LBB97_23:
	s_and_saveexec_b32 s4, s1
	s_cbranch_execz .LBB97_27
; %bb.24:
	v_mov_b32_e32 v89, 0
	v_subrev_nc_u32_e32 v90, 31, v0
	s_movk_i32 s5, 0x208
	s_mov_b32 s1, 0
	s_delay_alu instid0(VALU_DEP_2)
	v_add_nc_u32_e32 v89, 0xf8, v89
.LBB97_25:                              ; =>This Inner Loop Header: Depth=1
	scratch_load_b64 v[91:92], v89, off
	v_dual_mov_b32 v93, s5 :: v_dual_add_nc_u32 v90, -1, v90
	v_add_nc_u32_e32 v89, 8, v89
	s_add_i32 s5, s5, 8
	ds_load_b64 v[93:94], v93
	v_cmp_eq_u32_e32 vcc_lo, 0, v90
	s_or_b32 s1, vcc_lo, s1
	s_waitcnt vmcnt(0) lgkmcnt(0)
	v_fma_f64 v[69:70], v[91:92], v[93:94], v[69:70]
	s_and_not1_b32 exec_lo, exec_lo, s1
	s_cbranch_execnz .LBB97_25
; %bb.26:
	s_or_b32 exec_lo, exec_lo, s1
.LBB97_27:
	s_delay_alu instid0(SALU_CYCLE_1)
	s_or_b32 exec_lo, exec_lo, s4
	v_mov_b32_e32 v89, 0
	ds_load_b64 v[89:90], v89 offset:240
	s_waitcnt lgkmcnt(0)
	v_mul_f64 v[69:70], v[69:70], v[89:90]
	scratch_store_b64 off, v[69:70], off offset:240
.LBB97_28:
	s_or_b32 exec_lo, exec_lo, s3
	scratch_load_b64 v[69:70], off, off offset:232
	v_cmp_lt_u32_e64 s1, 29, v0
	s_waitcnt vmcnt(0)
	ds_store_b64 v72, v[69:70]
	s_waitcnt lgkmcnt(0)
	s_waitcnt_vscnt null, 0x0
	s_barrier
	buffer_gl0_inv
	s_and_saveexec_b32 s3, s1
	s_cbranch_execz .LBB97_38
; %bb.29:
	s_and_not1_b32 vcc_lo, exec_lo, s2
	s_cbranch_vccnz .LBB97_31
; %bb.30:
	scratch_load_b64 v[69:70], v73, off
	ds_load_b64 v[89:90], v72
	s_waitcnt vmcnt(0) lgkmcnt(0)
	v_mul_f64 v[69:70], v[69:70], v[89:90]
	s_cbranch_execz .LBB97_32
	s_branch .LBB97_33
.LBB97_31:
                                        ; implicit-def: $vgpr69_vgpr70
.LBB97_32:
	ds_load_b64 v[69:70], v72
.LBB97_33:
	s_and_saveexec_b32 s4, s0
	s_cbranch_execz .LBB97_37
; %bb.34:
	v_subrev_nc_u32_e32 v89, 30, v0
	s_movk_i32 s5, 0x200
	s_mov_b32 s0, 0
.LBB97_35:                              ; =>This Inner Loop Header: Depth=1
	scratch_load_b64 v[90:91], v88, off
	v_dual_mov_b32 v92, s5 :: v_dual_add_nc_u32 v89, -1, v89
	v_add_nc_u32_e32 v88, 8, v88
	s_add_i32 s5, s5, 8
	ds_load_b64 v[92:93], v92
	v_cmp_eq_u32_e32 vcc_lo, 0, v89
	s_or_b32 s0, vcc_lo, s0
	s_waitcnt vmcnt(0) lgkmcnt(0)
	v_fma_f64 v[69:70], v[90:91], v[92:93], v[69:70]
	s_and_not1_b32 exec_lo, exec_lo, s0
	s_cbranch_execnz .LBB97_35
; %bb.36:
	s_or_b32 exec_lo, exec_lo, s0
.LBB97_37:
	s_delay_alu instid0(SALU_CYCLE_1)
	s_or_b32 exec_lo, exec_lo, s4
	v_mov_b32_e32 v88, 0
	ds_load_b64 v[88:89], v88 offset:232
	s_waitcnt lgkmcnt(0)
	v_mul_f64 v[69:70], v[69:70], v[88:89]
	scratch_store_b64 off, v[69:70], off offset:232
.LBB97_38:
	s_or_b32 exec_lo, exec_lo, s3
	scratch_load_b64 v[69:70], off, off offset:224
	v_cmp_lt_u32_e64 s0, 28, v0
	s_waitcnt vmcnt(0)
	ds_store_b64 v72, v[69:70]
	s_waitcnt lgkmcnt(0)
	s_waitcnt_vscnt null, 0x0
	s_barrier
	buffer_gl0_inv
	s_and_saveexec_b32 s3, s0
	s_cbranch_execz .LBB97_48
; %bb.39:
	s_and_not1_b32 vcc_lo, exec_lo, s2
	s_cbranch_vccnz .LBB97_41
; %bb.40:
	scratch_load_b64 v[69:70], v73, off
	ds_load_b64 v[88:89], v72
	s_waitcnt vmcnt(0) lgkmcnt(0)
	v_mul_f64 v[69:70], v[69:70], v[88:89]
	s_cbranch_execz .LBB97_42
	s_branch .LBB97_43
.LBB97_41:
                                        ; implicit-def: $vgpr69_vgpr70
.LBB97_42:
	ds_load_b64 v[69:70], v72
.LBB97_43:
	s_and_saveexec_b32 s4, s1
	s_cbranch_execz .LBB97_47
; %bb.44:
	v_mov_b32_e32 v88, 0
	v_subrev_nc_u32_e32 v89, 29, v0
	s_movk_i32 s5, 0x1f8
	s_mov_b32 s1, 0
	s_delay_alu instid0(VALU_DEP_2)
	v_add_nc_u32_e32 v88, 0xe8, v88
.LBB97_45:                              ; =>This Inner Loop Header: Depth=1
	scratch_load_b64 v[90:91], v88, off
	v_dual_mov_b32 v92, s5 :: v_dual_add_nc_u32 v89, -1, v89
	v_add_nc_u32_e32 v88, 8, v88
	s_add_i32 s5, s5, 8
	ds_load_b64 v[92:93], v92
	v_cmp_eq_u32_e32 vcc_lo, 0, v89
	s_or_b32 s1, vcc_lo, s1
	s_waitcnt vmcnt(0) lgkmcnt(0)
	v_fma_f64 v[69:70], v[90:91], v[92:93], v[69:70]
	s_and_not1_b32 exec_lo, exec_lo, s1
	s_cbranch_execnz .LBB97_45
; %bb.46:
	s_or_b32 exec_lo, exec_lo, s1
.LBB97_47:
	s_delay_alu instid0(SALU_CYCLE_1)
	s_or_b32 exec_lo, exec_lo, s4
	v_mov_b32_e32 v88, 0
	ds_load_b64 v[88:89], v88 offset:224
	s_waitcnt lgkmcnt(0)
	v_mul_f64 v[69:70], v[69:70], v[88:89]
	scratch_store_b64 off, v[69:70], off offset:224
.LBB97_48:
	s_or_b32 exec_lo, exec_lo, s3
	scratch_load_b64 v[69:70], off, off offset:216
	v_cmp_lt_u32_e64 s1, 27, v0
	s_waitcnt vmcnt(0)
	ds_store_b64 v72, v[69:70]
	s_waitcnt lgkmcnt(0)
	s_waitcnt_vscnt null, 0x0
	s_barrier
	buffer_gl0_inv
	s_and_saveexec_b32 s3, s1
	s_cbranch_execz .LBB97_58
; %bb.49:
	s_and_not1_b32 vcc_lo, exec_lo, s2
	s_cbranch_vccnz .LBB97_51
; %bb.50:
	scratch_load_b64 v[69:70], v73, off
	ds_load_b64 v[88:89], v72
	s_waitcnt vmcnt(0) lgkmcnt(0)
	v_mul_f64 v[69:70], v[69:70], v[88:89]
	s_cbranch_execz .LBB97_52
	s_branch .LBB97_53
.LBB97_51:
                                        ; implicit-def: $vgpr69_vgpr70
.LBB97_52:
	ds_load_b64 v[69:70], v72
.LBB97_53:
	s_and_saveexec_b32 s4, s0
	s_cbranch_execz .LBB97_57
; %bb.54:
	v_subrev_nc_u32_e32 v88, 28, v0
	s_movk_i32 s5, 0x1f0
	s_mov_b32 s0, 0
.LBB97_55:                              ; =>This Inner Loop Header: Depth=1
	scratch_load_b64 v[89:90], v87, off
	v_dual_mov_b32 v91, s5 :: v_dual_add_nc_u32 v88, -1, v88
	v_add_nc_u32_e32 v87, 8, v87
	s_add_i32 s5, s5, 8
	ds_load_b64 v[91:92], v91
	v_cmp_eq_u32_e32 vcc_lo, 0, v88
	s_or_b32 s0, vcc_lo, s0
	s_waitcnt vmcnt(0) lgkmcnt(0)
	v_fma_f64 v[69:70], v[89:90], v[91:92], v[69:70]
	s_and_not1_b32 exec_lo, exec_lo, s0
	s_cbranch_execnz .LBB97_55
; %bb.56:
	s_or_b32 exec_lo, exec_lo, s0
.LBB97_57:
	s_delay_alu instid0(SALU_CYCLE_1)
	s_or_b32 exec_lo, exec_lo, s4
	v_mov_b32_e32 v87, 0
	ds_load_b64 v[87:88], v87 offset:216
	s_waitcnt lgkmcnt(0)
	v_mul_f64 v[69:70], v[69:70], v[87:88]
	scratch_store_b64 off, v[69:70], off offset:216
.LBB97_58:
	s_or_b32 exec_lo, exec_lo, s3
	scratch_load_b64 v[69:70], off, off offset:208
	v_cmp_lt_u32_e64 s0, 26, v0
	s_waitcnt vmcnt(0)
	ds_store_b64 v72, v[69:70]
	s_waitcnt lgkmcnt(0)
	s_waitcnt_vscnt null, 0x0
	s_barrier
	buffer_gl0_inv
	s_and_saveexec_b32 s3, s0
	s_cbranch_execz .LBB97_68
; %bb.59:
	s_and_not1_b32 vcc_lo, exec_lo, s2
	s_cbranch_vccnz .LBB97_61
; %bb.60:
	scratch_load_b64 v[69:70], v73, off
	ds_load_b64 v[87:88], v72
	s_waitcnt vmcnt(0) lgkmcnt(0)
	v_mul_f64 v[69:70], v[69:70], v[87:88]
	s_cbranch_execz .LBB97_62
	s_branch .LBB97_63
.LBB97_61:
                                        ; implicit-def: $vgpr69_vgpr70
.LBB97_62:
	ds_load_b64 v[69:70], v72
.LBB97_63:
	s_and_saveexec_b32 s4, s1
	s_cbranch_execz .LBB97_67
; %bb.64:
	v_mov_b32_e32 v87, 0
	v_subrev_nc_u32_e32 v88, 27, v0
	s_movk_i32 s5, 0x1e8
	s_mov_b32 s1, 0
	s_delay_alu instid0(VALU_DEP_2)
	v_add_nc_u32_e32 v87, 0xd8, v87
.LBB97_65:                              ; =>This Inner Loop Header: Depth=1
	scratch_load_b64 v[89:90], v87, off
	v_dual_mov_b32 v91, s5 :: v_dual_add_nc_u32 v88, -1, v88
	v_add_nc_u32_e32 v87, 8, v87
	s_add_i32 s5, s5, 8
	ds_load_b64 v[91:92], v91
	v_cmp_eq_u32_e32 vcc_lo, 0, v88
	s_or_b32 s1, vcc_lo, s1
	s_waitcnt vmcnt(0) lgkmcnt(0)
	v_fma_f64 v[69:70], v[89:90], v[91:92], v[69:70]
	s_and_not1_b32 exec_lo, exec_lo, s1
	s_cbranch_execnz .LBB97_65
; %bb.66:
	s_or_b32 exec_lo, exec_lo, s1
.LBB97_67:
	s_delay_alu instid0(SALU_CYCLE_1)
	s_or_b32 exec_lo, exec_lo, s4
	v_mov_b32_e32 v87, 0
	ds_load_b64 v[87:88], v87 offset:208
	s_waitcnt lgkmcnt(0)
	v_mul_f64 v[69:70], v[69:70], v[87:88]
	scratch_store_b64 off, v[69:70], off offset:208
.LBB97_68:
	s_or_b32 exec_lo, exec_lo, s3
	scratch_load_b64 v[69:70], off, off offset:200
	v_cmp_lt_u32_e64 s1, 25, v0
	s_waitcnt vmcnt(0)
	ds_store_b64 v72, v[69:70]
	s_waitcnt lgkmcnt(0)
	s_waitcnt_vscnt null, 0x0
	s_barrier
	buffer_gl0_inv
	s_and_saveexec_b32 s3, s1
	s_cbranch_execz .LBB97_78
; %bb.69:
	s_and_not1_b32 vcc_lo, exec_lo, s2
	s_cbranch_vccnz .LBB97_71
; %bb.70:
	scratch_load_b64 v[69:70], v73, off
	ds_load_b64 v[87:88], v72
	s_waitcnt vmcnt(0) lgkmcnt(0)
	v_mul_f64 v[69:70], v[69:70], v[87:88]
	s_cbranch_execz .LBB97_72
	s_branch .LBB97_73
.LBB97_71:
                                        ; implicit-def: $vgpr69_vgpr70
.LBB97_72:
	ds_load_b64 v[69:70], v72
.LBB97_73:
	s_and_saveexec_b32 s4, s0
	s_cbranch_execz .LBB97_77
; %bb.74:
	v_subrev_nc_u32_e32 v87, 26, v0
	s_movk_i32 s5, 0x1e0
	s_mov_b32 s0, 0
.LBB97_75:                              ; =>This Inner Loop Header: Depth=1
	scratch_load_b64 v[88:89], v86, off
	v_dual_mov_b32 v90, s5 :: v_dual_add_nc_u32 v87, -1, v87
	v_add_nc_u32_e32 v86, 8, v86
	s_add_i32 s5, s5, 8
	ds_load_b64 v[90:91], v90
	v_cmp_eq_u32_e32 vcc_lo, 0, v87
	s_or_b32 s0, vcc_lo, s0
	s_waitcnt vmcnt(0) lgkmcnt(0)
	v_fma_f64 v[69:70], v[88:89], v[90:91], v[69:70]
	s_and_not1_b32 exec_lo, exec_lo, s0
	s_cbranch_execnz .LBB97_75
; %bb.76:
	s_or_b32 exec_lo, exec_lo, s0
.LBB97_77:
	s_delay_alu instid0(SALU_CYCLE_1)
	s_or_b32 exec_lo, exec_lo, s4
	v_mov_b32_e32 v86, 0
	ds_load_b64 v[86:87], v86 offset:200
	s_waitcnt lgkmcnt(0)
	v_mul_f64 v[69:70], v[69:70], v[86:87]
	scratch_store_b64 off, v[69:70], off offset:200
.LBB97_78:
	s_or_b32 exec_lo, exec_lo, s3
	scratch_load_b64 v[69:70], off, off offset:192
	v_cmp_lt_u32_e64 s0, 24, v0
	s_waitcnt vmcnt(0)
	ds_store_b64 v72, v[69:70]
	s_waitcnt lgkmcnt(0)
	s_waitcnt_vscnt null, 0x0
	s_barrier
	buffer_gl0_inv
	s_and_saveexec_b32 s3, s0
	s_cbranch_execz .LBB97_88
; %bb.79:
	s_and_not1_b32 vcc_lo, exec_lo, s2
	s_cbranch_vccnz .LBB97_81
; %bb.80:
	scratch_load_b64 v[69:70], v73, off
	ds_load_b64 v[86:87], v72
	s_waitcnt vmcnt(0) lgkmcnt(0)
	v_mul_f64 v[69:70], v[69:70], v[86:87]
	s_cbranch_execz .LBB97_82
	s_branch .LBB97_83
.LBB97_81:
                                        ; implicit-def: $vgpr69_vgpr70
.LBB97_82:
	ds_load_b64 v[69:70], v72
.LBB97_83:
	s_and_saveexec_b32 s4, s1
	s_cbranch_execz .LBB97_87
; %bb.84:
	v_mov_b32_e32 v86, 0
	v_subrev_nc_u32_e32 v87, 25, v0
	s_movk_i32 s5, 0x1d8
	s_mov_b32 s1, 0
	s_delay_alu instid0(VALU_DEP_2)
	v_add_nc_u32_e32 v86, 0xc8, v86
.LBB97_85:                              ; =>This Inner Loop Header: Depth=1
	scratch_load_b64 v[88:89], v86, off
	v_dual_mov_b32 v90, s5 :: v_dual_add_nc_u32 v87, -1, v87
	v_add_nc_u32_e32 v86, 8, v86
	s_add_i32 s5, s5, 8
	ds_load_b64 v[90:91], v90
	v_cmp_eq_u32_e32 vcc_lo, 0, v87
	s_or_b32 s1, vcc_lo, s1
	s_waitcnt vmcnt(0) lgkmcnt(0)
	v_fma_f64 v[69:70], v[88:89], v[90:91], v[69:70]
	s_and_not1_b32 exec_lo, exec_lo, s1
	s_cbranch_execnz .LBB97_85
; %bb.86:
	s_or_b32 exec_lo, exec_lo, s1
.LBB97_87:
	s_delay_alu instid0(SALU_CYCLE_1)
	s_or_b32 exec_lo, exec_lo, s4
	v_mov_b32_e32 v86, 0
	ds_load_b64 v[86:87], v86 offset:192
	s_waitcnt lgkmcnt(0)
	v_mul_f64 v[69:70], v[69:70], v[86:87]
	scratch_store_b64 off, v[69:70], off offset:192
.LBB97_88:
	s_or_b32 exec_lo, exec_lo, s3
	scratch_load_b64 v[69:70], off, off offset:184
	v_cmp_lt_u32_e64 s1, 23, v0
	s_waitcnt vmcnt(0)
	ds_store_b64 v72, v[69:70]
	s_waitcnt lgkmcnt(0)
	s_waitcnt_vscnt null, 0x0
	s_barrier
	buffer_gl0_inv
	s_and_saveexec_b32 s3, s1
	s_cbranch_execz .LBB97_98
; %bb.89:
	s_and_not1_b32 vcc_lo, exec_lo, s2
	s_cbranch_vccnz .LBB97_91
; %bb.90:
	scratch_load_b64 v[69:70], v73, off
	ds_load_b64 v[86:87], v72
	s_waitcnt vmcnt(0) lgkmcnt(0)
	v_mul_f64 v[69:70], v[69:70], v[86:87]
	s_cbranch_execz .LBB97_92
	s_branch .LBB97_93
.LBB97_91:
                                        ; implicit-def: $vgpr69_vgpr70
.LBB97_92:
	ds_load_b64 v[69:70], v72
.LBB97_93:
	s_and_saveexec_b32 s4, s0
	s_cbranch_execz .LBB97_97
; %bb.94:
	v_subrev_nc_u32_e32 v86, 24, v0
	s_movk_i32 s5, 0x1d0
	s_mov_b32 s0, 0
.LBB97_95:                              ; =>This Inner Loop Header: Depth=1
	scratch_load_b64 v[87:88], v85, off
	v_dual_mov_b32 v89, s5 :: v_dual_add_nc_u32 v86, -1, v86
	v_add_nc_u32_e32 v85, 8, v85
	s_add_i32 s5, s5, 8
	ds_load_b64 v[89:90], v89
	v_cmp_eq_u32_e32 vcc_lo, 0, v86
	s_or_b32 s0, vcc_lo, s0
	s_waitcnt vmcnt(0) lgkmcnt(0)
	v_fma_f64 v[69:70], v[87:88], v[89:90], v[69:70]
	s_and_not1_b32 exec_lo, exec_lo, s0
	s_cbranch_execnz .LBB97_95
; %bb.96:
	s_or_b32 exec_lo, exec_lo, s0
.LBB97_97:
	s_delay_alu instid0(SALU_CYCLE_1)
	s_or_b32 exec_lo, exec_lo, s4
	v_mov_b32_e32 v85, 0
	ds_load_b64 v[85:86], v85 offset:184
	s_waitcnt lgkmcnt(0)
	v_mul_f64 v[69:70], v[69:70], v[85:86]
	scratch_store_b64 off, v[69:70], off offset:184
.LBB97_98:
	s_or_b32 exec_lo, exec_lo, s3
	scratch_load_b64 v[69:70], off, off offset:176
	v_cmp_lt_u32_e64 s0, 22, v0
	s_waitcnt vmcnt(0)
	ds_store_b64 v72, v[69:70]
	s_waitcnt lgkmcnt(0)
	s_waitcnt_vscnt null, 0x0
	s_barrier
	buffer_gl0_inv
	s_and_saveexec_b32 s3, s0
	s_cbranch_execz .LBB97_108
; %bb.99:
	s_and_not1_b32 vcc_lo, exec_lo, s2
	s_cbranch_vccnz .LBB97_101
; %bb.100:
	scratch_load_b64 v[69:70], v73, off
	ds_load_b64 v[85:86], v72
	s_waitcnt vmcnt(0) lgkmcnt(0)
	v_mul_f64 v[69:70], v[69:70], v[85:86]
	s_cbranch_execz .LBB97_102
	s_branch .LBB97_103
.LBB97_101:
                                        ; implicit-def: $vgpr69_vgpr70
.LBB97_102:
	ds_load_b64 v[69:70], v72
.LBB97_103:
	s_and_saveexec_b32 s4, s1
	s_cbranch_execz .LBB97_107
; %bb.104:
	v_mov_b32_e32 v85, 0
	v_subrev_nc_u32_e32 v86, 23, v0
	s_movk_i32 s5, 0x1c8
	s_mov_b32 s1, 0
	s_delay_alu instid0(VALU_DEP_2)
	v_add_nc_u32_e32 v85, 0xb8, v85
.LBB97_105:                             ; =>This Inner Loop Header: Depth=1
	scratch_load_b64 v[87:88], v85, off
	v_dual_mov_b32 v89, s5 :: v_dual_add_nc_u32 v86, -1, v86
	v_add_nc_u32_e32 v85, 8, v85
	s_add_i32 s5, s5, 8
	ds_load_b64 v[89:90], v89
	v_cmp_eq_u32_e32 vcc_lo, 0, v86
	s_or_b32 s1, vcc_lo, s1
	s_waitcnt vmcnt(0) lgkmcnt(0)
	v_fma_f64 v[69:70], v[87:88], v[89:90], v[69:70]
	s_and_not1_b32 exec_lo, exec_lo, s1
	s_cbranch_execnz .LBB97_105
; %bb.106:
	s_or_b32 exec_lo, exec_lo, s1
.LBB97_107:
	s_delay_alu instid0(SALU_CYCLE_1)
	s_or_b32 exec_lo, exec_lo, s4
	v_mov_b32_e32 v85, 0
	ds_load_b64 v[85:86], v85 offset:176
	s_waitcnt lgkmcnt(0)
	v_mul_f64 v[69:70], v[69:70], v[85:86]
	scratch_store_b64 off, v[69:70], off offset:176
.LBB97_108:
	s_or_b32 exec_lo, exec_lo, s3
	scratch_load_b64 v[69:70], off, off offset:168
	v_cmp_lt_u32_e64 s1, 21, v0
	s_waitcnt vmcnt(0)
	ds_store_b64 v72, v[69:70]
	s_waitcnt lgkmcnt(0)
	s_waitcnt_vscnt null, 0x0
	s_barrier
	buffer_gl0_inv
	s_and_saveexec_b32 s3, s1
	s_cbranch_execz .LBB97_118
; %bb.109:
	s_and_not1_b32 vcc_lo, exec_lo, s2
	s_cbranch_vccnz .LBB97_111
; %bb.110:
	scratch_load_b64 v[69:70], v73, off
	ds_load_b64 v[85:86], v72
	s_waitcnt vmcnt(0) lgkmcnt(0)
	v_mul_f64 v[69:70], v[69:70], v[85:86]
	s_cbranch_execz .LBB97_112
	s_branch .LBB97_113
.LBB97_111:
                                        ; implicit-def: $vgpr69_vgpr70
.LBB97_112:
	ds_load_b64 v[69:70], v72
.LBB97_113:
	s_and_saveexec_b32 s4, s0
	s_cbranch_execz .LBB97_117
; %bb.114:
	v_subrev_nc_u32_e32 v85, 22, v0
	s_movk_i32 s5, 0x1c0
	s_mov_b32 s0, 0
.LBB97_115:                             ; =>This Inner Loop Header: Depth=1
	scratch_load_b64 v[86:87], v84, off
	v_dual_mov_b32 v88, s5 :: v_dual_add_nc_u32 v85, -1, v85
	v_add_nc_u32_e32 v84, 8, v84
	s_add_i32 s5, s5, 8
	ds_load_b64 v[88:89], v88
	v_cmp_eq_u32_e32 vcc_lo, 0, v85
	s_or_b32 s0, vcc_lo, s0
	s_waitcnt vmcnt(0) lgkmcnt(0)
	v_fma_f64 v[69:70], v[86:87], v[88:89], v[69:70]
	s_and_not1_b32 exec_lo, exec_lo, s0
	s_cbranch_execnz .LBB97_115
; %bb.116:
	s_or_b32 exec_lo, exec_lo, s0
.LBB97_117:
	s_delay_alu instid0(SALU_CYCLE_1)
	s_or_b32 exec_lo, exec_lo, s4
	v_mov_b32_e32 v84, 0
	ds_load_b64 v[84:85], v84 offset:168
	s_waitcnt lgkmcnt(0)
	v_mul_f64 v[69:70], v[69:70], v[84:85]
	scratch_store_b64 off, v[69:70], off offset:168
.LBB97_118:
	s_or_b32 exec_lo, exec_lo, s3
	scratch_load_b64 v[69:70], off, off offset:160
	v_cmp_lt_u32_e64 s0, 20, v0
	s_waitcnt vmcnt(0)
	ds_store_b64 v72, v[69:70]
	s_waitcnt lgkmcnt(0)
	s_waitcnt_vscnt null, 0x0
	s_barrier
	buffer_gl0_inv
	s_and_saveexec_b32 s3, s0
	s_cbranch_execz .LBB97_128
; %bb.119:
	s_and_not1_b32 vcc_lo, exec_lo, s2
	s_cbranch_vccnz .LBB97_121
; %bb.120:
	scratch_load_b64 v[69:70], v73, off
	ds_load_b64 v[84:85], v72
	s_waitcnt vmcnt(0) lgkmcnt(0)
	v_mul_f64 v[69:70], v[69:70], v[84:85]
	s_cbranch_execz .LBB97_122
	s_branch .LBB97_123
.LBB97_121:
                                        ; implicit-def: $vgpr69_vgpr70
.LBB97_122:
	ds_load_b64 v[69:70], v72
.LBB97_123:
	s_and_saveexec_b32 s4, s1
	s_cbranch_execz .LBB97_127
; %bb.124:
	v_mov_b32_e32 v84, 0
	v_subrev_nc_u32_e32 v85, 21, v0
	s_movk_i32 s5, 0x1b8
	s_mov_b32 s1, 0
	s_delay_alu instid0(VALU_DEP_2)
	v_add_nc_u32_e32 v84, 0xa8, v84
.LBB97_125:                             ; =>This Inner Loop Header: Depth=1
	scratch_load_b64 v[86:87], v84, off
	v_dual_mov_b32 v88, s5 :: v_dual_add_nc_u32 v85, -1, v85
	v_add_nc_u32_e32 v84, 8, v84
	s_add_i32 s5, s5, 8
	ds_load_b64 v[88:89], v88
	v_cmp_eq_u32_e32 vcc_lo, 0, v85
	s_or_b32 s1, vcc_lo, s1
	s_waitcnt vmcnt(0) lgkmcnt(0)
	v_fma_f64 v[69:70], v[86:87], v[88:89], v[69:70]
	s_and_not1_b32 exec_lo, exec_lo, s1
	s_cbranch_execnz .LBB97_125
; %bb.126:
	s_or_b32 exec_lo, exec_lo, s1
.LBB97_127:
	s_delay_alu instid0(SALU_CYCLE_1)
	s_or_b32 exec_lo, exec_lo, s4
	v_mov_b32_e32 v84, 0
	ds_load_b64 v[84:85], v84 offset:160
	s_waitcnt lgkmcnt(0)
	v_mul_f64 v[69:70], v[69:70], v[84:85]
	scratch_store_b64 off, v[69:70], off offset:160
.LBB97_128:
	s_or_b32 exec_lo, exec_lo, s3
	scratch_load_b64 v[69:70], off, off offset:152
	v_cmp_lt_u32_e64 s1, 19, v0
	s_waitcnt vmcnt(0)
	ds_store_b64 v72, v[69:70]
	s_waitcnt lgkmcnt(0)
	s_waitcnt_vscnt null, 0x0
	s_barrier
	buffer_gl0_inv
	s_and_saveexec_b32 s3, s1
	s_cbranch_execz .LBB97_138
; %bb.129:
	s_and_not1_b32 vcc_lo, exec_lo, s2
	s_cbranch_vccnz .LBB97_131
; %bb.130:
	scratch_load_b64 v[69:70], v73, off
	ds_load_b64 v[84:85], v72
	s_waitcnt vmcnt(0) lgkmcnt(0)
	v_mul_f64 v[69:70], v[69:70], v[84:85]
	s_cbranch_execz .LBB97_132
	s_branch .LBB97_133
.LBB97_131:
                                        ; implicit-def: $vgpr69_vgpr70
.LBB97_132:
	ds_load_b64 v[69:70], v72
.LBB97_133:
	s_and_saveexec_b32 s4, s0
	s_cbranch_execz .LBB97_137
; %bb.134:
	v_subrev_nc_u32_e32 v84, 20, v0
	s_movk_i32 s5, 0x1b0
	s_mov_b32 s0, 0
.LBB97_135:                             ; =>This Inner Loop Header: Depth=1
	scratch_load_b64 v[85:86], v83, off
	v_dual_mov_b32 v87, s5 :: v_dual_add_nc_u32 v84, -1, v84
	v_add_nc_u32_e32 v83, 8, v83
	s_add_i32 s5, s5, 8
	ds_load_b64 v[87:88], v87
	v_cmp_eq_u32_e32 vcc_lo, 0, v84
	s_or_b32 s0, vcc_lo, s0
	s_waitcnt vmcnt(0) lgkmcnt(0)
	v_fma_f64 v[69:70], v[85:86], v[87:88], v[69:70]
	s_and_not1_b32 exec_lo, exec_lo, s0
	s_cbranch_execnz .LBB97_135
; %bb.136:
	s_or_b32 exec_lo, exec_lo, s0
.LBB97_137:
	s_delay_alu instid0(SALU_CYCLE_1)
	s_or_b32 exec_lo, exec_lo, s4
	v_mov_b32_e32 v83, 0
	ds_load_b64 v[83:84], v83 offset:152
	s_waitcnt lgkmcnt(0)
	v_mul_f64 v[69:70], v[69:70], v[83:84]
	scratch_store_b64 off, v[69:70], off offset:152
.LBB97_138:
	s_or_b32 exec_lo, exec_lo, s3
	scratch_load_b64 v[69:70], off, off offset:144
	v_cmp_lt_u32_e64 s0, 18, v0
	s_waitcnt vmcnt(0)
	ds_store_b64 v72, v[69:70]
	s_waitcnt lgkmcnt(0)
	s_waitcnt_vscnt null, 0x0
	s_barrier
	buffer_gl0_inv
	s_and_saveexec_b32 s3, s0
	s_cbranch_execz .LBB97_148
; %bb.139:
	s_and_not1_b32 vcc_lo, exec_lo, s2
	s_cbranch_vccnz .LBB97_141
; %bb.140:
	scratch_load_b64 v[69:70], v73, off
	ds_load_b64 v[83:84], v72
	s_waitcnt vmcnt(0) lgkmcnt(0)
	v_mul_f64 v[69:70], v[69:70], v[83:84]
	s_cbranch_execz .LBB97_142
	s_branch .LBB97_143
.LBB97_141:
                                        ; implicit-def: $vgpr69_vgpr70
.LBB97_142:
	ds_load_b64 v[69:70], v72
.LBB97_143:
	s_and_saveexec_b32 s4, s1
	s_cbranch_execz .LBB97_147
; %bb.144:
	v_mov_b32_e32 v83, 0
	v_subrev_nc_u32_e32 v84, 19, v0
	s_movk_i32 s5, 0x1a8
	s_mov_b32 s1, 0
	s_delay_alu instid0(VALU_DEP_2)
	v_add_nc_u32_e32 v83, 0x98, v83
.LBB97_145:                             ; =>This Inner Loop Header: Depth=1
	scratch_load_b64 v[85:86], v83, off
	v_dual_mov_b32 v87, s5 :: v_dual_add_nc_u32 v84, -1, v84
	v_add_nc_u32_e32 v83, 8, v83
	s_add_i32 s5, s5, 8
	ds_load_b64 v[87:88], v87
	v_cmp_eq_u32_e32 vcc_lo, 0, v84
	s_or_b32 s1, vcc_lo, s1
	s_waitcnt vmcnt(0) lgkmcnt(0)
	v_fma_f64 v[69:70], v[85:86], v[87:88], v[69:70]
	s_and_not1_b32 exec_lo, exec_lo, s1
	s_cbranch_execnz .LBB97_145
; %bb.146:
	s_or_b32 exec_lo, exec_lo, s1
.LBB97_147:
	s_delay_alu instid0(SALU_CYCLE_1)
	s_or_b32 exec_lo, exec_lo, s4
	v_mov_b32_e32 v83, 0
	ds_load_b64 v[83:84], v83 offset:144
	s_waitcnt lgkmcnt(0)
	v_mul_f64 v[69:70], v[69:70], v[83:84]
	scratch_store_b64 off, v[69:70], off offset:144
.LBB97_148:
	s_or_b32 exec_lo, exec_lo, s3
	scratch_load_b64 v[69:70], off, off offset:136
	v_cmp_lt_u32_e64 s1, 17, v0
	s_waitcnt vmcnt(0)
	ds_store_b64 v72, v[69:70]
	s_waitcnt lgkmcnt(0)
	s_waitcnt_vscnt null, 0x0
	s_barrier
	buffer_gl0_inv
	s_and_saveexec_b32 s3, s1
	s_cbranch_execz .LBB97_158
; %bb.149:
	s_and_not1_b32 vcc_lo, exec_lo, s2
	s_cbranch_vccnz .LBB97_151
; %bb.150:
	scratch_load_b64 v[69:70], v73, off
	ds_load_b64 v[83:84], v72
	s_waitcnt vmcnt(0) lgkmcnt(0)
	v_mul_f64 v[69:70], v[69:70], v[83:84]
	s_cbranch_execz .LBB97_152
	s_branch .LBB97_153
.LBB97_151:
                                        ; implicit-def: $vgpr69_vgpr70
.LBB97_152:
	ds_load_b64 v[69:70], v72
.LBB97_153:
	s_and_saveexec_b32 s4, s0
	s_cbranch_execz .LBB97_157
; %bb.154:
	v_subrev_nc_u32_e32 v83, 18, v0
	s_movk_i32 s5, 0x1a0
	s_mov_b32 s0, 0
.LBB97_155:                             ; =>This Inner Loop Header: Depth=1
	scratch_load_b64 v[84:85], v82, off
	v_dual_mov_b32 v86, s5 :: v_dual_add_nc_u32 v83, -1, v83
	v_add_nc_u32_e32 v82, 8, v82
	s_add_i32 s5, s5, 8
	ds_load_b64 v[86:87], v86
	v_cmp_eq_u32_e32 vcc_lo, 0, v83
	s_or_b32 s0, vcc_lo, s0
	s_waitcnt vmcnt(0) lgkmcnt(0)
	v_fma_f64 v[69:70], v[84:85], v[86:87], v[69:70]
	s_and_not1_b32 exec_lo, exec_lo, s0
	s_cbranch_execnz .LBB97_155
; %bb.156:
	s_or_b32 exec_lo, exec_lo, s0
.LBB97_157:
	s_delay_alu instid0(SALU_CYCLE_1)
	s_or_b32 exec_lo, exec_lo, s4
	v_mov_b32_e32 v82, 0
	ds_load_b64 v[82:83], v82 offset:136
	s_waitcnt lgkmcnt(0)
	v_mul_f64 v[69:70], v[69:70], v[82:83]
	scratch_store_b64 off, v[69:70], off offset:136
.LBB97_158:
	s_or_b32 exec_lo, exec_lo, s3
	scratch_load_b64 v[69:70], off, off offset:128
	v_cmp_lt_u32_e64 s0, 16, v0
	s_waitcnt vmcnt(0)
	ds_store_b64 v72, v[69:70]
	s_waitcnt lgkmcnt(0)
	s_waitcnt_vscnt null, 0x0
	s_barrier
	buffer_gl0_inv
	s_and_saveexec_b32 s3, s0
	s_cbranch_execz .LBB97_168
; %bb.159:
	s_and_not1_b32 vcc_lo, exec_lo, s2
	s_cbranch_vccnz .LBB97_161
; %bb.160:
	scratch_load_b64 v[69:70], v73, off
	ds_load_b64 v[82:83], v72
	s_waitcnt vmcnt(0) lgkmcnt(0)
	v_mul_f64 v[69:70], v[69:70], v[82:83]
	s_cbranch_execz .LBB97_162
	s_branch .LBB97_163
.LBB97_161:
                                        ; implicit-def: $vgpr69_vgpr70
.LBB97_162:
	ds_load_b64 v[69:70], v72
.LBB97_163:
	s_and_saveexec_b32 s4, s1
	s_cbranch_execz .LBB97_167
; %bb.164:
	v_mov_b32_e32 v82, 0
	v_subrev_nc_u32_e32 v83, 17, v0
	s_movk_i32 s5, 0x198
	s_mov_b32 s1, 0
	s_delay_alu instid0(VALU_DEP_2)
	v_add_nc_u32_e32 v82, 0x88, v82
.LBB97_165:                             ; =>This Inner Loop Header: Depth=1
	scratch_load_b64 v[84:85], v82, off
	v_dual_mov_b32 v86, s5 :: v_dual_add_nc_u32 v83, -1, v83
	v_add_nc_u32_e32 v82, 8, v82
	s_add_i32 s5, s5, 8
	ds_load_b64 v[86:87], v86
	v_cmp_eq_u32_e32 vcc_lo, 0, v83
	s_or_b32 s1, vcc_lo, s1
	s_waitcnt vmcnt(0) lgkmcnt(0)
	v_fma_f64 v[69:70], v[84:85], v[86:87], v[69:70]
	s_and_not1_b32 exec_lo, exec_lo, s1
	s_cbranch_execnz .LBB97_165
; %bb.166:
	s_or_b32 exec_lo, exec_lo, s1
.LBB97_167:
	s_delay_alu instid0(SALU_CYCLE_1)
	s_or_b32 exec_lo, exec_lo, s4
	v_mov_b32_e32 v82, 0
	ds_load_b64 v[82:83], v82 offset:128
	s_waitcnt lgkmcnt(0)
	v_mul_f64 v[69:70], v[69:70], v[82:83]
	scratch_store_b64 off, v[69:70], off offset:128
.LBB97_168:
	s_or_b32 exec_lo, exec_lo, s3
	scratch_load_b64 v[69:70], off, off offset:120
	v_cmp_lt_u32_e64 s1, 15, v0
	s_waitcnt vmcnt(0)
	ds_store_b64 v72, v[69:70]
	s_waitcnt lgkmcnt(0)
	s_waitcnt_vscnt null, 0x0
	s_barrier
	buffer_gl0_inv
	s_and_saveexec_b32 s3, s1
	s_cbranch_execz .LBB97_178
; %bb.169:
	s_and_not1_b32 vcc_lo, exec_lo, s2
	s_cbranch_vccnz .LBB97_171
; %bb.170:
	scratch_load_b64 v[69:70], v73, off
	ds_load_b64 v[82:83], v72
	s_waitcnt vmcnt(0) lgkmcnt(0)
	v_mul_f64 v[69:70], v[69:70], v[82:83]
	s_cbranch_execz .LBB97_172
	s_branch .LBB97_173
.LBB97_171:
                                        ; implicit-def: $vgpr69_vgpr70
.LBB97_172:
	ds_load_b64 v[69:70], v72
.LBB97_173:
	s_and_saveexec_b32 s4, s0
	s_cbranch_execz .LBB97_177
; %bb.174:
	v_add_nc_u32_e32 v82, -16, v0
	s_movk_i32 s5, 0x190
	s_mov_b32 s0, 0
.LBB97_175:                             ; =>This Inner Loop Header: Depth=1
	scratch_load_b64 v[83:84], v81, off
	v_dual_mov_b32 v85, s5 :: v_dual_add_nc_u32 v82, -1, v82
	v_add_nc_u32_e32 v81, 8, v81
	s_add_i32 s5, s5, 8
	ds_load_b64 v[85:86], v85
	v_cmp_eq_u32_e32 vcc_lo, 0, v82
	s_or_b32 s0, vcc_lo, s0
	s_waitcnt vmcnt(0) lgkmcnt(0)
	v_fma_f64 v[69:70], v[83:84], v[85:86], v[69:70]
	s_and_not1_b32 exec_lo, exec_lo, s0
	s_cbranch_execnz .LBB97_175
; %bb.176:
	s_or_b32 exec_lo, exec_lo, s0
.LBB97_177:
	s_delay_alu instid0(SALU_CYCLE_1)
	s_or_b32 exec_lo, exec_lo, s4
	v_mov_b32_e32 v81, 0
	ds_load_b64 v[81:82], v81 offset:120
	s_waitcnt lgkmcnt(0)
	v_mul_f64 v[69:70], v[69:70], v[81:82]
	scratch_store_b64 off, v[69:70], off offset:120
.LBB97_178:
	s_or_b32 exec_lo, exec_lo, s3
	scratch_load_b64 v[69:70], off, off offset:112
	v_cmp_lt_u32_e64 s0, 14, v0
	s_waitcnt vmcnt(0)
	ds_store_b64 v72, v[69:70]
	s_waitcnt lgkmcnt(0)
	s_waitcnt_vscnt null, 0x0
	s_barrier
	buffer_gl0_inv
	s_and_saveexec_b32 s3, s0
	s_cbranch_execz .LBB97_188
; %bb.179:
	s_and_not1_b32 vcc_lo, exec_lo, s2
	s_cbranch_vccnz .LBB97_181
; %bb.180:
	scratch_load_b64 v[69:70], v73, off
	ds_load_b64 v[81:82], v72
	s_waitcnt vmcnt(0) lgkmcnt(0)
	v_mul_f64 v[69:70], v[69:70], v[81:82]
	s_cbranch_execz .LBB97_182
	s_branch .LBB97_183
.LBB97_181:
                                        ; implicit-def: $vgpr69_vgpr70
.LBB97_182:
	ds_load_b64 v[69:70], v72
.LBB97_183:
	s_and_saveexec_b32 s4, s1
	s_cbranch_execz .LBB97_187
; %bb.184:
	v_dual_mov_b32 v81, 0 :: v_dual_add_nc_u32 v82, -15, v0
	s_movk_i32 s5, 0x188
	s_mov_b32 s1, 0
	s_delay_alu instid0(VALU_DEP_1)
	v_add_nc_u32_e32 v81, 0x78, v81
.LBB97_185:                             ; =>This Inner Loop Header: Depth=1
	scratch_load_b64 v[83:84], v81, off
	v_dual_mov_b32 v85, s5 :: v_dual_add_nc_u32 v82, -1, v82
	v_add_nc_u32_e32 v81, 8, v81
	s_add_i32 s5, s5, 8
	ds_load_b64 v[85:86], v85
	v_cmp_eq_u32_e32 vcc_lo, 0, v82
	s_or_b32 s1, vcc_lo, s1
	s_waitcnt vmcnt(0) lgkmcnt(0)
	v_fma_f64 v[69:70], v[83:84], v[85:86], v[69:70]
	s_and_not1_b32 exec_lo, exec_lo, s1
	s_cbranch_execnz .LBB97_185
; %bb.186:
	s_or_b32 exec_lo, exec_lo, s1
.LBB97_187:
	s_delay_alu instid0(SALU_CYCLE_1)
	s_or_b32 exec_lo, exec_lo, s4
	v_mov_b32_e32 v81, 0
	ds_load_b64 v[81:82], v81 offset:112
	s_waitcnt lgkmcnt(0)
	v_mul_f64 v[69:70], v[69:70], v[81:82]
	scratch_store_b64 off, v[69:70], off offset:112
.LBB97_188:
	s_or_b32 exec_lo, exec_lo, s3
	scratch_load_b64 v[69:70], off, off offset:104
	v_cmp_lt_u32_e64 s1, 13, v0
	s_waitcnt vmcnt(0)
	ds_store_b64 v72, v[69:70]
	s_waitcnt lgkmcnt(0)
	s_waitcnt_vscnt null, 0x0
	s_barrier
	buffer_gl0_inv
	s_and_saveexec_b32 s3, s1
	s_cbranch_execz .LBB97_198
; %bb.189:
	s_and_not1_b32 vcc_lo, exec_lo, s2
	s_cbranch_vccnz .LBB97_191
; %bb.190:
	scratch_load_b64 v[69:70], v73, off
	ds_load_b64 v[81:82], v72
	s_waitcnt vmcnt(0) lgkmcnt(0)
	v_mul_f64 v[69:70], v[69:70], v[81:82]
	s_cbranch_execz .LBB97_192
	s_branch .LBB97_193
.LBB97_191:
                                        ; implicit-def: $vgpr69_vgpr70
.LBB97_192:
	ds_load_b64 v[69:70], v72
.LBB97_193:
	s_and_saveexec_b32 s4, s0
	s_cbranch_execz .LBB97_197
; %bb.194:
	v_add_nc_u32_e32 v81, -14, v0
	s_movk_i32 s5, 0x180
	s_mov_b32 s0, 0
.LBB97_195:                             ; =>This Inner Loop Header: Depth=1
	scratch_load_b64 v[82:83], v80, off
	v_dual_mov_b32 v84, s5 :: v_dual_add_nc_u32 v81, -1, v81
	v_add_nc_u32_e32 v80, 8, v80
	s_add_i32 s5, s5, 8
	ds_load_b64 v[84:85], v84
	v_cmp_eq_u32_e32 vcc_lo, 0, v81
	s_or_b32 s0, vcc_lo, s0
	s_waitcnt vmcnt(0) lgkmcnt(0)
	v_fma_f64 v[69:70], v[82:83], v[84:85], v[69:70]
	s_and_not1_b32 exec_lo, exec_lo, s0
	s_cbranch_execnz .LBB97_195
; %bb.196:
	s_or_b32 exec_lo, exec_lo, s0
.LBB97_197:
	s_delay_alu instid0(SALU_CYCLE_1)
	s_or_b32 exec_lo, exec_lo, s4
	v_mov_b32_e32 v80, 0
	ds_load_b64 v[80:81], v80 offset:104
	s_waitcnt lgkmcnt(0)
	v_mul_f64 v[69:70], v[69:70], v[80:81]
	scratch_store_b64 off, v[69:70], off offset:104
.LBB97_198:
	s_or_b32 exec_lo, exec_lo, s3
	scratch_load_b64 v[69:70], off, off offset:96
	v_cmp_lt_u32_e64 s0, 12, v0
	s_waitcnt vmcnt(0)
	ds_store_b64 v72, v[69:70]
	s_waitcnt lgkmcnt(0)
	s_waitcnt_vscnt null, 0x0
	s_barrier
	buffer_gl0_inv
	s_and_saveexec_b32 s3, s0
	s_cbranch_execz .LBB97_208
; %bb.199:
	s_and_not1_b32 vcc_lo, exec_lo, s2
	s_cbranch_vccnz .LBB97_201
; %bb.200:
	scratch_load_b64 v[69:70], v73, off
	ds_load_b64 v[80:81], v72
	s_waitcnt vmcnt(0) lgkmcnt(0)
	v_mul_f64 v[69:70], v[69:70], v[80:81]
	s_cbranch_execz .LBB97_202
	s_branch .LBB97_203
.LBB97_201:
                                        ; implicit-def: $vgpr69_vgpr70
.LBB97_202:
	ds_load_b64 v[69:70], v72
.LBB97_203:
	s_and_saveexec_b32 s4, s1
	s_cbranch_execz .LBB97_207
; %bb.204:
	v_dual_mov_b32 v80, 0 :: v_dual_add_nc_u32 v81, -13, v0
	s_movk_i32 s5, 0x178
	s_mov_b32 s1, 0
	s_delay_alu instid0(VALU_DEP_1)
	v_add_nc_u32_e32 v80, 0x68, v80
.LBB97_205:                             ; =>This Inner Loop Header: Depth=1
	scratch_load_b64 v[82:83], v80, off
	v_dual_mov_b32 v84, s5 :: v_dual_add_nc_u32 v81, -1, v81
	v_add_nc_u32_e32 v80, 8, v80
	s_add_i32 s5, s5, 8
	ds_load_b64 v[84:85], v84
	v_cmp_eq_u32_e32 vcc_lo, 0, v81
	s_or_b32 s1, vcc_lo, s1
	s_waitcnt vmcnt(0) lgkmcnt(0)
	v_fma_f64 v[69:70], v[82:83], v[84:85], v[69:70]
	s_and_not1_b32 exec_lo, exec_lo, s1
	s_cbranch_execnz .LBB97_205
; %bb.206:
	s_or_b32 exec_lo, exec_lo, s1
.LBB97_207:
	s_delay_alu instid0(SALU_CYCLE_1)
	s_or_b32 exec_lo, exec_lo, s4
	v_mov_b32_e32 v80, 0
	ds_load_b64 v[80:81], v80 offset:96
	s_waitcnt lgkmcnt(0)
	v_mul_f64 v[69:70], v[69:70], v[80:81]
	scratch_store_b64 off, v[69:70], off offset:96
.LBB97_208:
	s_or_b32 exec_lo, exec_lo, s3
	scratch_load_b64 v[69:70], off, off offset:88
	v_cmp_lt_u32_e64 s1, 11, v0
	s_waitcnt vmcnt(0)
	ds_store_b64 v72, v[69:70]
	s_waitcnt lgkmcnt(0)
	s_waitcnt_vscnt null, 0x0
	s_barrier
	buffer_gl0_inv
	s_and_saveexec_b32 s3, s1
	s_cbranch_execz .LBB97_218
; %bb.209:
	s_and_not1_b32 vcc_lo, exec_lo, s2
	s_cbranch_vccnz .LBB97_211
; %bb.210:
	scratch_load_b64 v[69:70], v73, off
	ds_load_b64 v[80:81], v72
	s_waitcnt vmcnt(0) lgkmcnt(0)
	v_mul_f64 v[69:70], v[69:70], v[80:81]
	s_cbranch_execz .LBB97_212
	s_branch .LBB97_213
.LBB97_211:
                                        ; implicit-def: $vgpr69_vgpr70
.LBB97_212:
	ds_load_b64 v[69:70], v72
.LBB97_213:
	s_and_saveexec_b32 s4, s0
	s_cbranch_execz .LBB97_217
; %bb.214:
	v_add_nc_u32_e32 v80, -12, v0
	s_movk_i32 s5, 0x170
	s_mov_b32 s0, 0
.LBB97_215:                             ; =>This Inner Loop Header: Depth=1
	scratch_load_b64 v[81:82], v79, off
	v_dual_mov_b32 v83, s5 :: v_dual_add_nc_u32 v80, -1, v80
	v_add_nc_u32_e32 v79, 8, v79
	s_add_i32 s5, s5, 8
	ds_load_b64 v[83:84], v83
	v_cmp_eq_u32_e32 vcc_lo, 0, v80
	s_or_b32 s0, vcc_lo, s0
	s_waitcnt vmcnt(0) lgkmcnt(0)
	v_fma_f64 v[69:70], v[81:82], v[83:84], v[69:70]
	s_and_not1_b32 exec_lo, exec_lo, s0
	s_cbranch_execnz .LBB97_215
; %bb.216:
	s_or_b32 exec_lo, exec_lo, s0
.LBB97_217:
	s_delay_alu instid0(SALU_CYCLE_1)
	s_or_b32 exec_lo, exec_lo, s4
	v_mov_b32_e32 v79, 0
	ds_load_b64 v[79:80], v79 offset:88
	s_waitcnt lgkmcnt(0)
	v_mul_f64 v[69:70], v[69:70], v[79:80]
	scratch_store_b64 off, v[69:70], off offset:88
.LBB97_218:
	s_or_b32 exec_lo, exec_lo, s3
	scratch_load_b64 v[69:70], off, off offset:80
	v_cmp_lt_u32_e64 s0, 10, v0
	s_waitcnt vmcnt(0)
	ds_store_b64 v72, v[69:70]
	s_waitcnt lgkmcnt(0)
	s_waitcnt_vscnt null, 0x0
	s_barrier
	buffer_gl0_inv
	s_and_saveexec_b32 s3, s0
	s_cbranch_execz .LBB97_228
; %bb.219:
	s_and_not1_b32 vcc_lo, exec_lo, s2
	s_cbranch_vccnz .LBB97_221
; %bb.220:
	scratch_load_b64 v[69:70], v73, off
	ds_load_b64 v[79:80], v72
	s_waitcnt vmcnt(0) lgkmcnt(0)
	v_mul_f64 v[69:70], v[69:70], v[79:80]
	s_cbranch_execz .LBB97_222
	s_branch .LBB97_223
.LBB97_221:
                                        ; implicit-def: $vgpr69_vgpr70
.LBB97_222:
	ds_load_b64 v[69:70], v72
.LBB97_223:
	s_and_saveexec_b32 s4, s1
	s_cbranch_execz .LBB97_227
; %bb.224:
	v_dual_mov_b32 v79, 0 :: v_dual_add_nc_u32 v80, -11, v0
	s_movk_i32 s5, 0x168
	s_mov_b32 s1, 0
	s_delay_alu instid0(VALU_DEP_1)
	v_add_nc_u32_e32 v79, 0x58, v79
.LBB97_225:                             ; =>This Inner Loop Header: Depth=1
	scratch_load_b64 v[81:82], v79, off
	v_dual_mov_b32 v83, s5 :: v_dual_add_nc_u32 v80, -1, v80
	v_add_nc_u32_e32 v79, 8, v79
	s_add_i32 s5, s5, 8
	ds_load_b64 v[83:84], v83
	v_cmp_eq_u32_e32 vcc_lo, 0, v80
	s_or_b32 s1, vcc_lo, s1
	s_waitcnt vmcnt(0) lgkmcnt(0)
	v_fma_f64 v[69:70], v[81:82], v[83:84], v[69:70]
	s_and_not1_b32 exec_lo, exec_lo, s1
	s_cbranch_execnz .LBB97_225
; %bb.226:
	s_or_b32 exec_lo, exec_lo, s1
.LBB97_227:
	s_delay_alu instid0(SALU_CYCLE_1)
	s_or_b32 exec_lo, exec_lo, s4
	v_mov_b32_e32 v79, 0
	ds_load_b64 v[79:80], v79 offset:80
	s_waitcnt lgkmcnt(0)
	v_mul_f64 v[69:70], v[69:70], v[79:80]
	scratch_store_b64 off, v[69:70], off offset:80
.LBB97_228:
	s_or_b32 exec_lo, exec_lo, s3
	scratch_load_b64 v[69:70], off, off offset:72
	v_cmp_lt_u32_e64 s1, 9, v0
	s_waitcnt vmcnt(0)
	ds_store_b64 v72, v[69:70]
	s_waitcnt lgkmcnt(0)
	s_waitcnt_vscnt null, 0x0
	s_barrier
	buffer_gl0_inv
	s_and_saveexec_b32 s3, s1
	s_cbranch_execz .LBB97_238
; %bb.229:
	s_and_not1_b32 vcc_lo, exec_lo, s2
	s_cbranch_vccnz .LBB97_231
; %bb.230:
	scratch_load_b64 v[69:70], v73, off
	ds_load_b64 v[79:80], v72
	s_waitcnt vmcnt(0) lgkmcnt(0)
	v_mul_f64 v[69:70], v[69:70], v[79:80]
	s_cbranch_execz .LBB97_232
	s_branch .LBB97_233
.LBB97_231:
                                        ; implicit-def: $vgpr69_vgpr70
.LBB97_232:
	ds_load_b64 v[69:70], v72
.LBB97_233:
	s_and_saveexec_b32 s4, s0
	s_cbranch_execz .LBB97_237
; %bb.234:
	v_add_nc_u32_e32 v79, -10, v0
	s_movk_i32 s5, 0x160
	s_mov_b32 s0, 0
.LBB97_235:                             ; =>This Inner Loop Header: Depth=1
	scratch_load_b64 v[80:81], v78, off
	v_dual_mov_b32 v82, s5 :: v_dual_add_nc_u32 v79, -1, v79
	v_add_nc_u32_e32 v78, 8, v78
	s_add_i32 s5, s5, 8
	ds_load_b64 v[82:83], v82
	v_cmp_eq_u32_e32 vcc_lo, 0, v79
	s_or_b32 s0, vcc_lo, s0
	s_waitcnt vmcnt(0) lgkmcnt(0)
	v_fma_f64 v[69:70], v[80:81], v[82:83], v[69:70]
	s_and_not1_b32 exec_lo, exec_lo, s0
	s_cbranch_execnz .LBB97_235
; %bb.236:
	s_or_b32 exec_lo, exec_lo, s0
.LBB97_237:
	s_delay_alu instid0(SALU_CYCLE_1)
	s_or_b32 exec_lo, exec_lo, s4
	v_mov_b32_e32 v78, 0
	ds_load_b64 v[78:79], v78 offset:72
	s_waitcnt lgkmcnt(0)
	v_mul_f64 v[69:70], v[69:70], v[78:79]
	scratch_store_b64 off, v[69:70], off offset:72
.LBB97_238:
	s_or_b32 exec_lo, exec_lo, s3
	scratch_load_b64 v[69:70], off, off offset:64
	v_cmp_lt_u32_e64 s0, 8, v0
	s_waitcnt vmcnt(0)
	ds_store_b64 v72, v[69:70]
	s_waitcnt lgkmcnt(0)
	s_waitcnt_vscnt null, 0x0
	s_barrier
	buffer_gl0_inv
	s_and_saveexec_b32 s3, s0
	s_cbranch_execz .LBB97_248
; %bb.239:
	s_and_not1_b32 vcc_lo, exec_lo, s2
	s_cbranch_vccnz .LBB97_241
; %bb.240:
	scratch_load_b64 v[69:70], v73, off
	ds_load_b64 v[78:79], v72
	s_waitcnt vmcnt(0) lgkmcnt(0)
	v_mul_f64 v[69:70], v[69:70], v[78:79]
	s_cbranch_execz .LBB97_242
	s_branch .LBB97_243
.LBB97_241:
                                        ; implicit-def: $vgpr69_vgpr70
.LBB97_242:
	ds_load_b64 v[69:70], v72
.LBB97_243:
	s_and_saveexec_b32 s4, s1
	s_cbranch_execz .LBB97_247
; %bb.244:
	v_dual_mov_b32 v78, 0 :: v_dual_add_nc_u32 v79, -9, v0
	s_movk_i32 s5, 0x158
	s_mov_b32 s1, 0
	s_delay_alu instid0(VALU_DEP_1)
	v_add_nc_u32_e32 v78, 0x48, v78
.LBB97_245:                             ; =>This Inner Loop Header: Depth=1
	scratch_load_b64 v[80:81], v78, off
	v_dual_mov_b32 v82, s5 :: v_dual_add_nc_u32 v79, -1, v79
	v_add_nc_u32_e32 v78, 8, v78
	s_add_i32 s5, s5, 8
	ds_load_b64 v[82:83], v82
	v_cmp_eq_u32_e32 vcc_lo, 0, v79
	s_or_b32 s1, vcc_lo, s1
	s_waitcnt vmcnt(0) lgkmcnt(0)
	v_fma_f64 v[69:70], v[80:81], v[82:83], v[69:70]
	s_and_not1_b32 exec_lo, exec_lo, s1
	s_cbranch_execnz .LBB97_245
; %bb.246:
	s_or_b32 exec_lo, exec_lo, s1
.LBB97_247:
	s_delay_alu instid0(SALU_CYCLE_1)
	s_or_b32 exec_lo, exec_lo, s4
	v_mov_b32_e32 v78, 0
	ds_load_b64 v[78:79], v78 offset:64
	s_waitcnt lgkmcnt(0)
	v_mul_f64 v[69:70], v[69:70], v[78:79]
	scratch_store_b64 off, v[69:70], off offset:64
.LBB97_248:
	s_or_b32 exec_lo, exec_lo, s3
	scratch_load_b64 v[69:70], off, off offset:56
	v_cmp_lt_u32_e64 s1, 7, v0
	s_waitcnt vmcnt(0)
	ds_store_b64 v72, v[69:70]
	s_waitcnt lgkmcnt(0)
	s_waitcnt_vscnt null, 0x0
	s_barrier
	buffer_gl0_inv
	s_and_saveexec_b32 s3, s1
	s_cbranch_execz .LBB97_258
; %bb.249:
	s_and_not1_b32 vcc_lo, exec_lo, s2
	s_cbranch_vccnz .LBB97_251
; %bb.250:
	scratch_load_b64 v[69:70], v73, off
	ds_load_b64 v[78:79], v72
	s_waitcnt vmcnt(0) lgkmcnt(0)
	v_mul_f64 v[69:70], v[69:70], v[78:79]
	s_cbranch_execz .LBB97_252
	s_branch .LBB97_253
.LBB97_251:
                                        ; implicit-def: $vgpr69_vgpr70
.LBB97_252:
	ds_load_b64 v[69:70], v72
.LBB97_253:
	s_and_saveexec_b32 s4, s0
	s_cbranch_execz .LBB97_257
; %bb.254:
	v_add_nc_u32_e32 v78, -8, v0
	s_movk_i32 s5, 0x150
	s_mov_b32 s0, 0
.LBB97_255:                             ; =>This Inner Loop Header: Depth=1
	scratch_load_b64 v[79:80], v77, off
	v_dual_mov_b32 v81, s5 :: v_dual_add_nc_u32 v78, -1, v78
	v_add_nc_u32_e32 v77, 8, v77
	s_add_i32 s5, s5, 8
	ds_load_b64 v[81:82], v81
	v_cmp_eq_u32_e32 vcc_lo, 0, v78
	s_or_b32 s0, vcc_lo, s0
	s_waitcnt vmcnt(0) lgkmcnt(0)
	v_fma_f64 v[69:70], v[79:80], v[81:82], v[69:70]
	s_and_not1_b32 exec_lo, exec_lo, s0
	s_cbranch_execnz .LBB97_255
; %bb.256:
	s_or_b32 exec_lo, exec_lo, s0
.LBB97_257:
	s_delay_alu instid0(SALU_CYCLE_1)
	s_or_b32 exec_lo, exec_lo, s4
	v_mov_b32_e32 v77, 0
	ds_load_b64 v[77:78], v77 offset:56
	s_waitcnt lgkmcnt(0)
	v_mul_f64 v[69:70], v[69:70], v[77:78]
	scratch_store_b64 off, v[69:70], off offset:56
.LBB97_258:
	s_or_b32 exec_lo, exec_lo, s3
	scratch_load_b64 v[69:70], off, off offset:48
	v_cmp_lt_u32_e64 s0, 6, v0
	s_waitcnt vmcnt(0)
	ds_store_b64 v72, v[69:70]
	s_waitcnt lgkmcnt(0)
	s_waitcnt_vscnt null, 0x0
	s_barrier
	buffer_gl0_inv
	s_and_saveexec_b32 s3, s0
	s_cbranch_execz .LBB97_268
; %bb.259:
	s_and_not1_b32 vcc_lo, exec_lo, s2
	s_cbranch_vccnz .LBB97_261
; %bb.260:
	scratch_load_b64 v[69:70], v73, off
	ds_load_b64 v[77:78], v72
	s_waitcnt vmcnt(0) lgkmcnt(0)
	v_mul_f64 v[69:70], v[69:70], v[77:78]
	s_cbranch_execz .LBB97_262
	s_branch .LBB97_263
.LBB97_261:
                                        ; implicit-def: $vgpr69_vgpr70
.LBB97_262:
	ds_load_b64 v[69:70], v72
.LBB97_263:
	s_and_saveexec_b32 s4, s1
	s_cbranch_execz .LBB97_267
; %bb.264:
	v_add_nc_u32_e64 v77, 0, 56
	v_add_nc_u32_e32 v78, -7, v0
	s_movk_i32 s5, 0x148
	s_mov_b32 s1, 0
.LBB97_265:                             ; =>This Inner Loop Header: Depth=1
	scratch_load_b64 v[79:80], v77, off
	v_dual_mov_b32 v81, s5 :: v_dual_add_nc_u32 v78, -1, v78
	v_add_nc_u32_e32 v77, 8, v77
	s_add_i32 s5, s5, 8
	ds_load_b64 v[81:82], v81
	v_cmp_eq_u32_e32 vcc_lo, 0, v78
	s_or_b32 s1, vcc_lo, s1
	s_waitcnt vmcnt(0) lgkmcnt(0)
	v_fma_f64 v[69:70], v[79:80], v[81:82], v[69:70]
	s_and_not1_b32 exec_lo, exec_lo, s1
	s_cbranch_execnz .LBB97_265
; %bb.266:
	s_or_b32 exec_lo, exec_lo, s1
.LBB97_267:
	s_delay_alu instid0(SALU_CYCLE_1)
	s_or_b32 exec_lo, exec_lo, s4
	v_mov_b32_e32 v77, 0
	ds_load_b64 v[77:78], v77 offset:48
	s_waitcnt lgkmcnt(0)
	v_mul_f64 v[69:70], v[69:70], v[77:78]
	scratch_store_b64 off, v[69:70], off offset:48
.LBB97_268:
	s_or_b32 exec_lo, exec_lo, s3
	scratch_load_b64 v[69:70], off, off offset:40
	v_cmp_lt_u32_e64 s1, 5, v0
	s_waitcnt vmcnt(0)
	ds_store_b64 v72, v[69:70]
	s_waitcnt lgkmcnt(0)
	s_waitcnt_vscnt null, 0x0
	s_barrier
	buffer_gl0_inv
	s_and_saveexec_b32 s3, s1
	s_cbranch_execz .LBB97_278
; %bb.269:
	s_and_not1_b32 vcc_lo, exec_lo, s2
	s_cbranch_vccnz .LBB97_271
; %bb.270:
	scratch_load_b64 v[69:70], v73, off
	ds_load_b64 v[77:78], v72
	s_waitcnt vmcnt(0) lgkmcnt(0)
	v_mul_f64 v[69:70], v[69:70], v[77:78]
	s_cbranch_execz .LBB97_272
	s_branch .LBB97_273
.LBB97_271:
                                        ; implicit-def: $vgpr69_vgpr70
.LBB97_272:
	ds_load_b64 v[69:70], v72
.LBB97_273:
	s_and_saveexec_b32 s4, s0
	s_cbranch_execz .LBB97_277
; %bb.274:
	v_add_nc_u32_e32 v77, -6, v0
	s_movk_i32 s5, 0x140
	s_mov_b32 s0, 0
.LBB97_275:                             ; =>This Inner Loop Header: Depth=1
	scratch_load_b64 v[78:79], v76, off
	v_dual_mov_b32 v80, s5 :: v_dual_add_nc_u32 v77, -1, v77
	v_add_nc_u32_e32 v76, 8, v76
	s_add_i32 s5, s5, 8
	ds_load_b64 v[80:81], v80
	v_cmp_eq_u32_e32 vcc_lo, 0, v77
	s_or_b32 s0, vcc_lo, s0
	s_waitcnt vmcnt(0) lgkmcnt(0)
	v_fma_f64 v[69:70], v[78:79], v[80:81], v[69:70]
	s_and_not1_b32 exec_lo, exec_lo, s0
	s_cbranch_execnz .LBB97_275
; %bb.276:
	s_or_b32 exec_lo, exec_lo, s0
.LBB97_277:
	s_delay_alu instid0(SALU_CYCLE_1)
	s_or_b32 exec_lo, exec_lo, s4
	v_mov_b32_e32 v76, 0
	ds_load_b64 v[76:77], v76 offset:40
	s_waitcnt lgkmcnt(0)
	v_mul_f64 v[69:70], v[69:70], v[76:77]
	scratch_store_b64 off, v[69:70], off offset:40
.LBB97_278:
	s_or_b32 exec_lo, exec_lo, s3
	scratch_load_b64 v[69:70], off, off offset:32
	v_cmp_lt_u32_e64 s0, 4, v0
	s_waitcnt vmcnt(0)
	ds_store_b64 v72, v[69:70]
	s_waitcnt lgkmcnt(0)
	s_waitcnt_vscnt null, 0x0
	s_barrier
	buffer_gl0_inv
	s_and_saveexec_b32 s3, s0
	s_cbranch_execz .LBB97_288
; %bb.279:
	s_and_not1_b32 vcc_lo, exec_lo, s2
	s_cbranch_vccnz .LBB97_281
; %bb.280:
	scratch_load_b64 v[69:70], v73, off
	ds_load_b64 v[76:77], v72
	s_waitcnt vmcnt(0) lgkmcnt(0)
	v_mul_f64 v[69:70], v[69:70], v[76:77]
	s_cbranch_execz .LBB97_282
	s_branch .LBB97_283
.LBB97_281:
                                        ; implicit-def: $vgpr69_vgpr70
.LBB97_282:
	ds_load_b64 v[69:70], v72
.LBB97_283:
	s_and_saveexec_b32 s4, s1
	s_cbranch_execz .LBB97_287
; %bb.284:
	v_add_nc_u32_e64 v76, 0, 40
	v_add_nc_u32_e32 v77, -5, v0
	s_movk_i32 s5, 0x138
	s_mov_b32 s1, 0
.LBB97_285:                             ; =>This Inner Loop Header: Depth=1
	scratch_load_b64 v[78:79], v76, off
	v_dual_mov_b32 v80, s5 :: v_dual_add_nc_u32 v77, -1, v77
	v_add_nc_u32_e32 v76, 8, v76
	s_add_i32 s5, s5, 8
	ds_load_b64 v[80:81], v80
	v_cmp_eq_u32_e32 vcc_lo, 0, v77
	s_or_b32 s1, vcc_lo, s1
	s_waitcnt vmcnt(0) lgkmcnt(0)
	v_fma_f64 v[69:70], v[78:79], v[80:81], v[69:70]
	s_and_not1_b32 exec_lo, exec_lo, s1
	s_cbranch_execnz .LBB97_285
; %bb.286:
	s_or_b32 exec_lo, exec_lo, s1
.LBB97_287:
	s_delay_alu instid0(SALU_CYCLE_1)
	s_or_b32 exec_lo, exec_lo, s4
	v_mov_b32_e32 v76, 0
	ds_load_b64 v[76:77], v76 offset:32
	s_waitcnt lgkmcnt(0)
	v_mul_f64 v[69:70], v[69:70], v[76:77]
	scratch_store_b64 off, v[69:70], off offset:32
.LBB97_288:
	s_or_b32 exec_lo, exec_lo, s3
	scratch_load_b64 v[69:70], off, off offset:24
	v_cmp_lt_u32_e64 s1, 3, v0
	s_waitcnt vmcnt(0)
	ds_store_b64 v72, v[69:70]
	s_waitcnt lgkmcnt(0)
	s_waitcnt_vscnt null, 0x0
	s_barrier
	buffer_gl0_inv
	s_and_saveexec_b32 s3, s1
	s_cbranch_execz .LBB97_298
; %bb.289:
	s_and_not1_b32 vcc_lo, exec_lo, s2
	s_cbranch_vccnz .LBB97_291
; %bb.290:
	scratch_load_b64 v[69:70], v73, off
	ds_load_b64 v[76:77], v72
	s_waitcnt vmcnt(0) lgkmcnt(0)
	v_mul_f64 v[69:70], v[69:70], v[76:77]
	s_cbranch_execz .LBB97_292
	s_branch .LBB97_293
.LBB97_291:
                                        ; implicit-def: $vgpr69_vgpr70
.LBB97_292:
	ds_load_b64 v[69:70], v72
.LBB97_293:
	s_and_saveexec_b32 s4, s0
	s_cbranch_execz .LBB97_297
; %bb.294:
	v_add_nc_u32_e32 v76, -4, v0
	s_movk_i32 s5, 0x130
	s_mov_b32 s0, 0
.LBB97_295:                             ; =>This Inner Loop Header: Depth=1
	scratch_load_b64 v[77:78], v75, off
	v_dual_mov_b32 v79, s5 :: v_dual_add_nc_u32 v76, -1, v76
	v_add_nc_u32_e32 v75, 8, v75
	s_add_i32 s5, s5, 8
	ds_load_b64 v[79:80], v79
	v_cmp_eq_u32_e32 vcc_lo, 0, v76
	s_or_b32 s0, vcc_lo, s0
	s_waitcnt vmcnt(0) lgkmcnt(0)
	v_fma_f64 v[69:70], v[77:78], v[79:80], v[69:70]
	s_and_not1_b32 exec_lo, exec_lo, s0
	s_cbranch_execnz .LBB97_295
; %bb.296:
	s_or_b32 exec_lo, exec_lo, s0
.LBB97_297:
	s_delay_alu instid0(SALU_CYCLE_1)
	s_or_b32 exec_lo, exec_lo, s4
	v_mov_b32_e32 v75, 0
	ds_load_b64 v[75:76], v75 offset:24
	s_waitcnt lgkmcnt(0)
	v_mul_f64 v[69:70], v[69:70], v[75:76]
	scratch_store_b64 off, v[69:70], off offset:24
.LBB97_298:
	s_or_b32 exec_lo, exec_lo, s3
	scratch_load_b64 v[69:70], off, off offset:16
	v_cmp_lt_u32_e64 s0, 2, v0
	s_waitcnt vmcnt(0)
	ds_store_b64 v72, v[69:70]
	s_waitcnt lgkmcnt(0)
	s_waitcnt_vscnt null, 0x0
	s_barrier
	buffer_gl0_inv
	s_and_saveexec_b32 s3, s0
	s_cbranch_execz .LBB97_308
; %bb.299:
	s_and_not1_b32 vcc_lo, exec_lo, s2
	s_cbranch_vccnz .LBB97_301
; %bb.300:
	scratch_load_b64 v[69:70], v73, off
	ds_load_b64 v[75:76], v72
	s_waitcnt vmcnt(0) lgkmcnt(0)
	v_mul_f64 v[69:70], v[69:70], v[75:76]
	s_cbranch_execz .LBB97_302
	s_branch .LBB97_303
.LBB97_301:
                                        ; implicit-def: $vgpr69_vgpr70
.LBB97_302:
	ds_load_b64 v[69:70], v72
.LBB97_303:
	s_and_saveexec_b32 s4, s1
	s_cbranch_execz .LBB97_307
; %bb.304:
	v_add_nc_u32_e64 v75, 0, 24
	v_add_nc_u32_e32 v76, -3, v0
	s_movk_i32 s5, 0x128
	s_mov_b32 s1, 0
.LBB97_305:                             ; =>This Inner Loop Header: Depth=1
	scratch_load_b64 v[77:78], v75, off
	v_dual_mov_b32 v79, s5 :: v_dual_add_nc_u32 v76, -1, v76
	v_add_nc_u32_e32 v75, 8, v75
	s_add_i32 s5, s5, 8
	ds_load_b64 v[79:80], v79
	v_cmp_eq_u32_e32 vcc_lo, 0, v76
	s_or_b32 s1, vcc_lo, s1
	s_waitcnt vmcnt(0) lgkmcnt(0)
	v_fma_f64 v[69:70], v[77:78], v[79:80], v[69:70]
	s_and_not1_b32 exec_lo, exec_lo, s1
	s_cbranch_execnz .LBB97_305
; %bb.306:
	s_or_b32 exec_lo, exec_lo, s1
.LBB97_307:
	s_delay_alu instid0(SALU_CYCLE_1)
	s_or_b32 exec_lo, exec_lo, s4
	v_mov_b32_e32 v75, 0
	ds_load_b64 v[75:76], v75 offset:16
	s_waitcnt lgkmcnt(0)
	v_mul_f64 v[69:70], v[69:70], v[75:76]
	scratch_store_b64 off, v[69:70], off offset:16
.LBB97_308:
	s_or_b32 exec_lo, exec_lo, s3
	scratch_load_b64 v[69:70], off, off offset:8
	v_cmp_lt_u32_e64 s1, 1, v0
	s_waitcnt vmcnt(0)
	ds_store_b64 v72, v[69:70]
	s_waitcnt lgkmcnt(0)
	s_waitcnt_vscnt null, 0x0
	s_barrier
	buffer_gl0_inv
	s_and_saveexec_b32 s3, s1
	s_cbranch_execz .LBB97_318
; %bb.309:
	s_and_not1_b32 vcc_lo, exec_lo, s2
	s_cbranch_vccnz .LBB97_311
; %bb.310:
	scratch_load_b64 v[69:70], v73, off
	ds_load_b64 v[75:76], v72
	s_waitcnt vmcnt(0) lgkmcnt(0)
	v_mul_f64 v[69:70], v[69:70], v[75:76]
	s_cbranch_execz .LBB97_312
	s_branch .LBB97_313
.LBB97_311:
                                        ; implicit-def: $vgpr69_vgpr70
.LBB97_312:
	ds_load_b64 v[69:70], v72
.LBB97_313:
	s_and_saveexec_b32 s4, s0
	s_cbranch_execz .LBB97_317
; %bb.314:
	v_add_nc_u32_e32 v75, -2, v0
	s_movk_i32 s5, 0x120
	s_mov_b32 s0, 0
.LBB97_315:                             ; =>This Inner Loop Header: Depth=1
	scratch_load_b64 v[76:77], v74, off
	v_dual_mov_b32 v78, s5 :: v_dual_add_nc_u32 v75, -1, v75
	v_add_nc_u32_e32 v74, 8, v74
	s_add_i32 s5, s5, 8
	ds_load_b64 v[78:79], v78
	v_cmp_eq_u32_e32 vcc_lo, 0, v75
	s_or_b32 s0, vcc_lo, s0
	s_waitcnt vmcnt(0) lgkmcnt(0)
	v_fma_f64 v[69:70], v[76:77], v[78:79], v[69:70]
	s_and_not1_b32 exec_lo, exec_lo, s0
	s_cbranch_execnz .LBB97_315
; %bb.316:
	s_or_b32 exec_lo, exec_lo, s0
.LBB97_317:
	s_delay_alu instid0(SALU_CYCLE_1)
	s_or_b32 exec_lo, exec_lo, s4
	v_mov_b32_e32 v74, 0
	ds_load_b64 v[74:75], v74 offset:8
	s_waitcnt lgkmcnt(0)
	v_mul_f64 v[69:70], v[69:70], v[74:75]
	scratch_store_b64 off, v[69:70], off offset:8
.LBB97_318:
	s_or_b32 exec_lo, exec_lo, s3
	scratch_load_b64 v[69:70], off, off
	s_mov_b32 s0, 0
	s_mov_b32 s3, exec_lo
	s_waitcnt vmcnt(0)
	ds_store_b64 v72, v[69:70]
	s_waitcnt lgkmcnt(0)
	s_waitcnt_vscnt null, 0x0
	s_barrier
	buffer_gl0_inv
	v_cmpx_ne_u32_e32 0, v0
	s_cbranch_execz .LBB97_328
; %bb.319:
	s_and_not1_b32 vcc_lo, exec_lo, s2
	s_cbranch_vccnz .LBB97_321
; %bb.320:
	scratch_load_b64 v[69:70], v73, off
	ds_load_b64 v[74:75], v72
	s_waitcnt vmcnt(0) lgkmcnt(0)
	v_mul_f64 v[69:70], v[69:70], v[74:75]
	s_cbranch_execz .LBB97_322
	s_branch .LBB97_323
.LBB97_321:
                                        ; implicit-def: $vgpr69_vgpr70
.LBB97_322:
	ds_load_b64 v[69:70], v72
.LBB97_323:
	s_and_saveexec_b32 s4, s1
	s_cbranch_execz .LBB97_327
; %bb.324:
	v_or_b32_e64 v74, 0, 8
	v_add_nc_u32_e32 v75, -1, v0
	s_movk_i32 s5, 0x118
	s_mov_b32 s1, 0
.LBB97_325:                             ; =>This Inner Loop Header: Depth=1
	scratch_load_b64 v[76:77], v74, off
	v_dual_mov_b32 v78, s5 :: v_dual_add_nc_u32 v75, -1, v75
	v_add_nc_u32_e32 v74, 8, v74
	s_add_i32 s5, s5, 8
	ds_load_b64 v[78:79], v78
	v_cmp_eq_u32_e32 vcc_lo, 0, v75
	s_or_b32 s1, vcc_lo, s1
	s_waitcnt vmcnt(0) lgkmcnt(0)
	v_fma_f64 v[69:70], v[76:77], v[78:79], v[69:70]
	s_and_not1_b32 exec_lo, exec_lo, s1
	s_cbranch_execnz .LBB97_325
; %bb.326:
	s_or_b32 exec_lo, exec_lo, s1
.LBB97_327:
	s_delay_alu instid0(SALU_CYCLE_1)
	s_or_b32 exec_lo, exec_lo, s4
	v_mov_b32_e32 v74, 0
	ds_load_b64 v[74:75], v74
	s_waitcnt lgkmcnt(0)
	v_mul_f64 v[69:70], v[69:70], v[74:75]
	scratch_store_b64 off, v[69:70], off
.LBB97_328:
	s_or_b32 exec_lo, exec_lo, s3
.LBB97_329:
	s_delay_alu instid0(SALU_CYCLE_1)
	s_and_b32 vcc_lo, exec_lo, s0
	s_cbranch_vccz .LBB97_655
; %bb.330:
	scratch_load_b64 v[69:70], off, off offset:8
	v_cmp_eq_u32_e64 s0, 0, v0
	s_waitcnt vmcnt(0)
	ds_store_b64 v72, v[69:70]
	s_waitcnt lgkmcnt(0)
	s_waitcnt_vscnt null, 0x0
	s_barrier
	buffer_gl0_inv
	s_and_saveexec_b32 s1, s0
	s_cbranch_execz .LBB97_336
; %bb.331:
	s_and_b32 vcc_lo, exec_lo, s2
	s_cbranch_vccz .LBB97_333
; %bb.332:
	scratch_load_b64 v[69:70], v73, off
	ds_load_b64 v[74:75], v72
	s_waitcnt vmcnt(0) lgkmcnt(0)
	v_mul_f64 v[69:70], v[69:70], v[74:75]
	s_cbranch_execz .LBB97_334
	s_branch .LBB97_335
.LBB97_333:
                                        ; implicit-def: $vgpr69_vgpr70
.LBB97_334:
	ds_load_b64 v[69:70], v72
.LBB97_335:
	v_mov_b32_e32 v74, 0
	ds_load_b64 v[74:75], v74 offset:8
	s_waitcnt lgkmcnt(0)
	v_mul_f64 v[69:70], v[69:70], v[74:75]
	scratch_store_b64 off, v[69:70], off offset:8
.LBB97_336:
	s_or_b32 exec_lo, exec_lo, s1
	scratch_load_b64 v[69:70], off, off offset:16
	v_cndmask_b32_e64 v74, 0, 1, s2
	s_mov_b32 s1, exec_lo
	s_waitcnt vmcnt(0)
	ds_store_b64 v72, v[69:70]
	s_waitcnt lgkmcnt(0)
	s_waitcnt_vscnt null, 0x0
	s_barrier
	buffer_gl0_inv
	v_cmpx_gt_u32_e32 2, v0
	s_cbranch_execz .LBB97_344
; %bb.337:
	s_and_not1_b32 vcc_lo, exec_lo, s2
	s_cbranch_vccnz .LBB97_339
; %bb.338:
	scratch_load_b64 v[69:70], v73, off
	ds_load_b64 v[75:76], v72
	s_waitcnt vmcnt(0) lgkmcnt(0)
	v_mul_f64 v[69:70], v[69:70], v[75:76]
	s_cbranch_execz .LBB97_340
	s_branch .LBB97_341
.LBB97_339:
                                        ; implicit-def: $vgpr69_vgpr70
.LBB97_340:
	ds_load_b64 v[69:70], v72
.LBB97_341:
	s_and_saveexec_b32 s2, s0
	s_cbranch_execz .LBB97_343
; %bb.342:
	scratch_load_b64 v[75:76], v73, off offset:8
	ds_load_b64 v[77:78], v72 offset:8
	s_waitcnt vmcnt(0) lgkmcnt(0)
	v_fma_f64 v[69:70], v[75:76], v[77:78], v[69:70]
.LBB97_343:
	s_or_b32 exec_lo, exec_lo, s2
	v_mov_b32_e32 v75, 0
	ds_load_b64 v[75:76], v75 offset:16
	s_waitcnt lgkmcnt(0)
	v_mul_f64 v[69:70], v[69:70], v[75:76]
	scratch_store_b64 off, v[69:70], off offset:16
.LBB97_344:
	s_or_b32 exec_lo, exec_lo, s1
	scratch_load_b64 v[69:70], off, off offset:24
	s_mov_b32 s1, exec_lo
	s_waitcnt vmcnt(0)
	ds_store_b64 v72, v[69:70]
	s_waitcnt lgkmcnt(0)
	s_waitcnt_vscnt null, 0x0
	s_barrier
	buffer_gl0_inv
	v_cmpx_gt_u32_e32 3, v0
	s_cbranch_execz .LBB97_354
; %bb.345:
	v_cmp_ne_u32_e32 vcc_lo, 1, v74
	s_cbranch_vccnz .LBB97_347
; %bb.346:
	scratch_load_b64 v[69:70], v73, off
	ds_load_b64 v[75:76], v72
	s_waitcnt vmcnt(0) lgkmcnt(0)
	v_mul_f64 v[69:70], v[69:70], v[75:76]
	s_cbranch_execz .LBB97_348
	s_branch .LBB97_349
.LBB97_347:
                                        ; implicit-def: $vgpr69_vgpr70
.LBB97_348:
	ds_load_b64 v[69:70], v72
.LBB97_349:
	s_mov_b32 s2, exec_lo
	v_cmpx_ne_u32_e32 2, v0
	s_cbranch_execz .LBB97_353
; %bb.350:
	scratch_load_b64 v[75:76], v73, off offset:8
	ds_load_b64 v[77:78], v72 offset:8
	s_waitcnt vmcnt(0) lgkmcnt(0)
	v_fma_f64 v[69:70], v[75:76], v[77:78], v[69:70]
	s_and_saveexec_b32 s3, s0
	s_cbranch_execz .LBB97_352
; %bb.351:
	scratch_load_b64 v[75:76], off, off offset:16
	v_mov_b32_e32 v77, 0
	ds_load_b64 v[77:78], v77 offset:288
	s_waitcnt vmcnt(0) lgkmcnt(0)
	v_fma_f64 v[69:70], v[75:76], v[77:78], v[69:70]
.LBB97_352:
	s_or_b32 exec_lo, exec_lo, s3
.LBB97_353:
	s_delay_alu instid0(SALU_CYCLE_1)
	s_or_b32 exec_lo, exec_lo, s2
	v_mov_b32_e32 v75, 0
	ds_load_b64 v[75:76], v75 offset:24
	s_waitcnt lgkmcnt(0)
	v_mul_f64 v[69:70], v[69:70], v[75:76]
	scratch_store_b64 off, v[69:70], off offset:24
.LBB97_354:
	s_or_b32 exec_lo, exec_lo, s1
	scratch_load_b64 v[69:70], off, off offset:32
	s_mov_b32 s0, exec_lo
	s_waitcnt vmcnt(0)
	ds_store_b64 v72, v[69:70]
	s_waitcnt lgkmcnt(0)
	s_waitcnt_vscnt null, 0x0
	s_barrier
	buffer_gl0_inv
	v_cmpx_gt_u32_e32 4, v0
	s_cbranch_execz .LBB97_364
; %bb.355:
	v_cmp_ne_u32_e32 vcc_lo, 1, v74
	s_cbranch_vccnz .LBB97_357
; %bb.356:
	scratch_load_b64 v[69:70], v73, off
	ds_load_b64 v[75:76], v72
	s_waitcnt vmcnt(0) lgkmcnt(0)
	v_mul_f64 v[69:70], v[69:70], v[75:76]
	s_cbranch_execz .LBB97_358
	s_branch .LBB97_359
.LBB97_357:
                                        ; implicit-def: $vgpr69_vgpr70
.LBB97_358:
	ds_load_b64 v[69:70], v72
.LBB97_359:
	s_mov_b32 s1, exec_lo
	v_cmpx_ne_u32_e32 3, v0
	s_cbranch_execz .LBB97_363
; %bb.360:
	v_add_nc_u32_e32 v75, 0x118, v71
	v_add3_u32 v76, 0, v71, 8
	v_mov_b32_e32 v77, v0
	s_mov_b32 s2, 0
.LBB97_361:                             ; =>This Inner Loop Header: Depth=1
	scratch_load_b64 v[78:79], v76, off
	ds_load_b64 v[80:81], v75
	v_add_nc_u32_e32 v77, 1, v77
	v_add_nc_u32_e32 v75, 8, v75
	v_add_nc_u32_e32 v76, 8, v76
	s_delay_alu instid0(VALU_DEP_3)
	v_cmp_lt_u32_e32 vcc_lo, 2, v77
	s_or_b32 s2, vcc_lo, s2
	s_waitcnt vmcnt(0) lgkmcnt(0)
	v_fma_f64 v[69:70], v[78:79], v[80:81], v[69:70]
	s_and_not1_b32 exec_lo, exec_lo, s2
	s_cbranch_execnz .LBB97_361
; %bb.362:
	s_or_b32 exec_lo, exec_lo, s2
.LBB97_363:
	s_delay_alu instid0(SALU_CYCLE_1)
	s_or_b32 exec_lo, exec_lo, s1
	v_mov_b32_e32 v75, 0
	ds_load_b64 v[75:76], v75 offset:32
	s_waitcnt lgkmcnt(0)
	v_mul_f64 v[69:70], v[69:70], v[75:76]
	scratch_store_b64 off, v[69:70], off offset:32
.LBB97_364:
	s_or_b32 exec_lo, exec_lo, s0
	scratch_load_b64 v[69:70], off, off offset:40
	s_mov_b32 s0, exec_lo
	s_waitcnt vmcnt(0)
	ds_store_b64 v72, v[69:70]
	s_waitcnt lgkmcnt(0)
	s_waitcnt_vscnt null, 0x0
	s_barrier
	buffer_gl0_inv
	v_cmpx_gt_u32_e32 5, v0
	s_cbranch_execz .LBB97_374
; %bb.365:
	v_cmp_ne_u32_e32 vcc_lo, 1, v74
	s_cbranch_vccnz .LBB97_367
; %bb.366:
	scratch_load_b64 v[69:70], v73, off
	ds_load_b64 v[75:76], v72
	s_waitcnt vmcnt(0) lgkmcnt(0)
	v_mul_f64 v[69:70], v[69:70], v[75:76]
	s_cbranch_execz .LBB97_368
	s_branch .LBB97_369
.LBB97_367:
                                        ; implicit-def: $vgpr69_vgpr70
.LBB97_368:
	ds_load_b64 v[69:70], v72
.LBB97_369:
	s_mov_b32 s1, exec_lo
	v_cmpx_ne_u32_e32 4, v0
	s_cbranch_execz .LBB97_373
; %bb.370:
	v_add_nc_u32_e32 v75, 0x118, v71
	v_add3_u32 v76, 0, v71, 8
	v_mov_b32_e32 v77, v0
	s_mov_b32 s2, 0
.LBB97_371:                             ; =>This Inner Loop Header: Depth=1
	scratch_load_b64 v[78:79], v76, off
	ds_load_b64 v[80:81], v75
	v_add_nc_u32_e32 v77, 1, v77
	v_add_nc_u32_e32 v75, 8, v75
	v_add_nc_u32_e32 v76, 8, v76
	s_delay_alu instid0(VALU_DEP_3)
	v_cmp_lt_u32_e32 vcc_lo, 3, v77
	s_or_b32 s2, vcc_lo, s2
	s_waitcnt vmcnt(0) lgkmcnt(0)
	v_fma_f64 v[69:70], v[78:79], v[80:81], v[69:70]
	s_and_not1_b32 exec_lo, exec_lo, s2
	s_cbranch_execnz .LBB97_371
; %bb.372:
	s_or_b32 exec_lo, exec_lo, s2
.LBB97_373:
	s_delay_alu instid0(SALU_CYCLE_1)
	s_or_b32 exec_lo, exec_lo, s1
	v_mov_b32_e32 v75, 0
	ds_load_b64 v[75:76], v75 offset:40
	s_waitcnt lgkmcnt(0)
	v_mul_f64 v[69:70], v[69:70], v[75:76]
	scratch_store_b64 off, v[69:70], off offset:40
.LBB97_374:
	;; [unrolled: 58-line block ×28, first 2 shown]
	s_or_b32 exec_lo, exec_lo, s0
	scratch_load_b64 v[69:70], off, off offset:256
	v_cmp_gt_u32_e64 s0, 32, v0
	s_waitcnt vmcnt(0)
	ds_store_b64 v72, v[69:70]
	s_waitcnt lgkmcnt(0)
	s_waitcnt_vscnt null, 0x0
	s_barrier
	buffer_gl0_inv
	s_and_saveexec_b32 s1, s0
	s_cbranch_execz .LBB97_644
; %bb.635:
	v_cmp_ne_u32_e32 vcc_lo, 1, v74
	s_cbranch_vccnz .LBB97_637
; %bb.636:
	scratch_load_b64 v[69:70], v73, off
	ds_load_b64 v[75:76], v72
	s_waitcnt vmcnt(0) lgkmcnt(0)
	v_mul_f64 v[69:70], v[69:70], v[75:76]
	s_cbranch_execz .LBB97_638
	s_branch .LBB97_639
.LBB97_637:
                                        ; implicit-def: $vgpr69_vgpr70
.LBB97_638:
	ds_load_b64 v[69:70], v72
.LBB97_639:
	s_mov_b32 s2, exec_lo
	v_cmpx_ne_u32_e32 31, v0
	s_cbranch_execz .LBB97_643
; %bb.640:
	v_add_nc_u32_e32 v75, 0x118, v71
	v_add3_u32 v76, 0, v71, 8
	v_mov_b32_e32 v77, v0
	s_mov_b32 s3, 0
.LBB97_641:                             ; =>This Inner Loop Header: Depth=1
	scratch_load_b64 v[78:79], v76, off
	ds_load_b64 v[80:81], v75
	v_add_nc_u32_e32 v77, 1, v77
	v_add_nc_u32_e32 v75, 8, v75
	;; [unrolled: 1-line block ×3, first 2 shown]
	s_delay_alu instid0(VALU_DEP_3)
	v_cmp_lt_u32_e32 vcc_lo, 30, v77
	s_or_b32 s3, vcc_lo, s3
	s_waitcnt vmcnt(0) lgkmcnt(0)
	v_fma_f64 v[69:70], v[78:79], v[80:81], v[69:70]
	s_and_not1_b32 exec_lo, exec_lo, s3
	s_cbranch_execnz .LBB97_641
; %bb.642:
	s_or_b32 exec_lo, exec_lo, s3
.LBB97_643:
	s_delay_alu instid0(SALU_CYCLE_1)
	s_or_b32 exec_lo, exec_lo, s2
	v_mov_b32_e32 v75, 0
	ds_load_b64 v[75:76], v75 offset:256
	s_waitcnt lgkmcnt(0)
	v_mul_f64 v[69:70], v[69:70], v[75:76]
	scratch_store_b64 off, v[69:70], off offset:256
.LBB97_644:
	s_or_b32 exec_lo, exec_lo, s1
	scratch_load_b64 v[69:70], off, off offset:264
	s_mov_b32 s1, exec_lo
	s_waitcnt vmcnt(0)
	ds_store_b64 v72, v[69:70]
	s_waitcnt lgkmcnt(0)
	s_waitcnt_vscnt null, 0x0
	s_barrier
	buffer_gl0_inv
	v_cmpx_ne_u32_e32 33, v0
	s_cbranch_execz .LBB97_654
; %bb.645:
	v_cmp_ne_u32_e32 vcc_lo, 1, v74
	s_cbranch_vccnz .LBB97_647
; %bb.646:
	scratch_load_b64 v[69:70], v73, off
	ds_load_b64 v[73:74], v72
	s_waitcnt vmcnt(0) lgkmcnt(0)
	v_mul_f64 v[69:70], v[69:70], v[73:74]
	s_cbranch_execz .LBB97_648
	s_branch .LBB97_649
.LBB97_647:
                                        ; implicit-def: $vgpr69_vgpr70
.LBB97_648:
	ds_load_b64 v[69:70], v72
.LBB97_649:
	s_and_saveexec_b32 s2, s0
	s_cbranch_execz .LBB97_653
; %bb.650:
	v_add_nc_u32_e32 v72, 0x118, v71
	v_add3_u32 v71, 0, v71, 8
	s_mov_b32 s0, 0
.LBB97_651:                             ; =>This Inner Loop Header: Depth=1
	scratch_load_b64 v[73:74], v71, off
	ds_load_b64 v[75:76], v72
	v_add_nc_u32_e32 v0, 1, v0
	v_add_nc_u32_e32 v72, 8, v72
	;; [unrolled: 1-line block ×3, first 2 shown]
	s_delay_alu instid0(VALU_DEP_3)
	v_cmp_lt_u32_e32 vcc_lo, 31, v0
	s_or_b32 s0, vcc_lo, s0
	s_waitcnt vmcnt(0) lgkmcnt(0)
	v_fma_f64 v[69:70], v[73:74], v[75:76], v[69:70]
	s_and_not1_b32 exec_lo, exec_lo, s0
	s_cbranch_execnz .LBB97_651
; %bb.652:
	s_or_b32 exec_lo, exec_lo, s0
.LBB97_653:
	s_delay_alu instid0(SALU_CYCLE_1)
	s_or_b32 exec_lo, exec_lo, s2
	v_mov_b32_e32 v0, 0
	ds_load_b64 v[71:72], v0 offset:264
	s_waitcnt lgkmcnt(0)
	v_mul_f64 v[69:70], v[69:70], v[71:72]
	scratch_store_b64 off, v[69:70], off offset:264
.LBB97_654:
	s_or_b32 exec_lo, exec_lo, s1
.LBB97_655:
	s_clause 0x5
	scratch_load_b128 v[69:72], off, off
	scratch_load_b128 v[73:76], off, off offset:16
	scratch_load_b128 v[77:80], off, off offset:32
	;; [unrolled: 1-line block ×5, first 2 shown]
	s_waitcnt vmcnt(5)
	s_clause 0x1
	global_store_b64 v[13:14], v[69:70], off
	global_store_b64 v[15:16], v[71:72], off
	s_clause 0x1
	scratch_load_b128 v[13:16], off, off offset:96
	scratch_load_b128 v[69:72], off, off offset:112
	s_waitcnt vmcnt(6)
	s_clause 0x1
	global_store_b64 v[9:10], v[73:74], off
	global_store_b64 v[11:12], v[75:76], off
	s_clause 0x1
	scratch_load_b128 v[9:12], off, off offset:128
	scratch_load_b128 v[73:76], off, off offset:144
	;; [unrolled: 7-line block ×5, first 2 shown]
	s_waitcnt vmcnt(10)
	s_clause 0x1
	global_store_b64 v[23:24], v[89:90], off
	global_store_b64 v[25:26], v[91:92], off
	scratch_load_b128 v[23:26], off, off offset:256
	s_waitcnt vmcnt(10)
	s_clause 0x1
	global_store_b64 v[19:20], v[13:14], off
	global_store_b64 v[21:22], v[15:16], off
	s_waitcnt vmcnt(9)
	s_clause 0x1
	global_store_b64 v[27:28], v[69:70], off
	global_store_b64 v[29:30], v[71:72], off
	;; [unrolled: 4-line block ×11, first 2 shown]
.LBB97_656:
	s_endpgm
	.section	.rodata,"a",@progbits
	.p2align	6, 0x0
	.amdhsa_kernel _ZN9rocsolver6v33100L18trti2_kernel_smallILi34EdPKPdEEv13rocblas_fill_17rocblas_diagonal_T1_iil
		.amdhsa_group_segment_fixed_size 544
		.amdhsa_private_segment_fixed_size 288
		.amdhsa_kernarg_size 32
		.amdhsa_user_sgpr_count 15
		.amdhsa_user_sgpr_dispatch_ptr 0
		.amdhsa_user_sgpr_queue_ptr 0
		.amdhsa_user_sgpr_kernarg_segment_ptr 1
		.amdhsa_user_sgpr_dispatch_id 0
		.amdhsa_user_sgpr_private_segment_size 0
		.amdhsa_wavefront_size32 1
		.amdhsa_uses_dynamic_stack 0
		.amdhsa_enable_private_segment 1
		.amdhsa_system_sgpr_workgroup_id_x 1
		.amdhsa_system_sgpr_workgroup_id_y 0
		.amdhsa_system_sgpr_workgroup_id_z 0
		.amdhsa_system_sgpr_workgroup_info 0
		.amdhsa_system_vgpr_workitem_id 0
		.amdhsa_next_free_vgpr 98
		.amdhsa_next_free_sgpr 16
		.amdhsa_reserve_vcc 1
		.amdhsa_float_round_mode_32 0
		.amdhsa_float_round_mode_16_64 0
		.amdhsa_float_denorm_mode_32 3
		.amdhsa_float_denorm_mode_16_64 3
		.amdhsa_dx10_clamp 1
		.amdhsa_ieee_mode 1
		.amdhsa_fp16_overflow 0
		.amdhsa_workgroup_processor_mode 1
		.amdhsa_memory_ordered 1
		.amdhsa_forward_progress 0
		.amdhsa_shared_vgpr_count 0
		.amdhsa_exception_fp_ieee_invalid_op 0
		.amdhsa_exception_fp_denorm_src 0
		.amdhsa_exception_fp_ieee_div_zero 0
		.amdhsa_exception_fp_ieee_overflow 0
		.amdhsa_exception_fp_ieee_underflow 0
		.amdhsa_exception_fp_ieee_inexact 0
		.amdhsa_exception_int_div_zero 0
	.end_amdhsa_kernel
	.section	.text._ZN9rocsolver6v33100L18trti2_kernel_smallILi34EdPKPdEEv13rocblas_fill_17rocblas_diagonal_T1_iil,"axG",@progbits,_ZN9rocsolver6v33100L18trti2_kernel_smallILi34EdPKPdEEv13rocblas_fill_17rocblas_diagonal_T1_iil,comdat
.Lfunc_end97:
	.size	_ZN9rocsolver6v33100L18trti2_kernel_smallILi34EdPKPdEEv13rocblas_fill_17rocblas_diagonal_T1_iil, .Lfunc_end97-_ZN9rocsolver6v33100L18trti2_kernel_smallILi34EdPKPdEEv13rocblas_fill_17rocblas_diagonal_T1_iil
                                        ; -- End function
	.section	.AMDGPU.csdata,"",@progbits
; Kernel info:
; codeLenInByte = 18468
; NumSgprs: 18
; NumVgprs: 98
; ScratchSize: 288
; MemoryBound: 0
; FloatMode: 240
; IeeeMode: 1
; LDSByteSize: 544 bytes/workgroup (compile time only)
; SGPRBlocks: 2
; VGPRBlocks: 12
; NumSGPRsForWavesPerEU: 18
; NumVGPRsForWavesPerEU: 98
; Occupancy: 12
; WaveLimiterHint : 1
; COMPUTE_PGM_RSRC2:SCRATCH_EN: 1
; COMPUTE_PGM_RSRC2:USER_SGPR: 15
; COMPUTE_PGM_RSRC2:TRAP_HANDLER: 0
; COMPUTE_PGM_RSRC2:TGID_X_EN: 1
; COMPUTE_PGM_RSRC2:TGID_Y_EN: 0
; COMPUTE_PGM_RSRC2:TGID_Z_EN: 0
; COMPUTE_PGM_RSRC2:TIDIG_COMP_CNT: 0
	.section	.text._ZN9rocsolver6v33100L18trti2_kernel_smallILi35EdPKPdEEv13rocblas_fill_17rocblas_diagonal_T1_iil,"axG",@progbits,_ZN9rocsolver6v33100L18trti2_kernel_smallILi35EdPKPdEEv13rocblas_fill_17rocblas_diagonal_T1_iil,comdat
	.globl	_ZN9rocsolver6v33100L18trti2_kernel_smallILi35EdPKPdEEv13rocblas_fill_17rocblas_diagonal_T1_iil ; -- Begin function _ZN9rocsolver6v33100L18trti2_kernel_smallILi35EdPKPdEEv13rocblas_fill_17rocblas_diagonal_T1_iil
	.p2align	8
	.type	_ZN9rocsolver6v33100L18trti2_kernel_smallILi35EdPKPdEEv13rocblas_fill_17rocblas_diagonal_T1_iil,@function
_ZN9rocsolver6v33100L18trti2_kernel_smallILi35EdPKPdEEv13rocblas_fill_17rocblas_diagonal_T1_iil: ; @_ZN9rocsolver6v33100L18trti2_kernel_smallILi35EdPKPdEEv13rocblas_fill_17rocblas_diagonal_T1_iil
; %bb.0:
	s_mov_b32 s2, exec_lo
	v_cmpx_gt_u32_e32 35, v0
	s_cbranch_execz .LBB98_676
; %bb.1:
	s_clause 0x1
	s_load_b64 s[4:5], s[0:1], 0x10
	s_load_b128 s[0:3], s[0:1], 0x0
	s_mov_b32 s6, s15
	s_ashr_i32 s7, s15, 31
	v_lshlrev_b32_e32 v73, 3, v0
	s_lshl_b64 s[8:9], s[6:7], 3
	s_waitcnt lgkmcnt(0)
	s_ashr_i32 s7, s4, 31
	s_add_u32 s2, s2, s8
	s_addc_u32 s3, s3, s9
	v_add3_u32 v1, s5, s5, v0
	s_load_b64 s[2:3], s[2:3], 0x0
	s_mov_b32 s6, s4
	s_mov_b32 s8, s5
	s_lshl_b64 s[6:7], s[6:7], 3
	v_add_nc_u32_e32 v3, s5, v1
	v_ashrrev_i32_e32 v2, 31, v1
	s_delay_alu instid0(VALU_DEP_2) | instskip(SKIP_1) | instid1(VALU_DEP_3)
	v_add_nc_u32_e32 v5, s5, v3
	v_ashrrev_i32_e32 v4, 31, v3
	v_lshlrev_b64 v[7:8], 3, v[1:2]
	s_delay_alu instid0(VALU_DEP_3) | instskip(NEXT) | instid1(VALU_DEP_3)
	v_add_nc_u32_e32 v9, s5, v5
	v_lshlrev_b64 v[11:12], 3, v[3:4]
	v_ashrrev_i32_e32 v6, 31, v5
	s_delay_alu instid0(VALU_DEP_3)
	v_add_nc_u32_e32 v13, s5, v9
	s_waitcnt lgkmcnt(0)
	s_add_u32 s2, s2, s6
	s_addc_u32 s3, s3, s7
	v_add_co_u32 v3, s4, s2, v73
	s_ashr_i32 s9, s5, 31
	v_add_co_ci_u32_e64 v4, null, s3, 0, s4
	s_lshl_b64 s[6:7], s[8:9], 3
	v_lshlrev_b64 v[15:16], 3, v[5:6]
	v_add_co_u32 v1, vcc_lo, v3, s6
	s_delay_alu instid0(VALU_DEP_3)
	v_add_co_ci_u32_e32 v2, vcc_lo, s7, v4, vcc_lo
	v_add_co_u32 v5, vcc_lo, s2, v7
	v_add_nc_u32_e32 v17, s5, v13
	v_add_co_ci_u32_e32 v6, vcc_lo, s3, v8, vcc_lo
	v_add_co_u32 v7, vcc_lo, s2, v11
	v_add_co_ci_u32_e32 v8, vcc_lo, s3, v12, vcc_lo
	v_ashrrev_i32_e32 v10, 31, v9
	v_add_co_u32 v11, vcc_lo, s2, v15
	v_add_nc_u32_e32 v15, s5, v17
	v_ashrrev_i32_e32 v14, 31, v13
	s_delay_alu instid0(VALU_DEP_4)
	v_lshlrev_b64 v[9:10], 3, v[9:10]
	v_ashrrev_i32_e32 v18, 31, v17
	s_clause 0x1
	global_load_b64 v[47:48], v73, s[2:3]
	global_load_b64 v[49:50], v[1:2], off
	v_add_nc_u32_e32 v19, s5, v15
	v_lshlrev_b64 v[13:14], 3, v[13:14]
	v_add_co_ci_u32_e32 v12, vcc_lo, s3, v16, vcc_lo
	v_ashrrev_i32_e32 v16, 31, v15
	s_delay_alu instid0(VALU_DEP_4)
	v_add_nc_u32_e32 v21, s5, v19
	v_add_co_u32 v9, vcc_lo, s2, v9
	v_lshlrev_b64 v[17:18], 3, v[17:18]
	v_add_co_ci_u32_e32 v10, vcc_lo, s3, v10, vcc_lo
	v_add_co_u32 v13, vcc_lo, s2, v13
	v_lshlrev_b64 v[23:24], 3, v[15:16]
	v_add_nc_u32_e32 v25, s5, v21
	v_add_co_ci_u32_e32 v14, vcc_lo, s3, v14, vcc_lo
	v_ashrrev_i32_e32 v20, 31, v19
	v_add_co_u32 v15, vcc_lo, s2, v17
	s_clause 0x3
	global_load_b64 v[57:58], v[9:10], off
	global_load_b64 v[59:60], v[5:6], off
	;; [unrolled: 1-line block ×4, first 2 shown]
	v_add_co_ci_u32_e32 v16, vcc_lo, s3, v18, vcc_lo
	v_add_co_u32 v17, vcc_lo, s2, v23
	v_add_nc_u32_e32 v23, s5, v25
	v_lshlrev_b64 v[19:20], 3, v[19:20]
	v_ashrrev_i32_e32 v22, 31, v21
	v_ashrrev_i32_e32 v26, 31, v25
	v_add_co_ci_u32_e32 v18, vcc_lo, s3, v24, vcc_lo
	v_add_nc_u32_e32 v29, s5, v23
	s_delay_alu instid0(VALU_DEP_4)
	v_lshlrev_b64 v[21:22], 3, v[21:22]
	v_add_co_u32 v19, vcc_lo, s2, v19
	v_ashrrev_i32_e32 v24, 31, v23
	v_add_co_ci_u32_e32 v20, vcc_lo, s3, v20, vcc_lo
	v_lshlrev_b64 v[25:26], 3, v[25:26]
	v_ashrrev_i32_e32 v30, 31, v29
	s_clause 0x3
	global_load_b64 v[63:64], v[13:14], off
	global_load_b64 v[65:66], v[15:16], off
	;; [unrolled: 1-line block ×4, first 2 shown]
	v_add_co_u32 v21, vcc_lo, s2, v21
	v_lshlrev_b64 v[27:28], 3, v[23:24]
	v_add_co_ci_u32_e32 v22, vcc_lo, s3, v22, vcc_lo
	v_add_co_u32 v23, vcc_lo, s2, v25
	v_lshlrev_b64 v[30:31], 3, v[29:30]
	v_add_co_ci_u32_e32 v24, vcc_lo, s3, v26, vcc_lo
	v_add_co_u32 v25, vcc_lo, s2, v27
	v_add_co_ci_u32_e32 v26, vcc_lo, s3, v28, vcc_lo
	s_delay_alu instid0(VALU_DEP_4)
	v_add_co_u32 v27, vcc_lo, s2, v30
	v_add_co_ci_u32_e32 v28, vcc_lo, s3, v31, vcc_lo
	s_clause 0x3
	global_load_b64 v[74:75], v[21:22], off
	global_load_b64 v[76:77], v[23:24], off
	;; [unrolled: 1-line block ×4, first 2 shown]
	v_add_nc_u32_e32 v29, s5, v29
	s_cmpk_lg_i32 s1, 0x84
	s_delay_alu instid0(VALU_DEP_1) | instskip(SKIP_1) | instid1(VALU_DEP_2)
	v_add_nc_u32_e32 v31, s5, v29
	v_ashrrev_i32_e32 v30, 31, v29
	v_add_nc_u32_e32 v33, s5, v31
	v_ashrrev_i32_e32 v32, 31, v31
	s_delay_alu instid0(VALU_DEP_3) | instskip(NEXT) | instid1(VALU_DEP_3)
	v_lshlrev_b64 v[29:30], 3, v[29:30]
	v_add_nc_u32_e32 v35, s5, v33
	v_ashrrev_i32_e32 v34, 31, v33
	s_delay_alu instid0(VALU_DEP_4) | instskip(NEXT) | instid1(VALU_DEP_4)
	v_lshlrev_b64 v[31:32], 3, v[31:32]
	v_add_co_u32 v29, vcc_lo, s2, v29
	s_delay_alu instid0(VALU_DEP_4) | instskip(SKIP_3) | instid1(VALU_DEP_4)
	v_add_nc_u32_e32 v37, s5, v35
	v_ashrrev_i32_e32 v36, 31, v35
	v_lshlrev_b64 v[33:34], 3, v[33:34]
	v_add_co_ci_u32_e32 v30, vcc_lo, s3, v30, vcc_lo
	v_add_nc_u32_e32 v39, s5, v37
	v_ashrrev_i32_e32 v38, 31, v37
	v_add_co_u32 v31, vcc_lo, s2, v31
	v_lshlrev_b64 v[35:36], 3, v[35:36]
	s_delay_alu instid0(VALU_DEP_4) | instskip(SKIP_3) | instid1(VALU_DEP_4)
	v_add_nc_u32_e32 v41, s5, v39
	v_ashrrev_i32_e32 v40, 31, v39
	v_add_co_ci_u32_e32 v32, vcc_lo, s3, v32, vcc_lo
	v_add_co_u32 v33, vcc_lo, s2, v33
	v_add_nc_u32_e32 v43, s5, v41
	v_lshlrev_b64 v[37:38], 3, v[37:38]
	v_ashrrev_i32_e32 v42, 31, v41
	v_add_co_ci_u32_e32 v34, vcc_lo, s3, v34, vcc_lo
	s_delay_alu instid0(VALU_DEP_4) | instskip(SKIP_3) | instid1(VALU_DEP_4)
	v_add_nc_u32_e32 v45, s5, v43
	v_add_co_u32 v35, vcc_lo, s2, v35
	v_lshlrev_b64 v[39:40], 3, v[39:40]
	v_add_co_ci_u32_e32 v36, vcc_lo, s3, v36, vcc_lo
	v_add_nc_u32_e32 v51, s5, v45
	v_add_co_u32 v37, vcc_lo, s2, v37
	v_lshlrev_b64 v[41:42], 3, v[41:42]
	v_ashrrev_i32_e32 v44, 31, v43
	s_delay_alu instid0(VALU_DEP_4) | instskip(SKIP_2) | instid1(VALU_DEP_3)
	v_add_nc_u32_e32 v53, s5, v51
	v_add_co_ci_u32_e32 v38, vcc_lo, s3, v38, vcc_lo
	v_add_co_u32 v39, vcc_lo, s2, v39
	v_add_nc_u32_e32 v71, s5, v53
	v_ashrrev_i32_e32 v46, 31, v45
	v_add_co_ci_u32_e32 v40, vcc_lo, s3, v40, vcc_lo
	v_lshlrev_b64 v[90:91], 3, v[43:44]
	s_delay_alu instid0(VALU_DEP_4) | instskip(SKIP_3) | instid1(VALU_DEP_4)
	v_add_nc_u32_e32 v96, s5, v71
	v_add_co_u32 v43, vcc_lo, s2, v41
	v_ashrrev_i32_e32 v52, 31, v51
	v_add_co_ci_u32_e32 v44, vcc_lo, s3, v42, vcc_lo
	v_add_nc_u32_e32 v104, s5, v96
	v_lshlrev_b64 v[97:98], 3, v[45:46]
	v_ashrrev_i32_e32 v54, 31, v53
	s_clause 0x2
	global_load_b64 v[82:83], v[29:30], off
	global_load_b64 v[84:85], v[31:32], off
	;; [unrolled: 1-line block ×3, first 2 shown]
	v_ashrrev_i32_e32 v72, 31, v71
	v_add_nc_u32_e32 v106, s5, v104
	v_ashrrev_i32_e32 v105, 31, v104
	s_delay_alu instid0(VALU_DEP_2) | instskip(SKIP_1) | instid1(VALU_DEP_2)
	v_add_nc_u32_e32 v108, s5, v106
	v_ashrrev_i32_e32 v107, 31, v106
	v_add_nc_u32_e32 v110, s5, v108
	v_ashrrev_i32_e32 v109, 31, v108
	s_delay_alu instid0(VALU_DEP_2) | instskip(SKIP_1) | instid1(VALU_DEP_2)
	v_add_nc_u32_e32 v112, s5, v110
	;; [unrolled: 5-line block ×3, first 2 shown]
	v_ashrrev_i32_e32 v115, 31, v114
	v_add_nc_u32_e32 v88, s5, v116
	v_ashrrev_i32_e32 v117, 31, v116
	s_delay_alu instid0(VALU_DEP_2) | instskip(NEXT) | instid1(VALU_DEP_1)
	v_ashrrev_i32_e32 v89, 31, v88
	v_lshlrev_b64 v[88:89], 3, v[88:89]
	s_delay_alu instid0(VALU_DEP_1) | instskip(NEXT) | instid1(VALU_DEP_2)
	v_add_co_u32 v41, vcc_lo, s2, v88
	v_add_co_ci_u32_e32 v42, vcc_lo, s3, v89, vcc_lo
	v_add_co_u32 v45, vcc_lo, s2, v90
	v_add_co_ci_u32_e32 v46, vcc_lo, s3, v91, vcc_lo
	global_load_b64 v[118:119], v[41:42], off
	s_waitcnt vmcnt(16)
	scratch_store_b128 off, v[47:50], off
	v_lshlrev_b64 v[49:50], 3, v[51:52]
	v_add_co_u32 v47, vcc_lo, s2, v97
	v_lshlrev_b64 v[51:52], 3, v[53:54]
	v_ashrrev_i32_e32 v97, 31, v96
	v_add_co_ci_u32_e32 v48, vcc_lo, s3, v98, vcc_lo
	v_add_co_u32 v49, vcc_lo, s2, v49
	v_lshlrev_b64 v[53:54], 3, v[71:72]
	v_add_co_ci_u32_e32 v50, vcc_lo, s3, v50, vcc_lo
	v_add_co_u32 v51, vcc_lo, s2, v51
	v_lshlrev_b64 v[71:72], 3, v[96:97]
	v_add_co_ci_u32_e32 v52, vcc_lo, s3, v52, vcc_lo
	s_clause 0x3
	global_load_b64 v[88:89], v[35:36], off
	global_load_b64 v[90:91], v[37:38], off
	;; [unrolled: 1-line block ×4, first 2 shown]
	v_add_co_u32 v53, vcc_lo, s2, v53
	s_waitcnt vmcnt(17)
	scratch_store_b128 off, v[59:62], off offset:16
	s_waitcnt vmcnt(16)
	scratch_store_b128 off, v[55:58], off offset:32
	v_lshlrev_b64 v[57:58], 3, v[104:105]
	v_add_co_ci_u32_e32 v54, vcc_lo, s3, v54, vcc_lo
	v_add_co_u32 v55, vcc_lo, s2, v71
	v_lshlrev_b64 v[59:60], 3, v[106:107]
	v_add_co_ci_u32_e32 v56, vcc_lo, s3, v72, vcc_lo
	v_add_co_u32 v57, vcc_lo, s2, v57
	;; [unrolled: 3-line block ×3, first 2 shown]
	v_lshlrev_b64 v[71:72], 3, v[110:111]
	v_add_co_ci_u32_e32 v60, vcc_lo, s3, v60, vcc_lo
	s_clause 0x3
	global_load_b64 v[96:97], v[45:46], off
	global_load_b64 v[98:99], v[47:48], off
	;; [unrolled: 1-line block ×4, first 2 shown]
	s_waitcnt vmcnt(18)
	scratch_store_b128 off, v[63:66], off offset:48
	s_waitcnt vmcnt(16)
	scratch_store_b128 off, v[67:70], off offset:64
	v_add_co_u32 v61, vcc_lo, s2, v61
	v_lshlrev_b64 v[65:66], 3, v[112:113]
	v_add_co_ci_u32_e32 v62, vcc_lo, s3, v62, vcc_lo
	v_add_co_u32 v63, vcc_lo, s2, v71
	v_lshlrev_b64 v[67:68], 3, v[114:115]
	v_add_co_ci_u32_e32 v64, vcc_lo, s3, v72, vcc_lo
	v_mov_b32_e32 v71, 0
	v_add_co_u32 v65, vcc_lo, s2, v65
	v_lshlrev_b64 v[69:70], 3, v[116:117]
	v_add_co_ci_u32_e32 v66, vcc_lo, s3, v66, vcc_lo
	v_add_co_u32 v67, vcc_lo, s2, v67
	v_add_co_ci_u32_e32 v68, vcc_lo, s3, v68, vcc_lo
	s_delay_alu instid0(VALU_DEP_4)
	v_add_co_u32 v69, vcc_lo, s2, v69
	s_clause 0x3
	global_load_b64 v[104:105], v[53:54], off
	global_load_b64 v[106:107], v[55:56], off
	;; [unrolled: 1-line block ×4, first 2 shown]
	v_add_co_ci_u32_e32 v70, vcc_lo, s3, v70, vcc_lo
	s_waitcnt vmcnt(18)
	scratch_store_b128 off, v[74:77], off offset:80
	s_waitcnt vmcnt(16)
	scratch_store_b128 off, v[78:81], off offset:96
	s_clause 0x4
	global_load_b64 v[112:113], v[61:62], off
	global_load_b64 v[74:75], v[63:64], off
	;; [unrolled: 1-line block ×5, first 2 shown]
	v_mov_b32_e32 v72, 0xbff00000
	s_cselect_b32 s3, -1, 0
	s_cmpk_eq_i32 s1, 0x84
	s_waitcnt vmcnt(19)
	scratch_store_b128 off, v[82:85], off offset:112
	s_waitcnt vmcnt(16)
	scratch_store_b128 off, v[86:89], off offset:128
	;; [unrolled: 2-line block ×9, first 2 shown]
	s_waitcnt vmcnt(0)
	s_clause 0x1
	scratch_store_b128 off, v[78:81], off offset:256
	scratch_store_b64 off, v[118:119], off offset:272
	s_cbranch_scc1 .LBB98_3
; %bb.2:
	scratch_load_b64 v[71:72], v73, off
	s_waitcnt vmcnt(0)
	v_div_scale_f64 v[74:75], null, v[71:72], v[71:72], 1.0
	v_div_scale_f64 v[80:81], vcc_lo, 1.0, v[71:72], 1.0
	s_delay_alu instid0(VALU_DEP_2) | instskip(SKIP_2) | instid1(VALU_DEP_1)
	v_rcp_f64_e32 v[76:77], v[74:75]
	s_waitcnt_depctr 0xfff
	v_fma_f64 v[78:79], -v[74:75], v[76:77], 1.0
	v_fma_f64 v[76:77], v[76:77], v[78:79], v[76:77]
	s_delay_alu instid0(VALU_DEP_1) | instskip(NEXT) | instid1(VALU_DEP_1)
	v_fma_f64 v[78:79], -v[74:75], v[76:77], 1.0
	v_fma_f64 v[76:77], v[76:77], v[78:79], v[76:77]
	s_delay_alu instid0(VALU_DEP_1) | instskip(NEXT) | instid1(VALU_DEP_1)
	v_mul_f64 v[78:79], v[80:81], v[76:77]
	v_fma_f64 v[74:75], -v[74:75], v[78:79], v[80:81]
	s_delay_alu instid0(VALU_DEP_1) | instskip(NEXT) | instid1(VALU_DEP_1)
	v_div_fmas_f64 v[74:75], v[74:75], v[76:77], v[78:79]
	v_div_fixup_f64 v[71:72], v[74:75], v[71:72], 1.0
	scratch_store_b64 v73, v[71:72], off
	v_xor_b32_e32 v72, 0x80000000, v72
.LBB98_3:
	v_add_nc_u32_e32 v74, 0x120, v73
	v_add_nc_u32_e32 v75, 0, v73
	s_cmpk_eq_i32 s0, 0x79
	s_mov_b32 s0, -1
	ds_store_b64 v73, v[71:72]
	s_cbranch_scc1 .LBB98_339
; %bb.4:
	scratch_load_b64 v[71:72], off, off offset:264
	v_cmp_eq_u32_e64 s0, 34, v0
	s_movk_i32 s1, 0x50
	s_movk_i32 s2, 0x60
	;; [unrolled: 1-line block ×12, first 2 shown]
	s_waitcnt vmcnt(0)
	ds_store_b64 v74, v[71:72]
	s_waitcnt lgkmcnt(0)
	s_waitcnt_vscnt null, 0x0
	s_barrier
	buffer_gl0_inv
	s_and_saveexec_b32 s14, s0
	s_cbranch_execz .LBB98_10
; %bb.5:
	s_and_b32 vcc_lo, exec_lo, s3
	s_cbranch_vccz .LBB98_7
; %bb.6:
	scratch_load_b64 v[71:72], v75, off
	ds_load_b64 v[76:77], v74
	s_waitcnt vmcnt(0) lgkmcnt(0)
	v_mul_f64 v[71:72], v[71:72], v[76:77]
	s_cbranch_execz .LBB98_8
	s_branch .LBB98_9
.LBB98_7:
                                        ; implicit-def: $vgpr71_vgpr72
.LBB98_8:
	ds_load_b64 v[71:72], v74
.LBB98_9:
	v_mov_b32_e32 v76, 0
	ds_load_b64 v[76:77], v76 offset:264
	s_waitcnt lgkmcnt(0)
	v_mul_f64 v[71:72], v[71:72], v[76:77]
	scratch_store_b64 off, v[71:72], off offset:264
.LBB98_10:
	s_or_b32 exec_lo, exec_lo, s14
	scratch_load_b64 v[71:72], off, off offset:256
	v_add_nc_u32_e64 v76, 0, 16
	v_add_nc_u32_e64 v77, 0, 32
	;; [unrolled: 1-line block ×16, first 2 shown]
	v_cmp_lt_u32_e64 s2, 32, v0
	s_waitcnt vmcnt(0)
	ds_store_b64 v74, v[71:72]
	s_waitcnt lgkmcnt(0)
	s_waitcnt_vscnt null, 0x0
	s_barrier
	buffer_gl0_inv
	s_and_saveexec_b32 s1, s2
	s_cbranch_execz .LBB98_18
; %bb.11:
	s_and_not1_b32 vcc_lo, exec_lo, s3
	s_cbranch_vccnz .LBB98_13
; %bb.12:
	scratch_load_b64 v[71:72], v75, off
	ds_load_b64 v[92:93], v74
	s_waitcnt vmcnt(0) lgkmcnt(0)
	v_mul_f64 v[71:72], v[71:72], v[92:93]
	s_cbranch_execz .LBB98_14
	s_branch .LBB98_15
.LBB98_13:
                                        ; implicit-def: $vgpr71_vgpr72
.LBB98_14:
	ds_load_b64 v[71:72], v74
.LBB98_15:
	s_and_saveexec_b32 s4, s0
	s_cbranch_execz .LBB98_17
; %bb.16:
	scratch_load_b64 v[92:93], off, off offset:264
	v_mov_b32_e32 v94, 0
	ds_load_b64 v[94:95], v94 offset:552
	s_waitcnt vmcnt(0) lgkmcnt(0)
	v_fma_f64 v[71:72], v[92:93], v[94:95], v[71:72]
.LBB98_17:
	s_or_b32 exec_lo, exec_lo, s4
	v_mov_b32_e32 v92, 0
	ds_load_b64 v[92:93], v92 offset:256
	s_waitcnt lgkmcnt(0)
	v_mul_f64 v[71:72], v[71:72], v[92:93]
	scratch_store_b64 off, v[71:72], off offset:256
.LBB98_18:
	s_or_b32 exec_lo, exec_lo, s1
	scratch_load_b64 v[71:72], off, off offset:248
	v_cmp_lt_u32_e64 s1, 31, v0
	s_waitcnt vmcnt(0)
	ds_store_b64 v74, v[71:72]
	s_waitcnt lgkmcnt(0)
	s_waitcnt_vscnt null, 0x0
	s_barrier
	buffer_gl0_inv
	s_and_saveexec_b32 s0, s1
	s_cbranch_execz .LBB98_28
; %bb.19:
	s_and_not1_b32 vcc_lo, exec_lo, s3
	s_cbranch_vccnz .LBB98_21
; %bb.20:
	scratch_load_b64 v[71:72], v75, off
	ds_load_b64 v[92:93], v74
	s_waitcnt vmcnt(0) lgkmcnt(0)
	v_mul_f64 v[71:72], v[71:72], v[92:93]
	s_cbranch_execz .LBB98_22
	s_branch .LBB98_23
.LBB98_21:
                                        ; implicit-def: $vgpr71_vgpr72
.LBB98_22:
	ds_load_b64 v[71:72], v74
.LBB98_23:
	s_and_saveexec_b32 s4, s2
	s_cbranch_execz .LBB98_27
; %bb.24:
	v_subrev_nc_u32_e32 v92, 32, v0
	s_movk_i32 s5, 0x220
	s_mov_b32 s2, 0
.LBB98_25:                              ; =>This Inner Loop Header: Depth=1
	scratch_load_b64 v[93:94], v91, off
	v_dual_mov_b32 v95, s5 :: v_dual_add_nc_u32 v92, -1, v92
	v_add_nc_u32_e32 v91, 8, v91
	s_add_i32 s5, s5, 8
	ds_load_b64 v[95:96], v95
	v_cmp_eq_u32_e32 vcc_lo, 0, v92
	s_or_b32 s2, vcc_lo, s2
	s_waitcnt vmcnt(0) lgkmcnt(0)
	v_fma_f64 v[71:72], v[93:94], v[95:96], v[71:72]
	s_and_not1_b32 exec_lo, exec_lo, s2
	s_cbranch_execnz .LBB98_25
; %bb.26:
	s_or_b32 exec_lo, exec_lo, s2
.LBB98_27:
	s_delay_alu instid0(SALU_CYCLE_1)
	s_or_b32 exec_lo, exec_lo, s4
	v_mov_b32_e32 v91, 0
	ds_load_b64 v[91:92], v91 offset:248
	s_waitcnt lgkmcnt(0)
	v_mul_f64 v[71:72], v[71:72], v[91:92]
	scratch_store_b64 off, v[71:72], off offset:248
.LBB98_28:
	s_or_b32 exec_lo, exec_lo, s0
	scratch_load_b64 v[71:72], off, off offset:240
	v_cmp_lt_u32_e64 s0, 30, v0
	s_waitcnt vmcnt(0)
	ds_store_b64 v74, v[71:72]
	s_waitcnt lgkmcnt(0)
	s_waitcnt_vscnt null, 0x0
	s_barrier
	buffer_gl0_inv
	s_and_saveexec_b32 s2, s0
	s_cbranch_execz .LBB98_38
; %bb.29:
	s_and_not1_b32 vcc_lo, exec_lo, s3
	s_cbranch_vccnz .LBB98_31
; %bb.30:
	scratch_load_b64 v[71:72], v75, off
	ds_load_b64 v[91:92], v74
	s_waitcnt vmcnt(0) lgkmcnt(0)
	v_mul_f64 v[71:72], v[71:72], v[91:92]
	s_cbranch_execz .LBB98_32
	s_branch .LBB98_33
.LBB98_31:
                                        ; implicit-def: $vgpr71_vgpr72
.LBB98_32:
	ds_load_b64 v[71:72], v74
.LBB98_33:
	s_and_saveexec_b32 s4, s1
	s_cbranch_execz .LBB98_37
; %bb.34:
	v_mov_b32_e32 v91, 0
	v_subrev_nc_u32_e32 v92, 31, v0
	s_movk_i32 s5, 0x218
	s_mov_b32 s1, 0
	s_delay_alu instid0(VALU_DEP_2)
	v_add_nc_u32_e32 v91, 0xf8, v91
.LBB98_35:                              ; =>This Inner Loop Header: Depth=1
	scratch_load_b64 v[93:94], v91, off
	v_dual_mov_b32 v95, s5 :: v_dual_add_nc_u32 v92, -1, v92
	v_add_nc_u32_e32 v91, 8, v91
	s_add_i32 s5, s5, 8
	ds_load_b64 v[95:96], v95
	v_cmp_eq_u32_e32 vcc_lo, 0, v92
	s_or_b32 s1, vcc_lo, s1
	s_waitcnt vmcnt(0) lgkmcnt(0)
	v_fma_f64 v[71:72], v[93:94], v[95:96], v[71:72]
	s_and_not1_b32 exec_lo, exec_lo, s1
	s_cbranch_execnz .LBB98_35
; %bb.36:
	s_or_b32 exec_lo, exec_lo, s1
.LBB98_37:
	s_delay_alu instid0(SALU_CYCLE_1)
	s_or_b32 exec_lo, exec_lo, s4
	v_mov_b32_e32 v91, 0
	ds_load_b64 v[91:92], v91 offset:240
	s_waitcnt lgkmcnt(0)
	v_mul_f64 v[71:72], v[71:72], v[91:92]
	scratch_store_b64 off, v[71:72], off offset:240
.LBB98_38:
	s_or_b32 exec_lo, exec_lo, s2
	scratch_load_b64 v[71:72], off, off offset:232
	v_cmp_lt_u32_e64 s1, 29, v0
	s_waitcnt vmcnt(0)
	ds_store_b64 v74, v[71:72]
	s_waitcnt lgkmcnt(0)
	s_waitcnt_vscnt null, 0x0
	s_barrier
	buffer_gl0_inv
	s_and_saveexec_b32 s2, s1
	s_cbranch_execz .LBB98_48
; %bb.39:
	s_and_not1_b32 vcc_lo, exec_lo, s3
	s_cbranch_vccnz .LBB98_41
; %bb.40:
	scratch_load_b64 v[71:72], v75, off
	ds_load_b64 v[91:92], v74
	s_waitcnt vmcnt(0) lgkmcnt(0)
	v_mul_f64 v[71:72], v[71:72], v[91:92]
	s_cbranch_execz .LBB98_42
	s_branch .LBB98_43
.LBB98_41:
                                        ; implicit-def: $vgpr71_vgpr72
.LBB98_42:
	ds_load_b64 v[71:72], v74
.LBB98_43:
	s_and_saveexec_b32 s4, s0
	s_cbranch_execz .LBB98_47
; %bb.44:
	v_subrev_nc_u32_e32 v91, 30, v0
	s_movk_i32 s5, 0x210
	s_mov_b32 s0, 0
.LBB98_45:                              ; =>This Inner Loop Header: Depth=1
	scratch_load_b64 v[92:93], v90, off
	v_dual_mov_b32 v94, s5 :: v_dual_add_nc_u32 v91, -1, v91
	v_add_nc_u32_e32 v90, 8, v90
	s_add_i32 s5, s5, 8
	ds_load_b64 v[94:95], v94
	v_cmp_eq_u32_e32 vcc_lo, 0, v91
	s_or_b32 s0, vcc_lo, s0
	s_waitcnt vmcnt(0) lgkmcnt(0)
	v_fma_f64 v[71:72], v[92:93], v[94:95], v[71:72]
	s_and_not1_b32 exec_lo, exec_lo, s0
	s_cbranch_execnz .LBB98_45
; %bb.46:
	s_or_b32 exec_lo, exec_lo, s0
.LBB98_47:
	s_delay_alu instid0(SALU_CYCLE_1)
	s_or_b32 exec_lo, exec_lo, s4
	v_mov_b32_e32 v90, 0
	ds_load_b64 v[90:91], v90 offset:232
	s_waitcnt lgkmcnt(0)
	v_mul_f64 v[71:72], v[71:72], v[90:91]
	scratch_store_b64 off, v[71:72], off offset:232
.LBB98_48:
	s_or_b32 exec_lo, exec_lo, s2
	scratch_load_b64 v[71:72], off, off offset:224
	v_cmp_lt_u32_e64 s0, 28, v0
	s_waitcnt vmcnt(0)
	ds_store_b64 v74, v[71:72]
	s_waitcnt lgkmcnt(0)
	s_waitcnt_vscnt null, 0x0
	s_barrier
	buffer_gl0_inv
	s_and_saveexec_b32 s2, s0
	s_cbranch_execz .LBB98_58
; %bb.49:
	s_and_not1_b32 vcc_lo, exec_lo, s3
	s_cbranch_vccnz .LBB98_51
; %bb.50:
	scratch_load_b64 v[71:72], v75, off
	ds_load_b64 v[90:91], v74
	s_waitcnt vmcnt(0) lgkmcnt(0)
	v_mul_f64 v[71:72], v[71:72], v[90:91]
	s_cbranch_execz .LBB98_52
	s_branch .LBB98_53
.LBB98_51:
                                        ; implicit-def: $vgpr71_vgpr72
.LBB98_52:
	ds_load_b64 v[71:72], v74
.LBB98_53:
	s_and_saveexec_b32 s4, s1
	s_cbranch_execz .LBB98_57
; %bb.54:
	v_mov_b32_e32 v90, 0
	v_subrev_nc_u32_e32 v91, 29, v0
	s_movk_i32 s5, 0x208
	s_mov_b32 s1, 0
	s_delay_alu instid0(VALU_DEP_2)
	v_add_nc_u32_e32 v90, 0xe8, v90
.LBB98_55:                              ; =>This Inner Loop Header: Depth=1
	scratch_load_b64 v[92:93], v90, off
	v_dual_mov_b32 v94, s5 :: v_dual_add_nc_u32 v91, -1, v91
	v_add_nc_u32_e32 v90, 8, v90
	s_add_i32 s5, s5, 8
	ds_load_b64 v[94:95], v94
	v_cmp_eq_u32_e32 vcc_lo, 0, v91
	s_or_b32 s1, vcc_lo, s1
	s_waitcnt vmcnt(0) lgkmcnt(0)
	v_fma_f64 v[71:72], v[92:93], v[94:95], v[71:72]
	s_and_not1_b32 exec_lo, exec_lo, s1
	s_cbranch_execnz .LBB98_55
; %bb.56:
	s_or_b32 exec_lo, exec_lo, s1
.LBB98_57:
	s_delay_alu instid0(SALU_CYCLE_1)
	s_or_b32 exec_lo, exec_lo, s4
	v_mov_b32_e32 v90, 0
	ds_load_b64 v[90:91], v90 offset:224
	s_waitcnt lgkmcnt(0)
	v_mul_f64 v[71:72], v[71:72], v[90:91]
	scratch_store_b64 off, v[71:72], off offset:224
.LBB98_58:
	s_or_b32 exec_lo, exec_lo, s2
	scratch_load_b64 v[71:72], off, off offset:216
	v_cmp_lt_u32_e64 s1, 27, v0
	s_waitcnt vmcnt(0)
	ds_store_b64 v74, v[71:72]
	s_waitcnt lgkmcnt(0)
	s_waitcnt_vscnt null, 0x0
	s_barrier
	buffer_gl0_inv
	s_and_saveexec_b32 s2, s1
	s_cbranch_execz .LBB98_68
; %bb.59:
	s_and_not1_b32 vcc_lo, exec_lo, s3
	s_cbranch_vccnz .LBB98_61
; %bb.60:
	scratch_load_b64 v[71:72], v75, off
	ds_load_b64 v[90:91], v74
	s_waitcnt vmcnt(0) lgkmcnt(0)
	v_mul_f64 v[71:72], v[71:72], v[90:91]
	s_cbranch_execz .LBB98_62
	s_branch .LBB98_63
.LBB98_61:
                                        ; implicit-def: $vgpr71_vgpr72
.LBB98_62:
	ds_load_b64 v[71:72], v74
.LBB98_63:
	s_and_saveexec_b32 s4, s0
	s_cbranch_execz .LBB98_67
; %bb.64:
	v_subrev_nc_u32_e32 v90, 28, v0
	s_movk_i32 s5, 0x200
	s_mov_b32 s0, 0
.LBB98_65:                              ; =>This Inner Loop Header: Depth=1
	scratch_load_b64 v[91:92], v89, off
	v_dual_mov_b32 v93, s5 :: v_dual_add_nc_u32 v90, -1, v90
	v_add_nc_u32_e32 v89, 8, v89
	s_add_i32 s5, s5, 8
	ds_load_b64 v[93:94], v93
	v_cmp_eq_u32_e32 vcc_lo, 0, v90
	s_or_b32 s0, vcc_lo, s0
	s_waitcnt vmcnt(0) lgkmcnt(0)
	v_fma_f64 v[71:72], v[91:92], v[93:94], v[71:72]
	s_and_not1_b32 exec_lo, exec_lo, s0
	s_cbranch_execnz .LBB98_65
; %bb.66:
	s_or_b32 exec_lo, exec_lo, s0
.LBB98_67:
	s_delay_alu instid0(SALU_CYCLE_1)
	s_or_b32 exec_lo, exec_lo, s4
	v_mov_b32_e32 v89, 0
	ds_load_b64 v[89:90], v89 offset:216
	s_waitcnt lgkmcnt(0)
	v_mul_f64 v[71:72], v[71:72], v[89:90]
	scratch_store_b64 off, v[71:72], off offset:216
.LBB98_68:
	s_or_b32 exec_lo, exec_lo, s2
	scratch_load_b64 v[71:72], off, off offset:208
	v_cmp_lt_u32_e64 s0, 26, v0
	s_waitcnt vmcnt(0)
	ds_store_b64 v74, v[71:72]
	s_waitcnt lgkmcnt(0)
	s_waitcnt_vscnt null, 0x0
	s_barrier
	buffer_gl0_inv
	s_and_saveexec_b32 s2, s0
	s_cbranch_execz .LBB98_78
; %bb.69:
	s_and_not1_b32 vcc_lo, exec_lo, s3
	s_cbranch_vccnz .LBB98_71
; %bb.70:
	scratch_load_b64 v[71:72], v75, off
	ds_load_b64 v[89:90], v74
	s_waitcnt vmcnt(0) lgkmcnt(0)
	v_mul_f64 v[71:72], v[71:72], v[89:90]
	s_cbranch_execz .LBB98_72
	s_branch .LBB98_73
.LBB98_71:
                                        ; implicit-def: $vgpr71_vgpr72
.LBB98_72:
	ds_load_b64 v[71:72], v74
.LBB98_73:
	s_and_saveexec_b32 s4, s1
	s_cbranch_execz .LBB98_77
; %bb.74:
	v_mov_b32_e32 v89, 0
	v_subrev_nc_u32_e32 v90, 27, v0
	s_movk_i32 s5, 0x1f8
	s_mov_b32 s1, 0
	s_delay_alu instid0(VALU_DEP_2)
	v_add_nc_u32_e32 v89, 0xd8, v89
.LBB98_75:                              ; =>This Inner Loop Header: Depth=1
	scratch_load_b64 v[91:92], v89, off
	v_dual_mov_b32 v93, s5 :: v_dual_add_nc_u32 v90, -1, v90
	v_add_nc_u32_e32 v89, 8, v89
	s_add_i32 s5, s5, 8
	ds_load_b64 v[93:94], v93
	v_cmp_eq_u32_e32 vcc_lo, 0, v90
	s_or_b32 s1, vcc_lo, s1
	s_waitcnt vmcnt(0) lgkmcnt(0)
	v_fma_f64 v[71:72], v[91:92], v[93:94], v[71:72]
	s_and_not1_b32 exec_lo, exec_lo, s1
	s_cbranch_execnz .LBB98_75
; %bb.76:
	s_or_b32 exec_lo, exec_lo, s1
.LBB98_77:
	s_delay_alu instid0(SALU_CYCLE_1)
	s_or_b32 exec_lo, exec_lo, s4
	v_mov_b32_e32 v89, 0
	ds_load_b64 v[89:90], v89 offset:208
	s_waitcnt lgkmcnt(0)
	v_mul_f64 v[71:72], v[71:72], v[89:90]
	scratch_store_b64 off, v[71:72], off offset:208
.LBB98_78:
	s_or_b32 exec_lo, exec_lo, s2
	scratch_load_b64 v[71:72], off, off offset:200
	v_cmp_lt_u32_e64 s1, 25, v0
	s_waitcnt vmcnt(0)
	ds_store_b64 v74, v[71:72]
	s_waitcnt lgkmcnt(0)
	s_waitcnt_vscnt null, 0x0
	s_barrier
	buffer_gl0_inv
	s_and_saveexec_b32 s2, s1
	s_cbranch_execz .LBB98_88
; %bb.79:
	s_and_not1_b32 vcc_lo, exec_lo, s3
	s_cbranch_vccnz .LBB98_81
; %bb.80:
	scratch_load_b64 v[71:72], v75, off
	ds_load_b64 v[89:90], v74
	s_waitcnt vmcnt(0) lgkmcnt(0)
	v_mul_f64 v[71:72], v[71:72], v[89:90]
	s_cbranch_execz .LBB98_82
	s_branch .LBB98_83
.LBB98_81:
                                        ; implicit-def: $vgpr71_vgpr72
.LBB98_82:
	ds_load_b64 v[71:72], v74
.LBB98_83:
	s_and_saveexec_b32 s4, s0
	s_cbranch_execz .LBB98_87
; %bb.84:
	v_subrev_nc_u32_e32 v89, 26, v0
	s_movk_i32 s5, 0x1f0
	s_mov_b32 s0, 0
.LBB98_85:                              ; =>This Inner Loop Header: Depth=1
	scratch_load_b64 v[90:91], v88, off
	v_dual_mov_b32 v92, s5 :: v_dual_add_nc_u32 v89, -1, v89
	v_add_nc_u32_e32 v88, 8, v88
	s_add_i32 s5, s5, 8
	ds_load_b64 v[92:93], v92
	v_cmp_eq_u32_e32 vcc_lo, 0, v89
	s_or_b32 s0, vcc_lo, s0
	s_waitcnt vmcnt(0) lgkmcnt(0)
	v_fma_f64 v[71:72], v[90:91], v[92:93], v[71:72]
	s_and_not1_b32 exec_lo, exec_lo, s0
	s_cbranch_execnz .LBB98_85
; %bb.86:
	s_or_b32 exec_lo, exec_lo, s0
.LBB98_87:
	s_delay_alu instid0(SALU_CYCLE_1)
	s_or_b32 exec_lo, exec_lo, s4
	v_mov_b32_e32 v88, 0
	ds_load_b64 v[88:89], v88 offset:200
	s_waitcnt lgkmcnt(0)
	v_mul_f64 v[71:72], v[71:72], v[88:89]
	scratch_store_b64 off, v[71:72], off offset:200
.LBB98_88:
	s_or_b32 exec_lo, exec_lo, s2
	scratch_load_b64 v[71:72], off, off offset:192
	v_cmp_lt_u32_e64 s0, 24, v0
	s_waitcnt vmcnt(0)
	ds_store_b64 v74, v[71:72]
	s_waitcnt lgkmcnt(0)
	s_waitcnt_vscnt null, 0x0
	s_barrier
	buffer_gl0_inv
	s_and_saveexec_b32 s2, s0
	s_cbranch_execz .LBB98_98
; %bb.89:
	s_and_not1_b32 vcc_lo, exec_lo, s3
	s_cbranch_vccnz .LBB98_91
; %bb.90:
	scratch_load_b64 v[71:72], v75, off
	ds_load_b64 v[88:89], v74
	s_waitcnt vmcnt(0) lgkmcnt(0)
	v_mul_f64 v[71:72], v[71:72], v[88:89]
	s_cbranch_execz .LBB98_92
	s_branch .LBB98_93
.LBB98_91:
                                        ; implicit-def: $vgpr71_vgpr72
.LBB98_92:
	ds_load_b64 v[71:72], v74
.LBB98_93:
	s_and_saveexec_b32 s4, s1
	s_cbranch_execz .LBB98_97
; %bb.94:
	v_mov_b32_e32 v88, 0
	v_subrev_nc_u32_e32 v89, 25, v0
	s_movk_i32 s5, 0x1e8
	s_mov_b32 s1, 0
	s_delay_alu instid0(VALU_DEP_2)
	v_add_nc_u32_e32 v88, 0xc8, v88
.LBB98_95:                              ; =>This Inner Loop Header: Depth=1
	scratch_load_b64 v[90:91], v88, off
	v_dual_mov_b32 v92, s5 :: v_dual_add_nc_u32 v89, -1, v89
	v_add_nc_u32_e32 v88, 8, v88
	s_add_i32 s5, s5, 8
	ds_load_b64 v[92:93], v92
	v_cmp_eq_u32_e32 vcc_lo, 0, v89
	s_or_b32 s1, vcc_lo, s1
	s_waitcnt vmcnt(0) lgkmcnt(0)
	v_fma_f64 v[71:72], v[90:91], v[92:93], v[71:72]
	s_and_not1_b32 exec_lo, exec_lo, s1
	s_cbranch_execnz .LBB98_95
; %bb.96:
	s_or_b32 exec_lo, exec_lo, s1
.LBB98_97:
	s_delay_alu instid0(SALU_CYCLE_1)
	s_or_b32 exec_lo, exec_lo, s4
	v_mov_b32_e32 v88, 0
	ds_load_b64 v[88:89], v88 offset:192
	s_waitcnt lgkmcnt(0)
	v_mul_f64 v[71:72], v[71:72], v[88:89]
	scratch_store_b64 off, v[71:72], off offset:192
.LBB98_98:
	s_or_b32 exec_lo, exec_lo, s2
	scratch_load_b64 v[71:72], off, off offset:184
	v_cmp_lt_u32_e64 s1, 23, v0
	s_waitcnt vmcnt(0)
	ds_store_b64 v74, v[71:72]
	s_waitcnt lgkmcnt(0)
	s_waitcnt_vscnt null, 0x0
	s_barrier
	buffer_gl0_inv
	s_and_saveexec_b32 s2, s1
	s_cbranch_execz .LBB98_108
; %bb.99:
	s_and_not1_b32 vcc_lo, exec_lo, s3
	s_cbranch_vccnz .LBB98_101
; %bb.100:
	scratch_load_b64 v[71:72], v75, off
	ds_load_b64 v[88:89], v74
	s_waitcnt vmcnt(0) lgkmcnt(0)
	v_mul_f64 v[71:72], v[71:72], v[88:89]
	s_cbranch_execz .LBB98_102
	s_branch .LBB98_103
.LBB98_101:
                                        ; implicit-def: $vgpr71_vgpr72
.LBB98_102:
	ds_load_b64 v[71:72], v74
.LBB98_103:
	s_and_saveexec_b32 s4, s0
	s_cbranch_execz .LBB98_107
; %bb.104:
	v_subrev_nc_u32_e32 v88, 24, v0
	s_movk_i32 s5, 0x1e0
	s_mov_b32 s0, 0
.LBB98_105:                             ; =>This Inner Loop Header: Depth=1
	scratch_load_b64 v[89:90], v87, off
	v_dual_mov_b32 v91, s5 :: v_dual_add_nc_u32 v88, -1, v88
	v_add_nc_u32_e32 v87, 8, v87
	s_add_i32 s5, s5, 8
	ds_load_b64 v[91:92], v91
	v_cmp_eq_u32_e32 vcc_lo, 0, v88
	s_or_b32 s0, vcc_lo, s0
	s_waitcnt vmcnt(0) lgkmcnt(0)
	v_fma_f64 v[71:72], v[89:90], v[91:92], v[71:72]
	s_and_not1_b32 exec_lo, exec_lo, s0
	s_cbranch_execnz .LBB98_105
; %bb.106:
	s_or_b32 exec_lo, exec_lo, s0
.LBB98_107:
	s_delay_alu instid0(SALU_CYCLE_1)
	s_or_b32 exec_lo, exec_lo, s4
	v_mov_b32_e32 v87, 0
	ds_load_b64 v[87:88], v87 offset:184
	s_waitcnt lgkmcnt(0)
	v_mul_f64 v[71:72], v[71:72], v[87:88]
	scratch_store_b64 off, v[71:72], off offset:184
.LBB98_108:
	s_or_b32 exec_lo, exec_lo, s2
	scratch_load_b64 v[71:72], off, off offset:176
	v_cmp_lt_u32_e64 s0, 22, v0
	s_waitcnt vmcnt(0)
	ds_store_b64 v74, v[71:72]
	s_waitcnt lgkmcnt(0)
	s_waitcnt_vscnt null, 0x0
	s_barrier
	buffer_gl0_inv
	s_and_saveexec_b32 s2, s0
	s_cbranch_execz .LBB98_118
; %bb.109:
	s_and_not1_b32 vcc_lo, exec_lo, s3
	s_cbranch_vccnz .LBB98_111
; %bb.110:
	scratch_load_b64 v[71:72], v75, off
	ds_load_b64 v[87:88], v74
	s_waitcnt vmcnt(0) lgkmcnt(0)
	v_mul_f64 v[71:72], v[71:72], v[87:88]
	s_cbranch_execz .LBB98_112
	s_branch .LBB98_113
.LBB98_111:
                                        ; implicit-def: $vgpr71_vgpr72
.LBB98_112:
	ds_load_b64 v[71:72], v74
.LBB98_113:
	s_and_saveexec_b32 s4, s1
	s_cbranch_execz .LBB98_117
; %bb.114:
	v_mov_b32_e32 v87, 0
	v_subrev_nc_u32_e32 v88, 23, v0
	s_movk_i32 s5, 0x1d8
	s_mov_b32 s1, 0
	s_delay_alu instid0(VALU_DEP_2)
	v_add_nc_u32_e32 v87, 0xb8, v87
.LBB98_115:                             ; =>This Inner Loop Header: Depth=1
	scratch_load_b64 v[89:90], v87, off
	v_dual_mov_b32 v91, s5 :: v_dual_add_nc_u32 v88, -1, v88
	v_add_nc_u32_e32 v87, 8, v87
	s_add_i32 s5, s5, 8
	ds_load_b64 v[91:92], v91
	v_cmp_eq_u32_e32 vcc_lo, 0, v88
	s_or_b32 s1, vcc_lo, s1
	s_waitcnt vmcnt(0) lgkmcnt(0)
	v_fma_f64 v[71:72], v[89:90], v[91:92], v[71:72]
	s_and_not1_b32 exec_lo, exec_lo, s1
	s_cbranch_execnz .LBB98_115
; %bb.116:
	s_or_b32 exec_lo, exec_lo, s1
.LBB98_117:
	s_delay_alu instid0(SALU_CYCLE_1)
	s_or_b32 exec_lo, exec_lo, s4
	v_mov_b32_e32 v87, 0
	ds_load_b64 v[87:88], v87 offset:176
	s_waitcnt lgkmcnt(0)
	v_mul_f64 v[71:72], v[71:72], v[87:88]
	scratch_store_b64 off, v[71:72], off offset:176
.LBB98_118:
	s_or_b32 exec_lo, exec_lo, s2
	scratch_load_b64 v[71:72], off, off offset:168
	v_cmp_lt_u32_e64 s1, 21, v0
	s_waitcnt vmcnt(0)
	ds_store_b64 v74, v[71:72]
	s_waitcnt lgkmcnt(0)
	s_waitcnt_vscnt null, 0x0
	s_barrier
	buffer_gl0_inv
	s_and_saveexec_b32 s2, s1
	s_cbranch_execz .LBB98_128
; %bb.119:
	s_and_not1_b32 vcc_lo, exec_lo, s3
	s_cbranch_vccnz .LBB98_121
; %bb.120:
	scratch_load_b64 v[71:72], v75, off
	ds_load_b64 v[87:88], v74
	s_waitcnt vmcnt(0) lgkmcnt(0)
	v_mul_f64 v[71:72], v[71:72], v[87:88]
	s_cbranch_execz .LBB98_122
	s_branch .LBB98_123
.LBB98_121:
                                        ; implicit-def: $vgpr71_vgpr72
.LBB98_122:
	ds_load_b64 v[71:72], v74
.LBB98_123:
	s_and_saveexec_b32 s4, s0
	s_cbranch_execz .LBB98_127
; %bb.124:
	v_subrev_nc_u32_e32 v87, 22, v0
	s_movk_i32 s5, 0x1d0
	s_mov_b32 s0, 0
.LBB98_125:                             ; =>This Inner Loop Header: Depth=1
	scratch_load_b64 v[88:89], v86, off
	v_dual_mov_b32 v90, s5 :: v_dual_add_nc_u32 v87, -1, v87
	v_add_nc_u32_e32 v86, 8, v86
	s_add_i32 s5, s5, 8
	ds_load_b64 v[90:91], v90
	v_cmp_eq_u32_e32 vcc_lo, 0, v87
	s_or_b32 s0, vcc_lo, s0
	s_waitcnt vmcnt(0) lgkmcnt(0)
	v_fma_f64 v[71:72], v[88:89], v[90:91], v[71:72]
	s_and_not1_b32 exec_lo, exec_lo, s0
	s_cbranch_execnz .LBB98_125
; %bb.126:
	s_or_b32 exec_lo, exec_lo, s0
.LBB98_127:
	s_delay_alu instid0(SALU_CYCLE_1)
	s_or_b32 exec_lo, exec_lo, s4
	v_mov_b32_e32 v86, 0
	ds_load_b64 v[86:87], v86 offset:168
	s_waitcnt lgkmcnt(0)
	v_mul_f64 v[71:72], v[71:72], v[86:87]
	scratch_store_b64 off, v[71:72], off offset:168
.LBB98_128:
	s_or_b32 exec_lo, exec_lo, s2
	scratch_load_b64 v[71:72], off, off offset:160
	v_cmp_lt_u32_e64 s0, 20, v0
	s_waitcnt vmcnt(0)
	ds_store_b64 v74, v[71:72]
	s_waitcnt lgkmcnt(0)
	s_waitcnt_vscnt null, 0x0
	s_barrier
	buffer_gl0_inv
	s_and_saveexec_b32 s2, s0
	s_cbranch_execz .LBB98_138
; %bb.129:
	s_and_not1_b32 vcc_lo, exec_lo, s3
	s_cbranch_vccnz .LBB98_131
; %bb.130:
	scratch_load_b64 v[71:72], v75, off
	ds_load_b64 v[86:87], v74
	s_waitcnt vmcnt(0) lgkmcnt(0)
	v_mul_f64 v[71:72], v[71:72], v[86:87]
	s_cbranch_execz .LBB98_132
	s_branch .LBB98_133
.LBB98_131:
                                        ; implicit-def: $vgpr71_vgpr72
.LBB98_132:
	ds_load_b64 v[71:72], v74
.LBB98_133:
	s_and_saveexec_b32 s4, s1
	s_cbranch_execz .LBB98_137
; %bb.134:
	v_mov_b32_e32 v86, 0
	v_subrev_nc_u32_e32 v87, 21, v0
	s_movk_i32 s5, 0x1c8
	s_mov_b32 s1, 0
	s_delay_alu instid0(VALU_DEP_2)
	v_add_nc_u32_e32 v86, 0xa8, v86
.LBB98_135:                             ; =>This Inner Loop Header: Depth=1
	scratch_load_b64 v[88:89], v86, off
	v_dual_mov_b32 v90, s5 :: v_dual_add_nc_u32 v87, -1, v87
	v_add_nc_u32_e32 v86, 8, v86
	s_add_i32 s5, s5, 8
	ds_load_b64 v[90:91], v90
	v_cmp_eq_u32_e32 vcc_lo, 0, v87
	s_or_b32 s1, vcc_lo, s1
	s_waitcnt vmcnt(0) lgkmcnt(0)
	v_fma_f64 v[71:72], v[88:89], v[90:91], v[71:72]
	s_and_not1_b32 exec_lo, exec_lo, s1
	s_cbranch_execnz .LBB98_135
; %bb.136:
	s_or_b32 exec_lo, exec_lo, s1
.LBB98_137:
	s_delay_alu instid0(SALU_CYCLE_1)
	s_or_b32 exec_lo, exec_lo, s4
	v_mov_b32_e32 v86, 0
	ds_load_b64 v[86:87], v86 offset:160
	s_waitcnt lgkmcnt(0)
	v_mul_f64 v[71:72], v[71:72], v[86:87]
	scratch_store_b64 off, v[71:72], off offset:160
.LBB98_138:
	s_or_b32 exec_lo, exec_lo, s2
	scratch_load_b64 v[71:72], off, off offset:152
	v_cmp_lt_u32_e64 s1, 19, v0
	s_waitcnt vmcnt(0)
	ds_store_b64 v74, v[71:72]
	s_waitcnt lgkmcnt(0)
	s_waitcnt_vscnt null, 0x0
	s_barrier
	buffer_gl0_inv
	s_and_saveexec_b32 s2, s1
	s_cbranch_execz .LBB98_148
; %bb.139:
	s_and_not1_b32 vcc_lo, exec_lo, s3
	s_cbranch_vccnz .LBB98_141
; %bb.140:
	scratch_load_b64 v[71:72], v75, off
	ds_load_b64 v[86:87], v74
	s_waitcnt vmcnt(0) lgkmcnt(0)
	v_mul_f64 v[71:72], v[71:72], v[86:87]
	s_cbranch_execz .LBB98_142
	s_branch .LBB98_143
.LBB98_141:
                                        ; implicit-def: $vgpr71_vgpr72
.LBB98_142:
	ds_load_b64 v[71:72], v74
.LBB98_143:
	s_and_saveexec_b32 s4, s0
	s_cbranch_execz .LBB98_147
; %bb.144:
	v_subrev_nc_u32_e32 v86, 20, v0
	s_movk_i32 s5, 0x1c0
	s_mov_b32 s0, 0
.LBB98_145:                             ; =>This Inner Loop Header: Depth=1
	scratch_load_b64 v[87:88], v85, off
	v_dual_mov_b32 v89, s5 :: v_dual_add_nc_u32 v86, -1, v86
	v_add_nc_u32_e32 v85, 8, v85
	s_add_i32 s5, s5, 8
	ds_load_b64 v[89:90], v89
	v_cmp_eq_u32_e32 vcc_lo, 0, v86
	s_or_b32 s0, vcc_lo, s0
	s_waitcnt vmcnt(0) lgkmcnt(0)
	v_fma_f64 v[71:72], v[87:88], v[89:90], v[71:72]
	s_and_not1_b32 exec_lo, exec_lo, s0
	s_cbranch_execnz .LBB98_145
; %bb.146:
	s_or_b32 exec_lo, exec_lo, s0
.LBB98_147:
	s_delay_alu instid0(SALU_CYCLE_1)
	s_or_b32 exec_lo, exec_lo, s4
	v_mov_b32_e32 v85, 0
	ds_load_b64 v[85:86], v85 offset:152
	s_waitcnt lgkmcnt(0)
	v_mul_f64 v[71:72], v[71:72], v[85:86]
	scratch_store_b64 off, v[71:72], off offset:152
.LBB98_148:
	s_or_b32 exec_lo, exec_lo, s2
	scratch_load_b64 v[71:72], off, off offset:144
	v_cmp_lt_u32_e64 s0, 18, v0
	s_waitcnt vmcnt(0)
	ds_store_b64 v74, v[71:72]
	s_waitcnt lgkmcnt(0)
	s_waitcnt_vscnt null, 0x0
	s_barrier
	buffer_gl0_inv
	s_and_saveexec_b32 s2, s0
	s_cbranch_execz .LBB98_158
; %bb.149:
	s_and_not1_b32 vcc_lo, exec_lo, s3
	s_cbranch_vccnz .LBB98_151
; %bb.150:
	scratch_load_b64 v[71:72], v75, off
	ds_load_b64 v[85:86], v74
	s_waitcnt vmcnt(0) lgkmcnt(0)
	v_mul_f64 v[71:72], v[71:72], v[85:86]
	s_cbranch_execz .LBB98_152
	s_branch .LBB98_153
.LBB98_151:
                                        ; implicit-def: $vgpr71_vgpr72
.LBB98_152:
	ds_load_b64 v[71:72], v74
.LBB98_153:
	s_and_saveexec_b32 s4, s1
	s_cbranch_execz .LBB98_157
; %bb.154:
	v_mov_b32_e32 v85, 0
	v_subrev_nc_u32_e32 v86, 19, v0
	s_movk_i32 s5, 0x1b8
	s_mov_b32 s1, 0
	s_delay_alu instid0(VALU_DEP_2)
	v_add_nc_u32_e32 v85, 0x98, v85
.LBB98_155:                             ; =>This Inner Loop Header: Depth=1
	scratch_load_b64 v[87:88], v85, off
	v_dual_mov_b32 v89, s5 :: v_dual_add_nc_u32 v86, -1, v86
	v_add_nc_u32_e32 v85, 8, v85
	s_add_i32 s5, s5, 8
	ds_load_b64 v[89:90], v89
	v_cmp_eq_u32_e32 vcc_lo, 0, v86
	s_or_b32 s1, vcc_lo, s1
	s_waitcnt vmcnt(0) lgkmcnt(0)
	v_fma_f64 v[71:72], v[87:88], v[89:90], v[71:72]
	s_and_not1_b32 exec_lo, exec_lo, s1
	s_cbranch_execnz .LBB98_155
; %bb.156:
	s_or_b32 exec_lo, exec_lo, s1
.LBB98_157:
	s_delay_alu instid0(SALU_CYCLE_1)
	s_or_b32 exec_lo, exec_lo, s4
	v_mov_b32_e32 v85, 0
	ds_load_b64 v[85:86], v85 offset:144
	s_waitcnt lgkmcnt(0)
	v_mul_f64 v[71:72], v[71:72], v[85:86]
	scratch_store_b64 off, v[71:72], off offset:144
.LBB98_158:
	s_or_b32 exec_lo, exec_lo, s2
	scratch_load_b64 v[71:72], off, off offset:136
	v_cmp_lt_u32_e64 s1, 17, v0
	s_waitcnt vmcnt(0)
	ds_store_b64 v74, v[71:72]
	s_waitcnt lgkmcnt(0)
	s_waitcnt_vscnt null, 0x0
	s_barrier
	buffer_gl0_inv
	s_and_saveexec_b32 s2, s1
	s_cbranch_execz .LBB98_168
; %bb.159:
	s_and_not1_b32 vcc_lo, exec_lo, s3
	s_cbranch_vccnz .LBB98_161
; %bb.160:
	scratch_load_b64 v[71:72], v75, off
	ds_load_b64 v[85:86], v74
	s_waitcnt vmcnt(0) lgkmcnt(0)
	v_mul_f64 v[71:72], v[71:72], v[85:86]
	s_cbranch_execz .LBB98_162
	s_branch .LBB98_163
.LBB98_161:
                                        ; implicit-def: $vgpr71_vgpr72
.LBB98_162:
	ds_load_b64 v[71:72], v74
.LBB98_163:
	s_and_saveexec_b32 s4, s0
	s_cbranch_execz .LBB98_167
; %bb.164:
	v_subrev_nc_u32_e32 v85, 18, v0
	s_movk_i32 s5, 0x1b0
	s_mov_b32 s0, 0
.LBB98_165:                             ; =>This Inner Loop Header: Depth=1
	scratch_load_b64 v[86:87], v84, off
	v_dual_mov_b32 v88, s5 :: v_dual_add_nc_u32 v85, -1, v85
	v_add_nc_u32_e32 v84, 8, v84
	s_add_i32 s5, s5, 8
	ds_load_b64 v[88:89], v88
	v_cmp_eq_u32_e32 vcc_lo, 0, v85
	s_or_b32 s0, vcc_lo, s0
	s_waitcnt vmcnt(0) lgkmcnt(0)
	v_fma_f64 v[71:72], v[86:87], v[88:89], v[71:72]
	s_and_not1_b32 exec_lo, exec_lo, s0
	s_cbranch_execnz .LBB98_165
; %bb.166:
	s_or_b32 exec_lo, exec_lo, s0
.LBB98_167:
	s_delay_alu instid0(SALU_CYCLE_1)
	s_or_b32 exec_lo, exec_lo, s4
	v_mov_b32_e32 v84, 0
	ds_load_b64 v[84:85], v84 offset:136
	s_waitcnt lgkmcnt(0)
	v_mul_f64 v[71:72], v[71:72], v[84:85]
	scratch_store_b64 off, v[71:72], off offset:136
.LBB98_168:
	s_or_b32 exec_lo, exec_lo, s2
	scratch_load_b64 v[71:72], off, off offset:128
	v_cmp_lt_u32_e64 s0, 16, v0
	s_waitcnt vmcnt(0)
	ds_store_b64 v74, v[71:72]
	s_waitcnt lgkmcnt(0)
	s_waitcnt_vscnt null, 0x0
	s_barrier
	buffer_gl0_inv
	s_and_saveexec_b32 s2, s0
	s_cbranch_execz .LBB98_178
; %bb.169:
	s_and_not1_b32 vcc_lo, exec_lo, s3
	s_cbranch_vccnz .LBB98_171
; %bb.170:
	scratch_load_b64 v[71:72], v75, off
	ds_load_b64 v[84:85], v74
	s_waitcnt vmcnt(0) lgkmcnt(0)
	v_mul_f64 v[71:72], v[71:72], v[84:85]
	s_cbranch_execz .LBB98_172
	s_branch .LBB98_173
.LBB98_171:
                                        ; implicit-def: $vgpr71_vgpr72
.LBB98_172:
	ds_load_b64 v[71:72], v74
.LBB98_173:
	s_and_saveexec_b32 s4, s1
	s_cbranch_execz .LBB98_177
; %bb.174:
	v_mov_b32_e32 v84, 0
	v_subrev_nc_u32_e32 v85, 17, v0
	s_movk_i32 s5, 0x1a8
	s_mov_b32 s1, 0
	s_delay_alu instid0(VALU_DEP_2)
	v_add_nc_u32_e32 v84, 0x88, v84
.LBB98_175:                             ; =>This Inner Loop Header: Depth=1
	scratch_load_b64 v[86:87], v84, off
	v_dual_mov_b32 v88, s5 :: v_dual_add_nc_u32 v85, -1, v85
	v_add_nc_u32_e32 v84, 8, v84
	s_add_i32 s5, s5, 8
	ds_load_b64 v[88:89], v88
	v_cmp_eq_u32_e32 vcc_lo, 0, v85
	s_or_b32 s1, vcc_lo, s1
	s_waitcnt vmcnt(0) lgkmcnt(0)
	v_fma_f64 v[71:72], v[86:87], v[88:89], v[71:72]
	s_and_not1_b32 exec_lo, exec_lo, s1
	s_cbranch_execnz .LBB98_175
; %bb.176:
	s_or_b32 exec_lo, exec_lo, s1
.LBB98_177:
	s_delay_alu instid0(SALU_CYCLE_1)
	s_or_b32 exec_lo, exec_lo, s4
	v_mov_b32_e32 v84, 0
	ds_load_b64 v[84:85], v84 offset:128
	s_waitcnt lgkmcnt(0)
	v_mul_f64 v[71:72], v[71:72], v[84:85]
	scratch_store_b64 off, v[71:72], off offset:128
.LBB98_178:
	s_or_b32 exec_lo, exec_lo, s2
	scratch_load_b64 v[71:72], off, off offset:120
	v_cmp_lt_u32_e64 s1, 15, v0
	s_waitcnt vmcnt(0)
	ds_store_b64 v74, v[71:72]
	s_waitcnt lgkmcnt(0)
	s_waitcnt_vscnt null, 0x0
	s_barrier
	buffer_gl0_inv
	s_and_saveexec_b32 s2, s1
	s_cbranch_execz .LBB98_188
; %bb.179:
	s_and_not1_b32 vcc_lo, exec_lo, s3
	s_cbranch_vccnz .LBB98_181
; %bb.180:
	scratch_load_b64 v[71:72], v75, off
	ds_load_b64 v[84:85], v74
	s_waitcnt vmcnt(0) lgkmcnt(0)
	v_mul_f64 v[71:72], v[71:72], v[84:85]
	s_cbranch_execz .LBB98_182
	s_branch .LBB98_183
.LBB98_181:
                                        ; implicit-def: $vgpr71_vgpr72
.LBB98_182:
	ds_load_b64 v[71:72], v74
.LBB98_183:
	s_and_saveexec_b32 s4, s0
	s_cbranch_execz .LBB98_187
; %bb.184:
	v_add_nc_u32_e32 v84, -16, v0
	s_movk_i32 s5, 0x1a0
	s_mov_b32 s0, 0
.LBB98_185:                             ; =>This Inner Loop Header: Depth=1
	scratch_load_b64 v[85:86], v83, off
	v_dual_mov_b32 v87, s5 :: v_dual_add_nc_u32 v84, -1, v84
	v_add_nc_u32_e32 v83, 8, v83
	s_add_i32 s5, s5, 8
	ds_load_b64 v[87:88], v87
	v_cmp_eq_u32_e32 vcc_lo, 0, v84
	s_or_b32 s0, vcc_lo, s0
	s_waitcnt vmcnt(0) lgkmcnt(0)
	v_fma_f64 v[71:72], v[85:86], v[87:88], v[71:72]
	s_and_not1_b32 exec_lo, exec_lo, s0
	s_cbranch_execnz .LBB98_185
; %bb.186:
	s_or_b32 exec_lo, exec_lo, s0
.LBB98_187:
	s_delay_alu instid0(SALU_CYCLE_1)
	s_or_b32 exec_lo, exec_lo, s4
	v_mov_b32_e32 v83, 0
	ds_load_b64 v[83:84], v83 offset:120
	s_waitcnt lgkmcnt(0)
	v_mul_f64 v[71:72], v[71:72], v[83:84]
	scratch_store_b64 off, v[71:72], off offset:120
.LBB98_188:
	s_or_b32 exec_lo, exec_lo, s2
	scratch_load_b64 v[71:72], off, off offset:112
	v_cmp_lt_u32_e64 s0, 14, v0
	s_waitcnt vmcnt(0)
	ds_store_b64 v74, v[71:72]
	s_waitcnt lgkmcnt(0)
	s_waitcnt_vscnt null, 0x0
	s_barrier
	buffer_gl0_inv
	s_and_saveexec_b32 s2, s0
	s_cbranch_execz .LBB98_198
; %bb.189:
	s_and_not1_b32 vcc_lo, exec_lo, s3
	s_cbranch_vccnz .LBB98_191
; %bb.190:
	scratch_load_b64 v[71:72], v75, off
	ds_load_b64 v[83:84], v74
	s_waitcnt vmcnt(0) lgkmcnt(0)
	v_mul_f64 v[71:72], v[71:72], v[83:84]
	s_cbranch_execz .LBB98_192
	s_branch .LBB98_193
.LBB98_191:
                                        ; implicit-def: $vgpr71_vgpr72
.LBB98_192:
	ds_load_b64 v[71:72], v74
.LBB98_193:
	s_and_saveexec_b32 s4, s1
	s_cbranch_execz .LBB98_197
; %bb.194:
	v_dual_mov_b32 v83, 0 :: v_dual_add_nc_u32 v84, -15, v0
	s_movk_i32 s5, 0x198
	s_mov_b32 s1, 0
	s_delay_alu instid0(VALU_DEP_1)
	v_add_nc_u32_e32 v83, 0x78, v83
.LBB98_195:                             ; =>This Inner Loop Header: Depth=1
	scratch_load_b64 v[85:86], v83, off
	v_dual_mov_b32 v87, s5 :: v_dual_add_nc_u32 v84, -1, v84
	v_add_nc_u32_e32 v83, 8, v83
	s_add_i32 s5, s5, 8
	ds_load_b64 v[87:88], v87
	v_cmp_eq_u32_e32 vcc_lo, 0, v84
	s_or_b32 s1, vcc_lo, s1
	s_waitcnt vmcnt(0) lgkmcnt(0)
	v_fma_f64 v[71:72], v[85:86], v[87:88], v[71:72]
	s_and_not1_b32 exec_lo, exec_lo, s1
	s_cbranch_execnz .LBB98_195
; %bb.196:
	s_or_b32 exec_lo, exec_lo, s1
.LBB98_197:
	s_delay_alu instid0(SALU_CYCLE_1)
	s_or_b32 exec_lo, exec_lo, s4
	v_mov_b32_e32 v83, 0
	ds_load_b64 v[83:84], v83 offset:112
	s_waitcnt lgkmcnt(0)
	v_mul_f64 v[71:72], v[71:72], v[83:84]
	scratch_store_b64 off, v[71:72], off offset:112
.LBB98_198:
	s_or_b32 exec_lo, exec_lo, s2
	scratch_load_b64 v[71:72], off, off offset:104
	v_cmp_lt_u32_e64 s1, 13, v0
	s_waitcnt vmcnt(0)
	ds_store_b64 v74, v[71:72]
	s_waitcnt lgkmcnt(0)
	s_waitcnt_vscnt null, 0x0
	s_barrier
	buffer_gl0_inv
	s_and_saveexec_b32 s2, s1
	s_cbranch_execz .LBB98_208
; %bb.199:
	s_and_not1_b32 vcc_lo, exec_lo, s3
	s_cbranch_vccnz .LBB98_201
; %bb.200:
	scratch_load_b64 v[71:72], v75, off
	ds_load_b64 v[83:84], v74
	s_waitcnt vmcnt(0) lgkmcnt(0)
	v_mul_f64 v[71:72], v[71:72], v[83:84]
	s_cbranch_execz .LBB98_202
	s_branch .LBB98_203
.LBB98_201:
                                        ; implicit-def: $vgpr71_vgpr72
.LBB98_202:
	ds_load_b64 v[71:72], v74
.LBB98_203:
	s_and_saveexec_b32 s4, s0
	s_cbranch_execz .LBB98_207
; %bb.204:
	v_add_nc_u32_e32 v83, -14, v0
	s_movk_i32 s5, 0x190
	s_mov_b32 s0, 0
.LBB98_205:                             ; =>This Inner Loop Header: Depth=1
	scratch_load_b64 v[84:85], v82, off
	v_dual_mov_b32 v86, s5 :: v_dual_add_nc_u32 v83, -1, v83
	v_add_nc_u32_e32 v82, 8, v82
	s_add_i32 s5, s5, 8
	ds_load_b64 v[86:87], v86
	v_cmp_eq_u32_e32 vcc_lo, 0, v83
	s_or_b32 s0, vcc_lo, s0
	s_waitcnt vmcnt(0) lgkmcnt(0)
	v_fma_f64 v[71:72], v[84:85], v[86:87], v[71:72]
	s_and_not1_b32 exec_lo, exec_lo, s0
	s_cbranch_execnz .LBB98_205
; %bb.206:
	s_or_b32 exec_lo, exec_lo, s0
.LBB98_207:
	s_delay_alu instid0(SALU_CYCLE_1)
	s_or_b32 exec_lo, exec_lo, s4
	v_mov_b32_e32 v82, 0
	ds_load_b64 v[82:83], v82 offset:104
	s_waitcnt lgkmcnt(0)
	v_mul_f64 v[71:72], v[71:72], v[82:83]
	scratch_store_b64 off, v[71:72], off offset:104
.LBB98_208:
	s_or_b32 exec_lo, exec_lo, s2
	scratch_load_b64 v[71:72], off, off offset:96
	v_cmp_lt_u32_e64 s0, 12, v0
	s_waitcnt vmcnt(0)
	ds_store_b64 v74, v[71:72]
	s_waitcnt lgkmcnt(0)
	s_waitcnt_vscnt null, 0x0
	s_barrier
	buffer_gl0_inv
	s_and_saveexec_b32 s2, s0
	s_cbranch_execz .LBB98_218
; %bb.209:
	s_and_not1_b32 vcc_lo, exec_lo, s3
	s_cbranch_vccnz .LBB98_211
; %bb.210:
	scratch_load_b64 v[71:72], v75, off
	ds_load_b64 v[82:83], v74
	s_waitcnt vmcnt(0) lgkmcnt(0)
	v_mul_f64 v[71:72], v[71:72], v[82:83]
	s_cbranch_execz .LBB98_212
	s_branch .LBB98_213
.LBB98_211:
                                        ; implicit-def: $vgpr71_vgpr72
.LBB98_212:
	ds_load_b64 v[71:72], v74
.LBB98_213:
	s_and_saveexec_b32 s4, s1
	s_cbranch_execz .LBB98_217
; %bb.214:
	v_dual_mov_b32 v82, 0 :: v_dual_add_nc_u32 v83, -13, v0
	s_movk_i32 s5, 0x188
	s_mov_b32 s1, 0
	s_delay_alu instid0(VALU_DEP_1)
	v_add_nc_u32_e32 v82, 0x68, v82
.LBB98_215:                             ; =>This Inner Loop Header: Depth=1
	scratch_load_b64 v[84:85], v82, off
	v_dual_mov_b32 v86, s5 :: v_dual_add_nc_u32 v83, -1, v83
	v_add_nc_u32_e32 v82, 8, v82
	s_add_i32 s5, s5, 8
	ds_load_b64 v[86:87], v86
	v_cmp_eq_u32_e32 vcc_lo, 0, v83
	s_or_b32 s1, vcc_lo, s1
	s_waitcnt vmcnt(0) lgkmcnt(0)
	v_fma_f64 v[71:72], v[84:85], v[86:87], v[71:72]
	s_and_not1_b32 exec_lo, exec_lo, s1
	s_cbranch_execnz .LBB98_215
; %bb.216:
	s_or_b32 exec_lo, exec_lo, s1
.LBB98_217:
	s_delay_alu instid0(SALU_CYCLE_1)
	s_or_b32 exec_lo, exec_lo, s4
	v_mov_b32_e32 v82, 0
	ds_load_b64 v[82:83], v82 offset:96
	s_waitcnt lgkmcnt(0)
	v_mul_f64 v[71:72], v[71:72], v[82:83]
	scratch_store_b64 off, v[71:72], off offset:96
.LBB98_218:
	s_or_b32 exec_lo, exec_lo, s2
	scratch_load_b64 v[71:72], off, off offset:88
	v_cmp_lt_u32_e64 s1, 11, v0
	s_waitcnt vmcnt(0)
	ds_store_b64 v74, v[71:72]
	s_waitcnt lgkmcnt(0)
	s_waitcnt_vscnt null, 0x0
	s_barrier
	buffer_gl0_inv
	s_and_saveexec_b32 s2, s1
	s_cbranch_execz .LBB98_228
; %bb.219:
	s_and_not1_b32 vcc_lo, exec_lo, s3
	s_cbranch_vccnz .LBB98_221
; %bb.220:
	scratch_load_b64 v[71:72], v75, off
	ds_load_b64 v[82:83], v74
	s_waitcnt vmcnt(0) lgkmcnt(0)
	v_mul_f64 v[71:72], v[71:72], v[82:83]
	s_cbranch_execz .LBB98_222
	s_branch .LBB98_223
.LBB98_221:
                                        ; implicit-def: $vgpr71_vgpr72
.LBB98_222:
	ds_load_b64 v[71:72], v74
.LBB98_223:
	s_and_saveexec_b32 s4, s0
	s_cbranch_execz .LBB98_227
; %bb.224:
	v_add_nc_u32_e32 v82, -12, v0
	s_movk_i32 s5, 0x180
	s_mov_b32 s0, 0
.LBB98_225:                             ; =>This Inner Loop Header: Depth=1
	scratch_load_b64 v[83:84], v81, off
	v_dual_mov_b32 v85, s5 :: v_dual_add_nc_u32 v82, -1, v82
	v_add_nc_u32_e32 v81, 8, v81
	s_add_i32 s5, s5, 8
	ds_load_b64 v[85:86], v85
	v_cmp_eq_u32_e32 vcc_lo, 0, v82
	s_or_b32 s0, vcc_lo, s0
	s_waitcnt vmcnt(0) lgkmcnt(0)
	v_fma_f64 v[71:72], v[83:84], v[85:86], v[71:72]
	s_and_not1_b32 exec_lo, exec_lo, s0
	s_cbranch_execnz .LBB98_225
; %bb.226:
	s_or_b32 exec_lo, exec_lo, s0
.LBB98_227:
	s_delay_alu instid0(SALU_CYCLE_1)
	s_or_b32 exec_lo, exec_lo, s4
	v_mov_b32_e32 v81, 0
	ds_load_b64 v[81:82], v81 offset:88
	s_waitcnt lgkmcnt(0)
	v_mul_f64 v[71:72], v[71:72], v[81:82]
	scratch_store_b64 off, v[71:72], off offset:88
.LBB98_228:
	s_or_b32 exec_lo, exec_lo, s2
	scratch_load_b64 v[71:72], off, off offset:80
	v_cmp_lt_u32_e64 s0, 10, v0
	s_waitcnt vmcnt(0)
	ds_store_b64 v74, v[71:72]
	s_waitcnt lgkmcnt(0)
	s_waitcnt_vscnt null, 0x0
	s_barrier
	buffer_gl0_inv
	s_and_saveexec_b32 s2, s0
	s_cbranch_execz .LBB98_238
; %bb.229:
	s_and_not1_b32 vcc_lo, exec_lo, s3
	s_cbranch_vccnz .LBB98_231
; %bb.230:
	scratch_load_b64 v[71:72], v75, off
	ds_load_b64 v[81:82], v74
	s_waitcnt vmcnt(0) lgkmcnt(0)
	v_mul_f64 v[71:72], v[71:72], v[81:82]
	s_cbranch_execz .LBB98_232
	s_branch .LBB98_233
.LBB98_231:
                                        ; implicit-def: $vgpr71_vgpr72
.LBB98_232:
	ds_load_b64 v[71:72], v74
.LBB98_233:
	s_and_saveexec_b32 s4, s1
	s_cbranch_execz .LBB98_237
; %bb.234:
	v_dual_mov_b32 v81, 0 :: v_dual_add_nc_u32 v82, -11, v0
	s_movk_i32 s5, 0x178
	s_mov_b32 s1, 0
	s_delay_alu instid0(VALU_DEP_1)
	v_add_nc_u32_e32 v81, 0x58, v81
.LBB98_235:                             ; =>This Inner Loop Header: Depth=1
	scratch_load_b64 v[83:84], v81, off
	v_dual_mov_b32 v85, s5 :: v_dual_add_nc_u32 v82, -1, v82
	v_add_nc_u32_e32 v81, 8, v81
	s_add_i32 s5, s5, 8
	ds_load_b64 v[85:86], v85
	v_cmp_eq_u32_e32 vcc_lo, 0, v82
	s_or_b32 s1, vcc_lo, s1
	s_waitcnt vmcnt(0) lgkmcnt(0)
	v_fma_f64 v[71:72], v[83:84], v[85:86], v[71:72]
	s_and_not1_b32 exec_lo, exec_lo, s1
	s_cbranch_execnz .LBB98_235
; %bb.236:
	s_or_b32 exec_lo, exec_lo, s1
.LBB98_237:
	s_delay_alu instid0(SALU_CYCLE_1)
	s_or_b32 exec_lo, exec_lo, s4
	v_mov_b32_e32 v81, 0
	ds_load_b64 v[81:82], v81 offset:80
	s_waitcnt lgkmcnt(0)
	v_mul_f64 v[71:72], v[71:72], v[81:82]
	scratch_store_b64 off, v[71:72], off offset:80
.LBB98_238:
	s_or_b32 exec_lo, exec_lo, s2
	scratch_load_b64 v[71:72], off, off offset:72
	v_cmp_lt_u32_e64 s1, 9, v0
	s_waitcnt vmcnt(0)
	ds_store_b64 v74, v[71:72]
	s_waitcnt lgkmcnt(0)
	s_waitcnt_vscnt null, 0x0
	s_barrier
	buffer_gl0_inv
	s_and_saveexec_b32 s2, s1
	s_cbranch_execz .LBB98_248
; %bb.239:
	s_and_not1_b32 vcc_lo, exec_lo, s3
	s_cbranch_vccnz .LBB98_241
; %bb.240:
	scratch_load_b64 v[71:72], v75, off
	ds_load_b64 v[81:82], v74
	s_waitcnt vmcnt(0) lgkmcnt(0)
	v_mul_f64 v[71:72], v[71:72], v[81:82]
	s_cbranch_execz .LBB98_242
	s_branch .LBB98_243
.LBB98_241:
                                        ; implicit-def: $vgpr71_vgpr72
.LBB98_242:
	ds_load_b64 v[71:72], v74
.LBB98_243:
	s_and_saveexec_b32 s4, s0
	s_cbranch_execz .LBB98_247
; %bb.244:
	v_add_nc_u32_e32 v81, -10, v0
	s_movk_i32 s5, 0x170
	s_mov_b32 s0, 0
.LBB98_245:                             ; =>This Inner Loop Header: Depth=1
	scratch_load_b64 v[82:83], v80, off
	v_dual_mov_b32 v84, s5 :: v_dual_add_nc_u32 v81, -1, v81
	v_add_nc_u32_e32 v80, 8, v80
	s_add_i32 s5, s5, 8
	ds_load_b64 v[84:85], v84
	v_cmp_eq_u32_e32 vcc_lo, 0, v81
	s_or_b32 s0, vcc_lo, s0
	s_waitcnt vmcnt(0) lgkmcnt(0)
	v_fma_f64 v[71:72], v[82:83], v[84:85], v[71:72]
	s_and_not1_b32 exec_lo, exec_lo, s0
	s_cbranch_execnz .LBB98_245
; %bb.246:
	s_or_b32 exec_lo, exec_lo, s0
.LBB98_247:
	s_delay_alu instid0(SALU_CYCLE_1)
	s_or_b32 exec_lo, exec_lo, s4
	v_mov_b32_e32 v80, 0
	ds_load_b64 v[80:81], v80 offset:72
	s_waitcnt lgkmcnt(0)
	v_mul_f64 v[71:72], v[71:72], v[80:81]
	scratch_store_b64 off, v[71:72], off offset:72
.LBB98_248:
	s_or_b32 exec_lo, exec_lo, s2
	scratch_load_b64 v[71:72], off, off offset:64
	v_cmp_lt_u32_e64 s0, 8, v0
	s_waitcnt vmcnt(0)
	ds_store_b64 v74, v[71:72]
	s_waitcnt lgkmcnt(0)
	s_waitcnt_vscnt null, 0x0
	s_barrier
	buffer_gl0_inv
	s_and_saveexec_b32 s2, s0
	s_cbranch_execz .LBB98_258
; %bb.249:
	s_and_not1_b32 vcc_lo, exec_lo, s3
	s_cbranch_vccnz .LBB98_251
; %bb.250:
	scratch_load_b64 v[71:72], v75, off
	ds_load_b64 v[80:81], v74
	s_waitcnt vmcnt(0) lgkmcnt(0)
	v_mul_f64 v[71:72], v[71:72], v[80:81]
	s_cbranch_execz .LBB98_252
	s_branch .LBB98_253
.LBB98_251:
                                        ; implicit-def: $vgpr71_vgpr72
.LBB98_252:
	ds_load_b64 v[71:72], v74
.LBB98_253:
	s_and_saveexec_b32 s4, s1
	s_cbranch_execz .LBB98_257
; %bb.254:
	v_dual_mov_b32 v80, 0 :: v_dual_add_nc_u32 v81, -9, v0
	s_movk_i32 s5, 0x168
	s_mov_b32 s1, 0
	s_delay_alu instid0(VALU_DEP_1)
	v_add_nc_u32_e32 v80, 0x48, v80
.LBB98_255:                             ; =>This Inner Loop Header: Depth=1
	scratch_load_b64 v[82:83], v80, off
	v_dual_mov_b32 v84, s5 :: v_dual_add_nc_u32 v81, -1, v81
	v_add_nc_u32_e32 v80, 8, v80
	s_add_i32 s5, s5, 8
	ds_load_b64 v[84:85], v84
	v_cmp_eq_u32_e32 vcc_lo, 0, v81
	s_or_b32 s1, vcc_lo, s1
	s_waitcnt vmcnt(0) lgkmcnt(0)
	v_fma_f64 v[71:72], v[82:83], v[84:85], v[71:72]
	s_and_not1_b32 exec_lo, exec_lo, s1
	s_cbranch_execnz .LBB98_255
; %bb.256:
	s_or_b32 exec_lo, exec_lo, s1
.LBB98_257:
	s_delay_alu instid0(SALU_CYCLE_1)
	s_or_b32 exec_lo, exec_lo, s4
	v_mov_b32_e32 v80, 0
	ds_load_b64 v[80:81], v80 offset:64
	s_waitcnt lgkmcnt(0)
	v_mul_f64 v[71:72], v[71:72], v[80:81]
	scratch_store_b64 off, v[71:72], off offset:64
.LBB98_258:
	s_or_b32 exec_lo, exec_lo, s2
	scratch_load_b64 v[71:72], off, off offset:56
	v_cmp_lt_u32_e64 s1, 7, v0
	s_waitcnt vmcnt(0)
	ds_store_b64 v74, v[71:72]
	s_waitcnt lgkmcnt(0)
	s_waitcnt_vscnt null, 0x0
	s_barrier
	buffer_gl0_inv
	s_and_saveexec_b32 s2, s1
	s_cbranch_execz .LBB98_268
; %bb.259:
	s_and_not1_b32 vcc_lo, exec_lo, s3
	s_cbranch_vccnz .LBB98_261
; %bb.260:
	scratch_load_b64 v[71:72], v75, off
	ds_load_b64 v[80:81], v74
	s_waitcnt vmcnt(0) lgkmcnt(0)
	v_mul_f64 v[71:72], v[71:72], v[80:81]
	s_cbranch_execz .LBB98_262
	s_branch .LBB98_263
.LBB98_261:
                                        ; implicit-def: $vgpr71_vgpr72
.LBB98_262:
	ds_load_b64 v[71:72], v74
.LBB98_263:
	s_and_saveexec_b32 s4, s0
	s_cbranch_execz .LBB98_267
; %bb.264:
	v_add_nc_u32_e32 v80, -8, v0
	s_movk_i32 s5, 0x160
	s_mov_b32 s0, 0
.LBB98_265:                             ; =>This Inner Loop Header: Depth=1
	scratch_load_b64 v[81:82], v79, off
	v_dual_mov_b32 v83, s5 :: v_dual_add_nc_u32 v80, -1, v80
	v_add_nc_u32_e32 v79, 8, v79
	s_add_i32 s5, s5, 8
	ds_load_b64 v[83:84], v83
	v_cmp_eq_u32_e32 vcc_lo, 0, v80
	s_or_b32 s0, vcc_lo, s0
	s_waitcnt vmcnt(0) lgkmcnt(0)
	v_fma_f64 v[71:72], v[81:82], v[83:84], v[71:72]
	s_and_not1_b32 exec_lo, exec_lo, s0
	s_cbranch_execnz .LBB98_265
; %bb.266:
	s_or_b32 exec_lo, exec_lo, s0
.LBB98_267:
	s_delay_alu instid0(SALU_CYCLE_1)
	s_or_b32 exec_lo, exec_lo, s4
	v_mov_b32_e32 v79, 0
	ds_load_b64 v[79:80], v79 offset:56
	s_waitcnt lgkmcnt(0)
	v_mul_f64 v[71:72], v[71:72], v[79:80]
	scratch_store_b64 off, v[71:72], off offset:56
.LBB98_268:
	s_or_b32 exec_lo, exec_lo, s2
	scratch_load_b64 v[71:72], off, off offset:48
	v_cmp_lt_u32_e64 s0, 6, v0
	s_waitcnt vmcnt(0)
	ds_store_b64 v74, v[71:72]
	s_waitcnt lgkmcnt(0)
	s_waitcnt_vscnt null, 0x0
	s_barrier
	buffer_gl0_inv
	s_and_saveexec_b32 s2, s0
	s_cbranch_execz .LBB98_278
; %bb.269:
	s_and_not1_b32 vcc_lo, exec_lo, s3
	s_cbranch_vccnz .LBB98_271
; %bb.270:
	scratch_load_b64 v[71:72], v75, off
	ds_load_b64 v[79:80], v74
	s_waitcnt vmcnt(0) lgkmcnt(0)
	v_mul_f64 v[71:72], v[71:72], v[79:80]
	s_cbranch_execz .LBB98_272
	s_branch .LBB98_273
.LBB98_271:
                                        ; implicit-def: $vgpr71_vgpr72
.LBB98_272:
	ds_load_b64 v[71:72], v74
.LBB98_273:
	s_and_saveexec_b32 s4, s1
	s_cbranch_execz .LBB98_277
; %bb.274:
	v_add_nc_u32_e64 v79, 0, 56
	v_add_nc_u32_e32 v80, -7, v0
	s_movk_i32 s5, 0x158
	s_mov_b32 s1, 0
.LBB98_275:                             ; =>This Inner Loop Header: Depth=1
	scratch_load_b64 v[81:82], v79, off
	v_dual_mov_b32 v83, s5 :: v_dual_add_nc_u32 v80, -1, v80
	v_add_nc_u32_e32 v79, 8, v79
	s_add_i32 s5, s5, 8
	ds_load_b64 v[83:84], v83
	v_cmp_eq_u32_e32 vcc_lo, 0, v80
	s_or_b32 s1, vcc_lo, s1
	s_waitcnt vmcnt(0) lgkmcnt(0)
	v_fma_f64 v[71:72], v[81:82], v[83:84], v[71:72]
	s_and_not1_b32 exec_lo, exec_lo, s1
	s_cbranch_execnz .LBB98_275
; %bb.276:
	s_or_b32 exec_lo, exec_lo, s1
.LBB98_277:
	s_delay_alu instid0(SALU_CYCLE_1)
	s_or_b32 exec_lo, exec_lo, s4
	v_mov_b32_e32 v79, 0
	ds_load_b64 v[79:80], v79 offset:48
	s_waitcnt lgkmcnt(0)
	v_mul_f64 v[71:72], v[71:72], v[79:80]
	scratch_store_b64 off, v[71:72], off offset:48
.LBB98_278:
	s_or_b32 exec_lo, exec_lo, s2
	scratch_load_b64 v[71:72], off, off offset:40
	v_cmp_lt_u32_e64 s1, 5, v0
	s_waitcnt vmcnt(0)
	ds_store_b64 v74, v[71:72]
	s_waitcnt lgkmcnt(0)
	s_waitcnt_vscnt null, 0x0
	s_barrier
	buffer_gl0_inv
	s_and_saveexec_b32 s2, s1
	s_cbranch_execz .LBB98_288
; %bb.279:
	s_and_not1_b32 vcc_lo, exec_lo, s3
	s_cbranch_vccnz .LBB98_281
; %bb.280:
	scratch_load_b64 v[71:72], v75, off
	ds_load_b64 v[79:80], v74
	s_waitcnt vmcnt(0) lgkmcnt(0)
	v_mul_f64 v[71:72], v[71:72], v[79:80]
	s_cbranch_execz .LBB98_282
	s_branch .LBB98_283
.LBB98_281:
                                        ; implicit-def: $vgpr71_vgpr72
.LBB98_282:
	ds_load_b64 v[71:72], v74
.LBB98_283:
	s_and_saveexec_b32 s4, s0
	s_cbranch_execz .LBB98_287
; %bb.284:
	v_add_nc_u32_e32 v79, -6, v0
	s_movk_i32 s5, 0x150
	s_mov_b32 s0, 0
.LBB98_285:                             ; =>This Inner Loop Header: Depth=1
	scratch_load_b64 v[80:81], v78, off
	v_dual_mov_b32 v82, s5 :: v_dual_add_nc_u32 v79, -1, v79
	v_add_nc_u32_e32 v78, 8, v78
	s_add_i32 s5, s5, 8
	ds_load_b64 v[82:83], v82
	v_cmp_eq_u32_e32 vcc_lo, 0, v79
	s_or_b32 s0, vcc_lo, s0
	s_waitcnt vmcnt(0) lgkmcnt(0)
	v_fma_f64 v[71:72], v[80:81], v[82:83], v[71:72]
	s_and_not1_b32 exec_lo, exec_lo, s0
	s_cbranch_execnz .LBB98_285
; %bb.286:
	s_or_b32 exec_lo, exec_lo, s0
.LBB98_287:
	s_delay_alu instid0(SALU_CYCLE_1)
	s_or_b32 exec_lo, exec_lo, s4
	v_mov_b32_e32 v78, 0
	ds_load_b64 v[78:79], v78 offset:40
	s_waitcnt lgkmcnt(0)
	v_mul_f64 v[71:72], v[71:72], v[78:79]
	scratch_store_b64 off, v[71:72], off offset:40
.LBB98_288:
	s_or_b32 exec_lo, exec_lo, s2
	scratch_load_b64 v[71:72], off, off offset:32
	v_cmp_lt_u32_e64 s0, 4, v0
	s_waitcnt vmcnt(0)
	ds_store_b64 v74, v[71:72]
	s_waitcnt lgkmcnt(0)
	s_waitcnt_vscnt null, 0x0
	s_barrier
	buffer_gl0_inv
	s_and_saveexec_b32 s2, s0
	s_cbranch_execz .LBB98_298
; %bb.289:
	s_and_not1_b32 vcc_lo, exec_lo, s3
	s_cbranch_vccnz .LBB98_291
; %bb.290:
	scratch_load_b64 v[71:72], v75, off
	ds_load_b64 v[78:79], v74
	s_waitcnt vmcnt(0) lgkmcnt(0)
	v_mul_f64 v[71:72], v[71:72], v[78:79]
	s_cbranch_execz .LBB98_292
	s_branch .LBB98_293
.LBB98_291:
                                        ; implicit-def: $vgpr71_vgpr72
.LBB98_292:
	ds_load_b64 v[71:72], v74
.LBB98_293:
	s_and_saveexec_b32 s4, s1
	s_cbranch_execz .LBB98_297
; %bb.294:
	v_add_nc_u32_e64 v78, 0, 40
	v_add_nc_u32_e32 v79, -5, v0
	s_movk_i32 s5, 0x148
	s_mov_b32 s1, 0
.LBB98_295:                             ; =>This Inner Loop Header: Depth=1
	scratch_load_b64 v[80:81], v78, off
	v_dual_mov_b32 v82, s5 :: v_dual_add_nc_u32 v79, -1, v79
	v_add_nc_u32_e32 v78, 8, v78
	s_add_i32 s5, s5, 8
	ds_load_b64 v[82:83], v82
	v_cmp_eq_u32_e32 vcc_lo, 0, v79
	s_or_b32 s1, vcc_lo, s1
	s_waitcnt vmcnt(0) lgkmcnt(0)
	v_fma_f64 v[71:72], v[80:81], v[82:83], v[71:72]
	s_and_not1_b32 exec_lo, exec_lo, s1
	s_cbranch_execnz .LBB98_295
; %bb.296:
	s_or_b32 exec_lo, exec_lo, s1
.LBB98_297:
	s_delay_alu instid0(SALU_CYCLE_1)
	s_or_b32 exec_lo, exec_lo, s4
	v_mov_b32_e32 v78, 0
	ds_load_b64 v[78:79], v78 offset:32
	s_waitcnt lgkmcnt(0)
	v_mul_f64 v[71:72], v[71:72], v[78:79]
	scratch_store_b64 off, v[71:72], off offset:32
.LBB98_298:
	s_or_b32 exec_lo, exec_lo, s2
	scratch_load_b64 v[71:72], off, off offset:24
	v_cmp_lt_u32_e64 s1, 3, v0
	s_waitcnt vmcnt(0)
	ds_store_b64 v74, v[71:72]
	s_waitcnt lgkmcnt(0)
	s_waitcnt_vscnt null, 0x0
	s_barrier
	buffer_gl0_inv
	s_and_saveexec_b32 s2, s1
	s_cbranch_execz .LBB98_308
; %bb.299:
	s_and_not1_b32 vcc_lo, exec_lo, s3
	s_cbranch_vccnz .LBB98_301
; %bb.300:
	scratch_load_b64 v[71:72], v75, off
	ds_load_b64 v[78:79], v74
	s_waitcnt vmcnt(0) lgkmcnt(0)
	v_mul_f64 v[71:72], v[71:72], v[78:79]
	s_cbranch_execz .LBB98_302
	s_branch .LBB98_303
.LBB98_301:
                                        ; implicit-def: $vgpr71_vgpr72
.LBB98_302:
	ds_load_b64 v[71:72], v74
.LBB98_303:
	s_and_saveexec_b32 s4, s0
	s_cbranch_execz .LBB98_307
; %bb.304:
	v_add_nc_u32_e32 v78, -4, v0
	s_movk_i32 s5, 0x140
	s_mov_b32 s0, 0
.LBB98_305:                             ; =>This Inner Loop Header: Depth=1
	scratch_load_b64 v[79:80], v77, off
	v_dual_mov_b32 v81, s5 :: v_dual_add_nc_u32 v78, -1, v78
	v_add_nc_u32_e32 v77, 8, v77
	s_add_i32 s5, s5, 8
	ds_load_b64 v[81:82], v81
	v_cmp_eq_u32_e32 vcc_lo, 0, v78
	s_or_b32 s0, vcc_lo, s0
	s_waitcnt vmcnt(0) lgkmcnt(0)
	v_fma_f64 v[71:72], v[79:80], v[81:82], v[71:72]
	s_and_not1_b32 exec_lo, exec_lo, s0
	s_cbranch_execnz .LBB98_305
; %bb.306:
	s_or_b32 exec_lo, exec_lo, s0
.LBB98_307:
	s_delay_alu instid0(SALU_CYCLE_1)
	s_or_b32 exec_lo, exec_lo, s4
	v_mov_b32_e32 v77, 0
	ds_load_b64 v[77:78], v77 offset:24
	s_waitcnt lgkmcnt(0)
	v_mul_f64 v[71:72], v[71:72], v[77:78]
	scratch_store_b64 off, v[71:72], off offset:24
.LBB98_308:
	s_or_b32 exec_lo, exec_lo, s2
	scratch_load_b64 v[71:72], off, off offset:16
	v_cmp_lt_u32_e64 s0, 2, v0
	s_waitcnt vmcnt(0)
	ds_store_b64 v74, v[71:72]
	s_waitcnt lgkmcnt(0)
	s_waitcnt_vscnt null, 0x0
	s_barrier
	buffer_gl0_inv
	s_and_saveexec_b32 s2, s0
	s_cbranch_execz .LBB98_318
; %bb.309:
	s_and_not1_b32 vcc_lo, exec_lo, s3
	s_cbranch_vccnz .LBB98_311
; %bb.310:
	scratch_load_b64 v[71:72], v75, off
	ds_load_b64 v[77:78], v74
	s_waitcnt vmcnt(0) lgkmcnt(0)
	v_mul_f64 v[71:72], v[71:72], v[77:78]
	s_cbranch_execz .LBB98_312
	s_branch .LBB98_313
.LBB98_311:
                                        ; implicit-def: $vgpr71_vgpr72
.LBB98_312:
	ds_load_b64 v[71:72], v74
.LBB98_313:
	s_and_saveexec_b32 s4, s1
	s_cbranch_execz .LBB98_317
; %bb.314:
	v_add_nc_u32_e64 v77, 0, 24
	v_add_nc_u32_e32 v78, -3, v0
	s_movk_i32 s5, 0x138
	s_mov_b32 s1, 0
.LBB98_315:                             ; =>This Inner Loop Header: Depth=1
	scratch_load_b64 v[79:80], v77, off
	v_dual_mov_b32 v81, s5 :: v_dual_add_nc_u32 v78, -1, v78
	v_add_nc_u32_e32 v77, 8, v77
	s_add_i32 s5, s5, 8
	ds_load_b64 v[81:82], v81
	v_cmp_eq_u32_e32 vcc_lo, 0, v78
	s_or_b32 s1, vcc_lo, s1
	s_waitcnt vmcnt(0) lgkmcnt(0)
	v_fma_f64 v[71:72], v[79:80], v[81:82], v[71:72]
	s_and_not1_b32 exec_lo, exec_lo, s1
	s_cbranch_execnz .LBB98_315
; %bb.316:
	s_or_b32 exec_lo, exec_lo, s1
.LBB98_317:
	s_delay_alu instid0(SALU_CYCLE_1)
	s_or_b32 exec_lo, exec_lo, s4
	v_mov_b32_e32 v77, 0
	ds_load_b64 v[77:78], v77 offset:16
	s_waitcnt lgkmcnt(0)
	v_mul_f64 v[71:72], v[71:72], v[77:78]
	scratch_store_b64 off, v[71:72], off offset:16
.LBB98_318:
	s_or_b32 exec_lo, exec_lo, s2
	scratch_load_b64 v[71:72], off, off offset:8
	v_cmp_lt_u32_e64 s1, 1, v0
	s_waitcnt vmcnt(0)
	ds_store_b64 v74, v[71:72]
	s_waitcnt lgkmcnt(0)
	s_waitcnt_vscnt null, 0x0
	s_barrier
	buffer_gl0_inv
	s_and_saveexec_b32 s2, s1
	s_cbranch_execz .LBB98_328
; %bb.319:
	s_and_not1_b32 vcc_lo, exec_lo, s3
	s_cbranch_vccnz .LBB98_321
; %bb.320:
	scratch_load_b64 v[71:72], v75, off
	ds_load_b64 v[77:78], v74
	s_waitcnt vmcnt(0) lgkmcnt(0)
	v_mul_f64 v[71:72], v[71:72], v[77:78]
	s_cbranch_execz .LBB98_322
	s_branch .LBB98_323
.LBB98_321:
                                        ; implicit-def: $vgpr71_vgpr72
.LBB98_322:
	ds_load_b64 v[71:72], v74
.LBB98_323:
	s_and_saveexec_b32 s4, s0
	s_cbranch_execz .LBB98_327
; %bb.324:
	v_add_nc_u32_e32 v77, -2, v0
	s_movk_i32 s5, 0x130
	s_mov_b32 s0, 0
.LBB98_325:                             ; =>This Inner Loop Header: Depth=1
	scratch_load_b64 v[78:79], v76, off
	v_dual_mov_b32 v80, s5 :: v_dual_add_nc_u32 v77, -1, v77
	v_add_nc_u32_e32 v76, 8, v76
	s_add_i32 s5, s5, 8
	ds_load_b64 v[80:81], v80
	v_cmp_eq_u32_e32 vcc_lo, 0, v77
	s_or_b32 s0, vcc_lo, s0
	s_waitcnt vmcnt(0) lgkmcnt(0)
	v_fma_f64 v[71:72], v[78:79], v[80:81], v[71:72]
	s_and_not1_b32 exec_lo, exec_lo, s0
	s_cbranch_execnz .LBB98_325
; %bb.326:
	s_or_b32 exec_lo, exec_lo, s0
.LBB98_327:
	s_delay_alu instid0(SALU_CYCLE_1)
	s_or_b32 exec_lo, exec_lo, s4
	v_mov_b32_e32 v76, 0
	ds_load_b64 v[76:77], v76 offset:8
	s_waitcnt lgkmcnt(0)
	v_mul_f64 v[71:72], v[71:72], v[76:77]
	scratch_store_b64 off, v[71:72], off offset:8
.LBB98_328:
	s_or_b32 exec_lo, exec_lo, s2
	scratch_load_b64 v[71:72], off, off
	s_mov_b32 s0, 0
	s_mov_b32 s2, exec_lo
	s_waitcnt vmcnt(0)
	ds_store_b64 v74, v[71:72]
	s_waitcnt lgkmcnt(0)
	s_waitcnt_vscnt null, 0x0
	s_barrier
	buffer_gl0_inv
	v_cmpx_ne_u32_e32 0, v0
	s_cbranch_execz .LBB98_338
; %bb.329:
	s_and_not1_b32 vcc_lo, exec_lo, s3
	s_cbranch_vccnz .LBB98_331
; %bb.330:
	scratch_load_b64 v[71:72], v75, off
	ds_load_b64 v[76:77], v74
	s_waitcnt vmcnt(0) lgkmcnt(0)
	v_mul_f64 v[71:72], v[71:72], v[76:77]
	s_cbranch_execz .LBB98_332
	s_branch .LBB98_333
.LBB98_331:
                                        ; implicit-def: $vgpr71_vgpr72
.LBB98_332:
	ds_load_b64 v[71:72], v74
.LBB98_333:
	s_and_saveexec_b32 s4, s1
	s_cbranch_execz .LBB98_337
; %bb.334:
	v_or_b32_e64 v76, 0, 8
	v_add_nc_u32_e32 v77, -1, v0
	s_movk_i32 s5, 0x128
	s_mov_b32 s1, 0
.LBB98_335:                             ; =>This Inner Loop Header: Depth=1
	scratch_load_b64 v[78:79], v76, off
	v_dual_mov_b32 v80, s5 :: v_dual_add_nc_u32 v77, -1, v77
	v_add_nc_u32_e32 v76, 8, v76
	s_add_i32 s5, s5, 8
	ds_load_b64 v[80:81], v80
	v_cmp_eq_u32_e32 vcc_lo, 0, v77
	s_or_b32 s1, vcc_lo, s1
	s_waitcnt vmcnt(0) lgkmcnt(0)
	v_fma_f64 v[71:72], v[78:79], v[80:81], v[71:72]
	s_and_not1_b32 exec_lo, exec_lo, s1
	s_cbranch_execnz .LBB98_335
; %bb.336:
	s_or_b32 exec_lo, exec_lo, s1
.LBB98_337:
	s_delay_alu instid0(SALU_CYCLE_1)
	s_or_b32 exec_lo, exec_lo, s4
	v_mov_b32_e32 v76, 0
	ds_load_b64 v[76:77], v76
	s_waitcnt lgkmcnt(0)
	v_mul_f64 v[71:72], v[71:72], v[76:77]
	scratch_store_b64 off, v[71:72], off
.LBB98_338:
	s_or_b32 exec_lo, exec_lo, s2
.LBB98_339:
	s_delay_alu instid0(SALU_CYCLE_1)
	s_and_b32 vcc_lo, exec_lo, s0
	s_cbranch_vccz .LBB98_675
; %bb.340:
	scratch_load_b64 v[71:72], off, off offset:8
	v_cmp_eq_u32_e64 s0, 0, v0
	s_waitcnt vmcnt(0)
	ds_store_b64 v74, v[71:72]
	s_waitcnt lgkmcnt(0)
	s_waitcnt_vscnt null, 0x0
	s_barrier
	buffer_gl0_inv
	s_and_saveexec_b32 s1, s0
	s_cbranch_execz .LBB98_346
; %bb.341:
	s_and_b32 vcc_lo, exec_lo, s3
	s_cbranch_vccz .LBB98_343
; %bb.342:
	scratch_load_b64 v[71:72], v75, off
	ds_load_b64 v[76:77], v74
	s_waitcnt vmcnt(0) lgkmcnt(0)
	v_mul_f64 v[71:72], v[71:72], v[76:77]
	s_cbranch_execz .LBB98_344
	s_branch .LBB98_345
.LBB98_343:
                                        ; implicit-def: $vgpr71_vgpr72
.LBB98_344:
	ds_load_b64 v[71:72], v74
.LBB98_345:
	v_mov_b32_e32 v76, 0
	ds_load_b64 v[76:77], v76 offset:8
	s_waitcnt lgkmcnt(0)
	v_mul_f64 v[71:72], v[71:72], v[76:77]
	scratch_store_b64 off, v[71:72], off offset:8
.LBB98_346:
	s_or_b32 exec_lo, exec_lo, s1
	scratch_load_b64 v[71:72], off, off offset:16
	v_cndmask_b32_e64 v76, 0, 1, s3
	s_mov_b32 s1, exec_lo
	s_waitcnt vmcnt(0)
	ds_store_b64 v74, v[71:72]
	s_waitcnt lgkmcnt(0)
	s_waitcnt_vscnt null, 0x0
	s_barrier
	buffer_gl0_inv
	v_cmpx_gt_u32_e32 2, v0
	s_cbranch_execz .LBB98_354
; %bb.347:
	s_and_not1_b32 vcc_lo, exec_lo, s3
	s_cbranch_vccnz .LBB98_349
; %bb.348:
	scratch_load_b64 v[71:72], v75, off
	ds_load_b64 v[77:78], v74
	s_waitcnt vmcnt(0) lgkmcnt(0)
	v_mul_f64 v[71:72], v[71:72], v[77:78]
	s_cbranch_execz .LBB98_350
	s_branch .LBB98_351
.LBB98_349:
                                        ; implicit-def: $vgpr71_vgpr72
.LBB98_350:
	ds_load_b64 v[71:72], v74
.LBB98_351:
	s_and_saveexec_b32 s2, s0
	s_cbranch_execz .LBB98_353
; %bb.352:
	scratch_load_b64 v[77:78], v75, off offset:8
	ds_load_b64 v[79:80], v74 offset:8
	s_waitcnt vmcnt(0) lgkmcnt(0)
	v_fma_f64 v[71:72], v[77:78], v[79:80], v[71:72]
.LBB98_353:
	s_or_b32 exec_lo, exec_lo, s2
	v_mov_b32_e32 v77, 0
	ds_load_b64 v[77:78], v77 offset:16
	s_waitcnt lgkmcnt(0)
	v_mul_f64 v[71:72], v[71:72], v[77:78]
	scratch_store_b64 off, v[71:72], off offset:16
.LBB98_354:
	s_or_b32 exec_lo, exec_lo, s1
	scratch_load_b64 v[71:72], off, off offset:24
	s_mov_b32 s1, exec_lo
	s_waitcnt vmcnt(0)
	ds_store_b64 v74, v[71:72]
	s_waitcnt lgkmcnt(0)
	s_waitcnt_vscnt null, 0x0
	s_barrier
	buffer_gl0_inv
	v_cmpx_gt_u32_e32 3, v0
	s_cbranch_execz .LBB98_364
; %bb.355:
	v_cmp_ne_u32_e32 vcc_lo, 1, v76
	s_cbranch_vccnz .LBB98_357
; %bb.356:
	scratch_load_b64 v[71:72], v75, off
	ds_load_b64 v[77:78], v74
	s_waitcnt vmcnt(0) lgkmcnt(0)
	v_mul_f64 v[71:72], v[71:72], v[77:78]
	s_cbranch_execz .LBB98_358
	s_branch .LBB98_359
.LBB98_357:
                                        ; implicit-def: $vgpr71_vgpr72
.LBB98_358:
	ds_load_b64 v[71:72], v74
.LBB98_359:
	s_mov_b32 s2, exec_lo
	v_cmpx_ne_u32_e32 2, v0
	s_cbranch_execz .LBB98_363
; %bb.360:
	scratch_load_b64 v[77:78], v75, off offset:8
	ds_load_b64 v[79:80], v74 offset:8
	s_waitcnt vmcnt(0) lgkmcnt(0)
	v_fma_f64 v[71:72], v[77:78], v[79:80], v[71:72]
	s_and_saveexec_b32 s3, s0
	s_cbranch_execz .LBB98_362
; %bb.361:
	scratch_load_b64 v[77:78], off, off offset:16
	v_mov_b32_e32 v79, 0
	ds_load_b64 v[79:80], v79 offset:304
	s_waitcnt vmcnt(0) lgkmcnt(0)
	v_fma_f64 v[71:72], v[77:78], v[79:80], v[71:72]
.LBB98_362:
	s_or_b32 exec_lo, exec_lo, s3
.LBB98_363:
	s_delay_alu instid0(SALU_CYCLE_1)
	s_or_b32 exec_lo, exec_lo, s2
	v_mov_b32_e32 v77, 0
	ds_load_b64 v[77:78], v77 offset:24
	s_waitcnt lgkmcnt(0)
	v_mul_f64 v[71:72], v[71:72], v[77:78]
	scratch_store_b64 off, v[71:72], off offset:24
.LBB98_364:
	s_or_b32 exec_lo, exec_lo, s1
	scratch_load_b64 v[71:72], off, off offset:32
	s_mov_b32 s0, exec_lo
	s_waitcnt vmcnt(0)
	ds_store_b64 v74, v[71:72]
	s_waitcnt lgkmcnt(0)
	s_waitcnt_vscnt null, 0x0
	s_barrier
	buffer_gl0_inv
	v_cmpx_gt_u32_e32 4, v0
	s_cbranch_execz .LBB98_374
; %bb.365:
	v_cmp_ne_u32_e32 vcc_lo, 1, v76
	s_cbranch_vccnz .LBB98_367
; %bb.366:
	scratch_load_b64 v[71:72], v75, off
	ds_load_b64 v[77:78], v74
	s_waitcnt vmcnt(0) lgkmcnt(0)
	v_mul_f64 v[71:72], v[71:72], v[77:78]
	s_cbranch_execz .LBB98_368
	s_branch .LBB98_369
.LBB98_367:
                                        ; implicit-def: $vgpr71_vgpr72
.LBB98_368:
	ds_load_b64 v[71:72], v74
.LBB98_369:
	s_mov_b32 s1, exec_lo
	v_cmpx_ne_u32_e32 3, v0
	s_cbranch_execz .LBB98_373
; %bb.370:
	v_add_nc_u32_e32 v77, 0x128, v73
	v_add3_u32 v78, 0, v73, 8
	v_mov_b32_e32 v79, v0
	s_mov_b32 s2, 0
.LBB98_371:                             ; =>This Inner Loop Header: Depth=1
	scratch_load_b64 v[80:81], v78, off
	ds_load_b64 v[82:83], v77
	v_add_nc_u32_e32 v79, 1, v79
	v_add_nc_u32_e32 v77, 8, v77
	v_add_nc_u32_e32 v78, 8, v78
	s_delay_alu instid0(VALU_DEP_3)
	v_cmp_lt_u32_e32 vcc_lo, 2, v79
	s_or_b32 s2, vcc_lo, s2
	s_waitcnt vmcnt(0) lgkmcnt(0)
	v_fma_f64 v[71:72], v[80:81], v[82:83], v[71:72]
	s_and_not1_b32 exec_lo, exec_lo, s2
	s_cbranch_execnz .LBB98_371
; %bb.372:
	s_or_b32 exec_lo, exec_lo, s2
.LBB98_373:
	s_delay_alu instid0(SALU_CYCLE_1)
	s_or_b32 exec_lo, exec_lo, s1
	v_mov_b32_e32 v77, 0
	ds_load_b64 v[77:78], v77 offset:32
	s_waitcnt lgkmcnt(0)
	v_mul_f64 v[71:72], v[71:72], v[77:78]
	scratch_store_b64 off, v[71:72], off offset:32
.LBB98_374:
	s_or_b32 exec_lo, exec_lo, s0
	scratch_load_b64 v[71:72], off, off offset:40
	s_mov_b32 s0, exec_lo
	s_waitcnt vmcnt(0)
	ds_store_b64 v74, v[71:72]
	s_waitcnt lgkmcnt(0)
	s_waitcnt_vscnt null, 0x0
	s_barrier
	buffer_gl0_inv
	v_cmpx_gt_u32_e32 5, v0
	s_cbranch_execz .LBB98_384
; %bb.375:
	v_cmp_ne_u32_e32 vcc_lo, 1, v76
	s_cbranch_vccnz .LBB98_377
; %bb.376:
	scratch_load_b64 v[71:72], v75, off
	ds_load_b64 v[77:78], v74
	s_waitcnt vmcnt(0) lgkmcnt(0)
	v_mul_f64 v[71:72], v[71:72], v[77:78]
	s_cbranch_execz .LBB98_378
	s_branch .LBB98_379
.LBB98_377:
                                        ; implicit-def: $vgpr71_vgpr72
.LBB98_378:
	ds_load_b64 v[71:72], v74
.LBB98_379:
	s_mov_b32 s1, exec_lo
	v_cmpx_ne_u32_e32 4, v0
	s_cbranch_execz .LBB98_383
; %bb.380:
	v_add_nc_u32_e32 v77, 0x128, v73
	v_add3_u32 v78, 0, v73, 8
	v_mov_b32_e32 v79, v0
	s_mov_b32 s2, 0
.LBB98_381:                             ; =>This Inner Loop Header: Depth=1
	scratch_load_b64 v[80:81], v78, off
	ds_load_b64 v[82:83], v77
	v_add_nc_u32_e32 v79, 1, v79
	v_add_nc_u32_e32 v77, 8, v77
	v_add_nc_u32_e32 v78, 8, v78
	s_delay_alu instid0(VALU_DEP_3)
	v_cmp_lt_u32_e32 vcc_lo, 3, v79
	s_or_b32 s2, vcc_lo, s2
	s_waitcnt vmcnt(0) lgkmcnt(0)
	v_fma_f64 v[71:72], v[80:81], v[82:83], v[71:72]
	s_and_not1_b32 exec_lo, exec_lo, s2
	s_cbranch_execnz .LBB98_381
; %bb.382:
	s_or_b32 exec_lo, exec_lo, s2
.LBB98_383:
	s_delay_alu instid0(SALU_CYCLE_1)
	s_or_b32 exec_lo, exec_lo, s1
	v_mov_b32_e32 v77, 0
	ds_load_b64 v[77:78], v77 offset:40
	s_waitcnt lgkmcnt(0)
	v_mul_f64 v[71:72], v[71:72], v[77:78]
	scratch_store_b64 off, v[71:72], off offset:40
.LBB98_384:
	;; [unrolled: 58-line block ×29, first 2 shown]
	s_or_b32 exec_lo, exec_lo, s0
	scratch_load_b64 v[71:72], off, off offset:264
	v_cmp_gt_u32_e64 s0, 33, v0
	s_waitcnt vmcnt(0)
	ds_store_b64 v74, v[71:72]
	s_waitcnt lgkmcnt(0)
	s_waitcnt_vscnt null, 0x0
	s_barrier
	buffer_gl0_inv
	s_and_saveexec_b32 s1, s0
	s_cbranch_execz .LBB98_664
; %bb.655:
	v_cmp_ne_u32_e32 vcc_lo, 1, v76
	s_cbranch_vccnz .LBB98_657
; %bb.656:
	scratch_load_b64 v[71:72], v75, off
	ds_load_b64 v[77:78], v74
	s_waitcnt vmcnt(0) lgkmcnt(0)
	v_mul_f64 v[71:72], v[71:72], v[77:78]
	s_cbranch_execz .LBB98_658
	s_branch .LBB98_659
.LBB98_657:
                                        ; implicit-def: $vgpr71_vgpr72
.LBB98_658:
	ds_load_b64 v[71:72], v74
.LBB98_659:
	s_mov_b32 s2, exec_lo
	v_cmpx_ne_u32_e32 32, v0
	s_cbranch_execz .LBB98_663
; %bb.660:
	v_add_nc_u32_e32 v77, 0x128, v73
	v_add3_u32 v78, 0, v73, 8
	v_mov_b32_e32 v79, v0
	s_mov_b32 s3, 0
.LBB98_661:                             ; =>This Inner Loop Header: Depth=1
	scratch_load_b64 v[80:81], v78, off
	ds_load_b64 v[82:83], v77
	v_add_nc_u32_e32 v79, 1, v79
	v_add_nc_u32_e32 v77, 8, v77
	;; [unrolled: 1-line block ×3, first 2 shown]
	s_delay_alu instid0(VALU_DEP_3)
	v_cmp_lt_u32_e32 vcc_lo, 31, v79
	s_or_b32 s3, vcc_lo, s3
	s_waitcnt vmcnt(0) lgkmcnt(0)
	v_fma_f64 v[71:72], v[80:81], v[82:83], v[71:72]
	s_and_not1_b32 exec_lo, exec_lo, s3
	s_cbranch_execnz .LBB98_661
; %bb.662:
	s_or_b32 exec_lo, exec_lo, s3
.LBB98_663:
	s_delay_alu instid0(SALU_CYCLE_1)
	s_or_b32 exec_lo, exec_lo, s2
	v_mov_b32_e32 v77, 0
	ds_load_b64 v[77:78], v77 offset:264
	s_waitcnt lgkmcnt(0)
	v_mul_f64 v[71:72], v[71:72], v[77:78]
	scratch_store_b64 off, v[71:72], off offset:264
.LBB98_664:
	s_or_b32 exec_lo, exec_lo, s1
	scratch_load_b64 v[71:72], off, off offset:272
	s_mov_b32 s1, exec_lo
	s_waitcnt vmcnt(0)
	ds_store_b64 v74, v[71:72]
	s_waitcnt lgkmcnt(0)
	s_waitcnt_vscnt null, 0x0
	s_barrier
	buffer_gl0_inv
	v_cmpx_ne_u32_e32 34, v0
	s_cbranch_execz .LBB98_674
; %bb.665:
	v_cmp_ne_u32_e32 vcc_lo, 1, v76
	s_cbranch_vccnz .LBB98_667
; %bb.666:
	scratch_load_b64 v[71:72], v75, off
	ds_load_b64 v[75:76], v74
	s_waitcnt vmcnt(0) lgkmcnt(0)
	v_mul_f64 v[71:72], v[71:72], v[75:76]
	s_cbranch_execz .LBB98_668
	s_branch .LBB98_669
.LBB98_667:
                                        ; implicit-def: $vgpr71_vgpr72
.LBB98_668:
	ds_load_b64 v[71:72], v74
.LBB98_669:
	s_and_saveexec_b32 s2, s0
	s_cbranch_execz .LBB98_673
; %bb.670:
	v_add_nc_u32_e32 v74, 0x128, v73
	v_add3_u32 v73, 0, v73, 8
	s_mov_b32 s0, 0
.LBB98_671:                             ; =>This Inner Loop Header: Depth=1
	scratch_load_b64 v[75:76], v73, off
	ds_load_b64 v[77:78], v74
	v_add_nc_u32_e32 v0, 1, v0
	v_add_nc_u32_e32 v74, 8, v74
	;; [unrolled: 1-line block ×3, first 2 shown]
	s_delay_alu instid0(VALU_DEP_3)
	v_cmp_lt_u32_e32 vcc_lo, 32, v0
	s_or_b32 s0, vcc_lo, s0
	s_waitcnt vmcnt(0) lgkmcnt(0)
	v_fma_f64 v[71:72], v[75:76], v[77:78], v[71:72]
	s_and_not1_b32 exec_lo, exec_lo, s0
	s_cbranch_execnz .LBB98_671
; %bb.672:
	s_or_b32 exec_lo, exec_lo, s0
.LBB98_673:
	s_delay_alu instid0(SALU_CYCLE_1)
	s_or_b32 exec_lo, exec_lo, s2
	v_mov_b32_e32 v0, 0
	ds_load_b64 v[73:74], v0 offset:272
	s_waitcnt lgkmcnt(0)
	v_mul_f64 v[71:72], v[71:72], v[73:74]
	scratch_store_b64 off, v[71:72], off offset:272
.LBB98_674:
	s_or_b32 exec_lo, exec_lo, s1
.LBB98_675:
	s_clause 0xb
	scratch_load_b128 v[71:74], off, off
	scratch_load_b128 v[75:78], off, off offset:16
	scratch_load_b128 v[79:82], off, off offset:32
	;; [unrolled: 1-line block ×11, first 2 shown]
	s_waitcnt vmcnt(11)
	s_clause 0x1
	global_store_b64 v[3:4], v[71:72], off
	global_store_b64 v[1:2], v[73:74], off
	scratch_load_b128 v[0:3], off, off offset:192
	s_waitcnt vmcnt(11)
	s_clause 0x1
	global_store_b64 v[5:6], v[75:76], off
	global_store_b64 v[7:8], v[77:78], off
	s_waitcnt vmcnt(10)
	s_clause 0x1
	global_store_b64 v[11:12], v[79:80], off
	global_store_b64 v[9:10], v[81:82], off
	s_clause 0x4
	scratch_load_b128 v[71:74], off, off offset:208
	scratch_load_b128 v[4:7], off, off offset:224
	;; [unrolled: 1-line block ×4, first 2 shown]
	scratch_load_b64 v[79:80], off, off offset:272
	s_waitcnt vmcnt(14)
	s_clause 0x1
	global_store_b64 v[13:14], v[83:84], off
	global_store_b64 v[15:16], v[85:86], off
	s_waitcnt vmcnt(13)
	s_clause 0x1
	global_store_b64 v[17:18], v[87:88], off
	global_store_b64 v[19:20], v[89:90], off
	;; [unrolled: 4-line block ×14, first 2 shown]
	s_waitcnt vmcnt(0)
	global_store_b64 v[41:42], v[79:80], off
.LBB98_676:
	s_endpgm
	.section	.rodata,"a",@progbits
	.p2align	6, 0x0
	.amdhsa_kernel _ZN9rocsolver6v33100L18trti2_kernel_smallILi35EdPKPdEEv13rocblas_fill_17rocblas_diagonal_T1_iil
		.amdhsa_group_segment_fixed_size 568
		.amdhsa_private_segment_fixed_size 288
		.amdhsa_kernarg_size 32
		.amdhsa_user_sgpr_count 15
		.amdhsa_user_sgpr_dispatch_ptr 0
		.amdhsa_user_sgpr_queue_ptr 0
		.amdhsa_user_sgpr_kernarg_segment_ptr 1
		.amdhsa_user_sgpr_dispatch_id 0
		.amdhsa_user_sgpr_private_segment_size 0
		.amdhsa_wavefront_size32 1
		.amdhsa_uses_dynamic_stack 0
		.amdhsa_enable_private_segment 1
		.amdhsa_system_sgpr_workgroup_id_x 1
		.amdhsa_system_sgpr_workgroup_id_y 0
		.amdhsa_system_sgpr_workgroup_id_z 0
		.amdhsa_system_sgpr_workgroup_info 0
		.amdhsa_system_vgpr_workitem_id 0
		.amdhsa_next_free_vgpr 120
		.amdhsa_next_free_sgpr 16
		.amdhsa_reserve_vcc 1
		.amdhsa_float_round_mode_32 0
		.amdhsa_float_round_mode_16_64 0
		.amdhsa_float_denorm_mode_32 3
		.amdhsa_float_denorm_mode_16_64 3
		.amdhsa_dx10_clamp 1
		.amdhsa_ieee_mode 1
		.amdhsa_fp16_overflow 0
		.amdhsa_workgroup_processor_mode 1
		.amdhsa_memory_ordered 1
		.amdhsa_forward_progress 0
		.amdhsa_shared_vgpr_count 0
		.amdhsa_exception_fp_ieee_invalid_op 0
		.amdhsa_exception_fp_denorm_src 0
		.amdhsa_exception_fp_ieee_div_zero 0
		.amdhsa_exception_fp_ieee_overflow 0
		.amdhsa_exception_fp_ieee_underflow 0
		.amdhsa_exception_fp_ieee_inexact 0
		.amdhsa_exception_int_div_zero 0
	.end_amdhsa_kernel
	.section	.text._ZN9rocsolver6v33100L18trti2_kernel_smallILi35EdPKPdEEv13rocblas_fill_17rocblas_diagonal_T1_iil,"axG",@progbits,_ZN9rocsolver6v33100L18trti2_kernel_smallILi35EdPKPdEEv13rocblas_fill_17rocblas_diagonal_T1_iil,comdat
.Lfunc_end98:
	.size	_ZN9rocsolver6v33100L18trti2_kernel_smallILi35EdPKPdEEv13rocblas_fill_17rocblas_diagonal_T1_iil, .Lfunc_end98-_ZN9rocsolver6v33100L18trti2_kernel_smallILi35EdPKPdEEv13rocblas_fill_17rocblas_diagonal_T1_iil
                                        ; -- End function
	.section	.AMDGPU.csdata,"",@progbits
; Kernel info:
; codeLenInByte = 18992
; NumSgprs: 18
; NumVgprs: 120
; ScratchSize: 288
; MemoryBound: 0
; FloatMode: 240
; IeeeMode: 1
; LDSByteSize: 568 bytes/workgroup (compile time only)
; SGPRBlocks: 2
; VGPRBlocks: 14
; NumSGPRsForWavesPerEU: 18
; NumVGPRsForWavesPerEU: 120
; Occupancy: 12
; WaveLimiterHint : 1
; COMPUTE_PGM_RSRC2:SCRATCH_EN: 1
; COMPUTE_PGM_RSRC2:USER_SGPR: 15
; COMPUTE_PGM_RSRC2:TRAP_HANDLER: 0
; COMPUTE_PGM_RSRC2:TGID_X_EN: 1
; COMPUTE_PGM_RSRC2:TGID_Y_EN: 0
; COMPUTE_PGM_RSRC2:TGID_Z_EN: 0
; COMPUTE_PGM_RSRC2:TIDIG_COMP_CNT: 0
	.section	.text._ZN9rocsolver6v33100L18trti2_kernel_smallILi36EdPKPdEEv13rocblas_fill_17rocblas_diagonal_T1_iil,"axG",@progbits,_ZN9rocsolver6v33100L18trti2_kernel_smallILi36EdPKPdEEv13rocblas_fill_17rocblas_diagonal_T1_iil,comdat
	.globl	_ZN9rocsolver6v33100L18trti2_kernel_smallILi36EdPKPdEEv13rocblas_fill_17rocblas_diagonal_T1_iil ; -- Begin function _ZN9rocsolver6v33100L18trti2_kernel_smallILi36EdPKPdEEv13rocblas_fill_17rocblas_diagonal_T1_iil
	.p2align	8
	.type	_ZN9rocsolver6v33100L18trti2_kernel_smallILi36EdPKPdEEv13rocblas_fill_17rocblas_diagonal_T1_iil,@function
_ZN9rocsolver6v33100L18trti2_kernel_smallILi36EdPKPdEEv13rocblas_fill_17rocblas_diagonal_T1_iil: ; @_ZN9rocsolver6v33100L18trti2_kernel_smallILi36EdPKPdEEv13rocblas_fill_17rocblas_diagonal_T1_iil
; %bb.0:
	s_mov_b32 s2, exec_lo
	v_cmpx_gt_u32_e32 36, v0
	s_cbranch_execz .LBB99_696
; %bb.1:
	s_clause 0x1
	s_load_b64 s[4:5], s[0:1], 0x10
	s_load_b128 s[0:3], s[0:1], 0x0
	s_mov_b32 s6, s15
	s_ashr_i32 s7, s15, 31
	v_lshlrev_b32_e32 v75, 3, v0
	s_lshl_b64 s[6:7], s[6:7], 3
	s_waitcnt lgkmcnt(0)
	s_ashr_i32 s9, s4, 31
	s_add_u32 s2, s2, s6
	s_addc_u32 s3, s3, s7
	v_add3_u32 v1, s5, s5, v0
	s_load_b64 s[2:3], s[2:3], 0x0
	s_mov_b32 s8, s4
	s_mov_b32 s6, s5
	s_lshl_b64 s[8:9], s[8:9], 3
	v_add_nc_u32_e32 v3, s5, v1
	v_ashrrev_i32_e32 v2, 31, v1
	s_delay_alu instid0(VALU_DEP_2) | instskip(NEXT) | instid1(VALU_DEP_2)
	v_add_nc_u32_e32 v5, s5, v3
	v_lshlrev_b64 v[1:2], 3, v[1:2]
	v_ashrrev_i32_e32 v4, 31, v3
	s_delay_alu instid0(VALU_DEP_3) | instskip(SKIP_1) | instid1(VALU_DEP_3)
	v_add_nc_u32_e32 v7, s5, v5
	v_ashrrev_i32_e32 v6, 31, v5
	v_lshlrev_b64 v[9:10], 3, v[3:4]
	s_delay_alu instid0(VALU_DEP_3)
	v_add_nc_u32_e32 v13, s5, v7
	s_waitcnt lgkmcnt(0)
	s_add_u32 s2, s2, s8
	s_addc_u32 s3, s3, s9
	v_add_co_u32 v21, s4, s2, v75
	s_ashr_i32 s7, s5, 31
	v_add_co_ci_u32_e64 v22, null, s3, 0, s4
	v_add_co_u32 v3, vcc_lo, s2, v1
	s_lshl_b64 s[6:7], s[6:7], 3
	v_add_co_ci_u32_e32 v4, vcc_lo, s3, v2, vcc_lo
	v_ashrrev_i32_e32 v8, 31, v7
	v_lshlrev_b64 v[5:6], 3, v[5:6]
	v_add_co_u32 v11, vcc_lo, v21, s6
	v_add_nc_u32_e32 v15, s5, v13
	v_add_co_ci_u32_e32 v12, vcc_lo, s7, v22, vcc_lo
	v_add_co_u32 v1, vcc_lo, s2, v9
	v_ashrrev_i32_e32 v14, 31, v13
	v_lshlrev_b64 v[7:8], 3, v[7:8]
	v_add_co_ci_u32_e32 v2, vcc_lo, s3, v10, vcc_lo
	v_add_co_u32 v17, vcc_lo, s2, v5
	v_ashrrev_i32_e32 v16, 31, v15
	v_add_co_ci_u32_e32 v18, vcc_lo, s3, v6, vcc_lo
	v_lshlrev_b64 v[5:6], 3, v[13:14]
	v_add_nc_u32_e32 v19, s5, v15
	v_add_co_u32 v9, vcc_lo, s2, v7
	v_lshlrev_b64 v[14:15], 3, v[15:16]
	v_add_co_ci_u32_e32 v10, vcc_lo, s3, v8, vcc_lo
	s_delay_alu instid0(VALU_DEP_4)
	v_add_nc_u32_e32 v13, s5, v19
	v_add_co_u32 v7, vcc_lo, s2, v5
	v_add_co_ci_u32_e32 v8, vcc_lo, s3, v6, vcc_lo
	v_add_co_u32 v5, vcc_lo, s2, v14
	v_ashrrev_i32_e32 v20, 31, v19
	v_add_co_ci_u32_e32 v6, vcc_lo, s3, v15, vcc_lo
	v_add_nc_u32_e32 v15, s5, v13
	v_ashrrev_i32_e32 v14, 31, v13
	s_delay_alu instid0(VALU_DEP_4)
	v_lshlrev_b64 v[19:20], 3, v[19:20]
	s_clause 0x4
	global_load_b64 v[47:48], v75, s[2:3]
	global_load_b64 v[49:50], v[11:12], off
	global_load_b64 v[51:52], v[3:4], off
	;; [unrolled: 1-line block ×4, first 2 shown]
	v_add_nc_u32_e32 v25, s5, v15
	v_lshlrev_b64 v[23:24], 3, v[13:14]
	v_ashrrev_i32_e32 v16, 31, v15
	v_add_co_u32 v13, vcc_lo, s2, v19
	s_delay_alu instid0(VALU_DEP_4) | instskip(SKIP_1) | instid1(VALU_DEP_4)
	v_ashrrev_i32_e32 v26, 31, v25
	v_add_co_ci_u32_e32 v14, vcc_lo, s3, v20, vcc_lo
	v_lshlrev_b64 v[19:20], 3, v[15:16]
	v_add_co_u32 v15, vcc_lo, s2, v23
	v_add_co_ci_u32_e32 v16, vcc_lo, s3, v24, vcc_lo
	v_lshlrev_b64 v[23:24], 3, v[25:26]
	v_add_nc_u32_e32 v25, s5, v25
	s_clause 0x2
	global_load_b64 v[57:58], v[9:10], off
	global_load_b64 v[59:60], v[7:8], off
	;; [unrolled: 1-line block ×3, first 2 shown]
	v_add_co_u32 v19, vcc_lo, s2, v19
	v_add_co_ci_u32_e32 v20, vcc_lo, s3, v20, vcc_lo
	v_add_nc_u32_e32 v27, s5, v25
	v_add_co_u32 v23, vcc_lo, s2, v23
	v_ashrrev_i32_e32 v26, 31, v25
	v_add_co_ci_u32_e32 v24, vcc_lo, s3, v24, vcc_lo
	s_delay_alu instid0(VALU_DEP_4)
	v_add_nc_u32_e32 v29, s5, v27
	v_ashrrev_i32_e32 v28, 31, v27
	s_clause 0x3
	global_load_b64 v[63:64], v[13:14], off
	global_load_b64 v[65:66], v[15:16], off
	;; [unrolled: 1-line block ×4, first 2 shown]
	v_lshlrev_b64 v[25:26], 3, v[25:26]
	s_cmpk_lg_i32 s1, 0x84
	v_add_nc_u32_e32 v33, s5, v29
	v_ashrrev_i32_e32 v30, 31, v29
	v_lshlrev_b64 v[27:28], 3, v[27:28]
	s_delay_alu instid0(VALU_DEP_4) | instskip(NEXT) | instid1(VALU_DEP_4)
	v_add_co_u32 v25, vcc_lo, s2, v25
	v_ashrrev_i32_e32 v34, 31, v33
	s_delay_alu instid0(VALU_DEP_4) | instskip(SKIP_2) | instid1(VALU_DEP_4)
	v_lshlrev_b64 v[29:30], 3, v[29:30]
	v_add_co_ci_u32_e32 v26, vcc_lo, s3, v26, vcc_lo
	v_add_co_u32 v27, vcc_lo, s2, v27
	v_lshlrev_b64 v[31:32], 3, v[33:34]
	v_add_co_ci_u32_e32 v28, vcc_lo, s3, v28, vcc_lo
	v_add_co_u32 v29, vcc_lo, s2, v29
	v_add_co_ci_u32_e32 v30, vcc_lo, s3, v30, vcc_lo
	s_delay_alu instid0(VALU_DEP_4)
	v_add_co_u32 v31, vcc_lo, s2, v31
	v_add_co_ci_u32_e32 v32, vcc_lo, s3, v32, vcc_lo
	s_clause 0x3
	global_load_b64 v[76:77], v[25:26], off
	global_load_b64 v[78:79], v[27:28], off
	;; [unrolled: 1-line block ×4, first 2 shown]
	v_add_nc_u32_e32 v33, s5, v33
	s_delay_alu instid0(VALU_DEP_1) | instskip(SKIP_1) | instid1(VALU_DEP_2)
	v_add_nc_u32_e32 v35, s5, v33
	v_ashrrev_i32_e32 v34, 31, v33
	v_add_nc_u32_e32 v37, s5, v35
	v_ashrrev_i32_e32 v36, 31, v35
	s_delay_alu instid0(VALU_DEP_3) | instskip(NEXT) | instid1(VALU_DEP_3)
	v_lshlrev_b64 v[33:34], 3, v[33:34]
	v_add_nc_u32_e32 v39, s5, v37
	v_ashrrev_i32_e32 v38, 31, v37
	s_delay_alu instid0(VALU_DEP_4) | instskip(NEXT) | instid1(VALU_DEP_4)
	v_lshlrev_b64 v[35:36], 3, v[35:36]
	v_add_co_u32 v33, vcc_lo, s2, v33
	s_delay_alu instid0(VALU_DEP_4) | instskip(SKIP_3) | instid1(VALU_DEP_4)
	v_add_nc_u32_e32 v41, s5, v39
	v_ashrrev_i32_e32 v40, 31, v39
	v_lshlrev_b64 v[37:38], 3, v[37:38]
	v_add_co_ci_u32_e32 v34, vcc_lo, s3, v34, vcc_lo
	v_add_nc_u32_e32 v43, s5, v41
	v_add_co_u32 v35, vcc_lo, s2, v35
	v_lshlrev_b64 v[39:40], 3, v[39:40]
	v_ashrrev_i32_e32 v42, 31, v41
	s_delay_alu instid0(VALU_DEP_4) | instskip(SKIP_2) | instid1(VALU_DEP_3)
	v_add_nc_u32_e32 v45, s5, v43
	v_add_co_ci_u32_e32 v36, vcc_lo, s3, v36, vcc_lo
	v_add_co_u32 v37, vcc_lo, s2, v37
	v_add_nc_u32_e32 v71, s5, v45
	v_add_co_ci_u32_e32 v38, vcc_lo, s3, v38, vcc_lo
	v_lshlrev_b64 v[89:90], 3, v[41:42]
	v_ashrrev_i32_e32 v44, 31, v43
	s_delay_alu instid0(VALU_DEP_4) | instskip(SKIP_2) | instid1(VALU_DEP_3)
	v_add_nc_u32_e32 v73, s5, v71
	v_add_co_u32 v41, vcc_lo, s2, v39
	v_add_co_ci_u32_e32 v42, vcc_lo, s3, v40, vcc_lo
	v_add_nc_u32_e32 v88, s5, v73
	v_lshlrev_b64 v[91:92], 3, v[43:44]
	v_add_co_u32 v43, vcc_lo, s2, v89
	v_ashrrev_i32_e32 v46, 31, v45
	s_delay_alu instid0(VALU_DEP_4) | instskip(SKIP_2) | instid1(VALU_DEP_4)
	v_add_nc_u32_e32 v98, s5, v88
	v_add_co_ci_u32_e32 v44, vcc_lo, s3, v90, vcc_lo
	v_ashrrev_i32_e32 v72, 31, v71
	v_lshlrev_b64 v[99:100], 3, v[45:46]
	s_delay_alu instid0(VALU_DEP_4)
	v_add_nc_u32_e32 v106, s5, v98
	v_ashrrev_i32_e32 v74, 31, v73
	global_load_b64 v[84:85], v[33:34], off
	v_ashrrev_i32_e32 v89, 31, v88
	v_add_nc_u32_e32 v108, s5, v106
	v_ashrrev_i32_e32 v107, 31, v106
	s_delay_alu instid0(VALU_DEP_2) | instskip(SKIP_1) | instid1(VALU_DEP_2)
	v_add_nc_u32_e32 v110, s5, v108
	v_ashrrev_i32_e32 v109, 31, v108
	v_add_nc_u32_e32 v112, s5, v110
	v_ashrrev_i32_e32 v111, 31, v110
	s_delay_alu instid0(VALU_DEP_2) | instskip(SKIP_1) | instid1(VALU_DEP_2)
	v_add_nc_u32_e32 v114, s5, v112
	;; [unrolled: 5-line block ×4, first 2 shown]
	v_ashrrev_i32_e32 v121, 31, v120
	v_ashrrev_i32_e32 v87, 31, v86
	s_delay_alu instid0(VALU_DEP_1) | instskip(NEXT) | instid1(VALU_DEP_1)
	v_lshlrev_b64 v[39:40], 3, v[86:87]
	v_add_co_u32 v39, vcc_lo, s2, v39
	s_delay_alu instid0(VALU_DEP_2)
	v_add_co_ci_u32_e32 v40, vcc_lo, s3, v40, vcc_lo
	v_add_co_u32 v45, vcc_lo, s2, v91
	v_add_co_ci_u32_e32 v46, vcc_lo, s3, v92, vcc_lo
	global_load_b64 v[90:91], v[39:40], off
	s_waitcnt vmcnt(16)
	scratch_store_b128 off, v[47:50], off
	s_waitcnt vmcnt(14)
	scratch_store_b128 off, v[51:54], off offset:16
	v_lshlrev_b64 v[49:50], 3, v[71:72]
	v_add_co_u32 v47, vcc_lo, s2, v99
	v_lshlrev_b64 v[51:52], 3, v[73:74]
	v_ashrrev_i32_e32 v99, 31, v98
	v_add_co_ci_u32_e32 v48, vcc_lo, s3, v100, vcc_lo
	v_add_co_u32 v49, vcc_lo, s2, v49
	v_lshlrev_b64 v[53:54], 3, v[88:89]
	v_add_co_ci_u32_e32 v50, vcc_lo, s3, v50, vcc_lo
	v_add_co_u32 v51, vcc_lo, s2, v51
	v_lshlrev_b64 v[71:72], 3, v[98:99]
	v_add_co_ci_u32_e32 v52, vcc_lo, s3, v52, vcc_lo
	s_clause 0x3
	global_load_b64 v[86:87], v[35:36], off
	global_load_b64 v[92:93], v[37:38], off
	;; [unrolled: 1-line block ×4, first 2 shown]
	s_waitcnt vmcnt(16)
	scratch_store_b128 off, v[55:58], off offset:32
	s_waitcnt vmcnt(14)
	scratch_store_b128 off, v[59:62], off offset:48
	v_add_co_u32 v53, vcc_lo, s2, v53
	v_lshlrev_b64 v[57:58], 3, v[106:107]
	v_add_co_ci_u32_e32 v54, vcc_lo, s3, v54, vcc_lo
	v_add_co_u32 v55, vcc_lo, s2, v71
	v_lshlrev_b64 v[59:60], 3, v[108:109]
	v_add_co_ci_u32_e32 v56, vcc_lo, s3, v72, vcc_lo
	;; [unrolled: 3-line block ×4, first 2 shown]
	s_clause 0x3
	global_load_b64 v[98:99], v[45:46], off
	global_load_b64 v[100:101], v[47:48], off
	;; [unrolled: 1-line block ×4, first 2 shown]
	s_waitcnt vmcnt(16)
	scratch_store_b128 off, v[63:66], off offset:64
	s_waitcnt vmcnt(14)
	scratch_store_b128 off, v[67:70], off offset:80
	v_add_co_u32 v61, vcc_lo, s2, v61
	v_lshlrev_b64 v[65:66], 3, v[114:115]
	v_add_co_ci_u32_e32 v62, vcc_lo, s3, v62, vcc_lo
	v_add_co_u32 v63, vcc_lo, s2, v71
	v_add_co_ci_u32_e32 v64, vcc_lo, s3, v72, vcc_lo
	v_lshlrev_b64 v[69:70], 3, v[116:117]
	v_add_co_u32 v67, vcc_lo, s2, v65
	v_add_co_ci_u32_e32 v68, vcc_lo, s3, v66, vcc_lo
	v_lshlrev_b64 v[65:66], 3, v[118:119]
	s_delay_alu instid0(VALU_DEP_4) | instskip(SKIP_2) | instid1(VALU_DEP_4)
	v_add_co_u32 v69, vcc_lo, s2, v69
	v_lshlrev_b64 v[73:74], 3, v[120:121]
	v_add_co_ci_u32_e32 v70, vcc_lo, s3, v70, vcc_lo
	v_add_co_u32 v71, vcc_lo, s2, v65
	v_add_co_ci_u32_e32 v72, vcc_lo, s3, v66, vcc_lo
	s_delay_alu instid0(VALU_DEP_4)
	v_add_co_u32 v65, vcc_lo, s2, v73
	v_add_co_ci_u32_e32 v66, vcc_lo, s3, v74, vcc_lo
	s_clause 0x3
	global_load_b64 v[106:107], v[53:54], off
	global_load_b64 v[108:109], v[55:56], off
	;; [unrolled: 1-line block ×4, first 2 shown]
	s_waitcnt vmcnt(16)
	scratch_store_b128 off, v[76:79], off offset:96
	s_clause 0x2
	global_load_b64 v[114:115], v[61:62], off
	global_load_b64 v[76:77], v[63:64], off
	;; [unrolled: 1-line block ×3, first 2 shown]
	s_waitcnt vmcnt(17)
	scratch_store_b128 off, v[80:83], off offset:112
	s_clause 0x2
	global_load_b64 v[80:81], v[69:70], off
	global_load_b64 v[82:83], v[71:72], off
	global_load_b64 v[88:89], v[65:66], off
	v_mov_b32_e32 v73, 0
	v_mov_b32_e32 v74, 0xbff00000
	s_cselect_b32 s2, -1, 0
	s_cmpk_eq_i32 s1, 0x84
	s_waitcnt vmcnt(17)
	scratch_store_b128 off, v[84:87], off offset:128
	s_waitcnt vmcnt(15)
	scratch_store_b128 off, v[92:95], off offset:144
	s_waitcnt vmcnt(13)
	scratch_store_b128 off, v[96:99], off offset:160
	s_waitcnt vmcnt(11)
	scratch_store_b128 off, v[100:103], off offset:176
	s_waitcnt vmcnt(9)
	scratch_store_b128 off, v[104:107], off offset:192
	s_waitcnt vmcnt(7)
	scratch_store_b128 off, v[108:111], off offset:208
	s_waitcnt vmcnt(5)
	scratch_store_b128 off, v[112:115], off offset:224
	s_waitcnt vmcnt(3)
	scratch_store_b128 off, v[76:79], off offset:240
	s_waitcnt vmcnt(1)
	scratch_store_b128 off, v[80:83], off offset:256
	s_waitcnt vmcnt(0)
	scratch_store_b128 off, v[88:91], off offset:272
	s_cbranch_scc1 .LBB99_3
; %bb.2:
	scratch_load_b64 v[73:74], v75, off
	s_waitcnt vmcnt(0)
	v_div_scale_f64 v[76:77], null, v[73:74], v[73:74], 1.0
	v_div_scale_f64 v[82:83], vcc_lo, 1.0, v[73:74], 1.0
	s_delay_alu instid0(VALU_DEP_2) | instskip(SKIP_2) | instid1(VALU_DEP_1)
	v_rcp_f64_e32 v[78:79], v[76:77]
	s_waitcnt_depctr 0xfff
	v_fma_f64 v[80:81], -v[76:77], v[78:79], 1.0
	v_fma_f64 v[78:79], v[78:79], v[80:81], v[78:79]
	s_delay_alu instid0(VALU_DEP_1) | instskip(NEXT) | instid1(VALU_DEP_1)
	v_fma_f64 v[80:81], -v[76:77], v[78:79], 1.0
	v_fma_f64 v[78:79], v[78:79], v[80:81], v[78:79]
	s_delay_alu instid0(VALU_DEP_1) | instskip(NEXT) | instid1(VALU_DEP_1)
	v_mul_f64 v[80:81], v[82:83], v[78:79]
	v_fma_f64 v[76:77], -v[76:77], v[80:81], v[82:83]
	s_delay_alu instid0(VALU_DEP_1) | instskip(NEXT) | instid1(VALU_DEP_1)
	v_div_fmas_f64 v[76:77], v[76:77], v[78:79], v[80:81]
	v_div_fixup_f64 v[73:74], v[76:77], v[73:74], 1.0
	scratch_store_b64 v75, v[73:74], off
	v_xor_b32_e32 v74, 0x80000000, v74
.LBB99_3:
	v_add_nc_u32_e32 v76, 0x120, v75
	v_add_nc_u32_e32 v77, 0, v75
	s_cmpk_eq_i32 s0, 0x79
	s_mov_b32 s0, -1
	ds_store_b64 v75, v[73:74]
	s_cbranch_scc1 .LBB99_349
; %bb.4:
	scratch_load_b64 v[73:74], off, off offset:272
	v_cmp_eq_u32_e64 s0, 35, v0
	s_movk_i32 s1, 0x50
	s_movk_i32 s3, 0x60
	;; [unrolled: 1-line block ×12, first 2 shown]
	s_waitcnt vmcnt(0)
	ds_store_b64 v76, v[73:74]
	s_waitcnt lgkmcnt(0)
	s_waitcnt_vscnt null, 0x0
	s_barrier
	buffer_gl0_inv
	s_and_saveexec_b32 s14, s0
	s_cbranch_execz .LBB99_10
; %bb.5:
	s_and_b32 vcc_lo, exec_lo, s2
	s_cbranch_vccz .LBB99_7
; %bb.6:
	scratch_load_b64 v[73:74], v77, off
	ds_load_b64 v[78:79], v76
	s_waitcnt vmcnt(0) lgkmcnt(0)
	v_mul_f64 v[73:74], v[73:74], v[78:79]
	s_cbranch_execz .LBB99_8
	s_branch .LBB99_9
.LBB99_7:
                                        ; implicit-def: $vgpr73_vgpr74
.LBB99_8:
	ds_load_b64 v[73:74], v76
.LBB99_9:
	v_mov_b32_e32 v78, 0
	ds_load_b64 v[78:79], v78 offset:272
	s_waitcnt lgkmcnt(0)
	v_mul_f64 v[73:74], v[73:74], v[78:79]
	scratch_store_b64 off, v[73:74], off offset:272
.LBB99_10:
	s_or_b32 exec_lo, exec_lo, s14
	scratch_load_b64 v[73:74], off, off offset:264
	v_add_nc_u32_e64 v78, 0, 16
	v_add_nc_u32_e64 v79, 0, 32
	;; [unrolled: 1-line block ×16, first 2 shown]
	v_cmp_lt_u32_e64 s1, 33, v0
	s_waitcnt vmcnt(0)
	ds_store_b64 v76, v[73:74]
	s_waitcnt lgkmcnt(0)
	s_waitcnt_vscnt null, 0x0
	s_barrier
	buffer_gl0_inv
	s_and_saveexec_b32 s3, s1
	s_cbranch_execz .LBB99_18
; %bb.11:
	s_and_not1_b32 vcc_lo, exec_lo, s2
	s_cbranch_vccnz .LBB99_13
; %bb.12:
	scratch_load_b64 v[73:74], v77, off
	ds_load_b64 v[94:95], v76
	s_waitcnt vmcnt(0) lgkmcnt(0)
	v_mul_f64 v[73:74], v[73:74], v[94:95]
	s_cbranch_execz .LBB99_14
	s_branch .LBB99_15
.LBB99_13:
                                        ; implicit-def: $vgpr73_vgpr74
.LBB99_14:
	ds_load_b64 v[73:74], v76
.LBB99_15:
	s_and_saveexec_b32 s4, s0
	s_cbranch_execz .LBB99_17
; %bb.16:
	scratch_load_b64 v[94:95], off, off offset:272
	v_mov_b32_e32 v96, 0
	ds_load_b64 v[96:97], v96 offset:560
	s_waitcnt vmcnt(0) lgkmcnt(0)
	v_fma_f64 v[73:74], v[94:95], v[96:97], v[73:74]
.LBB99_17:
	s_or_b32 exec_lo, exec_lo, s4
	v_mov_b32_e32 v94, 0
	ds_load_b64 v[94:95], v94 offset:264
	s_waitcnt lgkmcnt(0)
	v_mul_f64 v[73:74], v[73:74], v[94:95]
	scratch_store_b64 off, v[73:74], off offset:264
.LBB99_18:
	s_or_b32 exec_lo, exec_lo, s3
	scratch_load_b64 v[73:74], off, off offset:256
	v_cmp_lt_u32_e64 s0, 32, v0
	s_waitcnt vmcnt(0)
	ds_store_b64 v76, v[73:74]
	s_waitcnt lgkmcnt(0)
	s_waitcnt_vscnt null, 0x0
	s_barrier
	buffer_gl0_inv
	s_and_saveexec_b32 s3, s0
	s_cbranch_execz .LBB99_28
; %bb.19:
	s_and_not1_b32 vcc_lo, exec_lo, s2
	s_cbranch_vccnz .LBB99_21
; %bb.20:
	scratch_load_b64 v[73:74], v77, off
	ds_load_b64 v[94:95], v76
	s_waitcnt vmcnt(0) lgkmcnt(0)
	v_mul_f64 v[73:74], v[73:74], v[94:95]
	s_cbranch_execz .LBB99_22
	s_branch .LBB99_23
.LBB99_21:
                                        ; implicit-def: $vgpr73_vgpr74
.LBB99_22:
	ds_load_b64 v[73:74], v76
.LBB99_23:
	s_and_saveexec_b32 s4, s1
	s_cbranch_execz .LBB99_27
; %bb.24:
	v_mov_b32_e32 v94, 0
	v_subrev_nc_u32_e32 v95, 33, v0
	s_movk_i32 s5, 0x228
	s_mov_b32 s1, 0
	s_delay_alu instid0(VALU_DEP_2)
	v_add_nc_u32_e32 v94, 0x108, v94
.LBB99_25:                              ; =>This Inner Loop Header: Depth=1
	scratch_load_b64 v[96:97], v94, off
	v_dual_mov_b32 v98, s5 :: v_dual_add_nc_u32 v95, -1, v95
	v_add_nc_u32_e32 v94, 8, v94
	s_add_i32 s5, s5, 8
	ds_load_b64 v[98:99], v98
	v_cmp_eq_u32_e32 vcc_lo, 0, v95
	s_or_b32 s1, vcc_lo, s1
	s_waitcnt vmcnt(0) lgkmcnt(0)
	v_fma_f64 v[73:74], v[96:97], v[98:99], v[73:74]
	s_and_not1_b32 exec_lo, exec_lo, s1
	s_cbranch_execnz .LBB99_25
; %bb.26:
	s_or_b32 exec_lo, exec_lo, s1
.LBB99_27:
	s_delay_alu instid0(SALU_CYCLE_1)
	s_or_b32 exec_lo, exec_lo, s4
	v_mov_b32_e32 v94, 0
	ds_load_b64 v[94:95], v94 offset:256
	s_waitcnt lgkmcnt(0)
	v_mul_f64 v[73:74], v[73:74], v[94:95]
	scratch_store_b64 off, v[73:74], off offset:256
.LBB99_28:
	s_or_b32 exec_lo, exec_lo, s3
	scratch_load_b64 v[73:74], off, off offset:248
	v_cmp_lt_u32_e64 s1, 31, v0
	s_waitcnt vmcnt(0)
	ds_store_b64 v76, v[73:74]
	s_waitcnt lgkmcnt(0)
	s_waitcnt_vscnt null, 0x0
	s_barrier
	buffer_gl0_inv
	s_and_saveexec_b32 s3, s1
	s_cbranch_execz .LBB99_38
; %bb.29:
	s_and_not1_b32 vcc_lo, exec_lo, s2
	s_cbranch_vccnz .LBB99_31
; %bb.30:
	scratch_load_b64 v[73:74], v77, off
	ds_load_b64 v[94:95], v76
	s_waitcnt vmcnt(0) lgkmcnt(0)
	v_mul_f64 v[73:74], v[73:74], v[94:95]
	s_cbranch_execz .LBB99_32
	s_branch .LBB99_33
.LBB99_31:
                                        ; implicit-def: $vgpr73_vgpr74
.LBB99_32:
	ds_load_b64 v[73:74], v76
.LBB99_33:
	s_and_saveexec_b32 s4, s0
	s_cbranch_execz .LBB99_37
; %bb.34:
	v_subrev_nc_u32_e32 v94, 32, v0
	s_movk_i32 s5, 0x220
	s_mov_b32 s0, 0
.LBB99_35:                              ; =>This Inner Loop Header: Depth=1
	scratch_load_b64 v[95:96], v93, off
	v_dual_mov_b32 v97, s5 :: v_dual_add_nc_u32 v94, -1, v94
	v_add_nc_u32_e32 v93, 8, v93
	s_add_i32 s5, s5, 8
	ds_load_b64 v[97:98], v97
	v_cmp_eq_u32_e32 vcc_lo, 0, v94
	s_or_b32 s0, vcc_lo, s0
	s_waitcnt vmcnt(0) lgkmcnt(0)
	v_fma_f64 v[73:74], v[95:96], v[97:98], v[73:74]
	s_and_not1_b32 exec_lo, exec_lo, s0
	s_cbranch_execnz .LBB99_35
; %bb.36:
	s_or_b32 exec_lo, exec_lo, s0
.LBB99_37:
	s_delay_alu instid0(SALU_CYCLE_1)
	s_or_b32 exec_lo, exec_lo, s4
	v_mov_b32_e32 v93, 0
	ds_load_b64 v[93:94], v93 offset:248
	s_waitcnt lgkmcnt(0)
	v_mul_f64 v[73:74], v[73:74], v[93:94]
	scratch_store_b64 off, v[73:74], off offset:248
.LBB99_38:
	s_or_b32 exec_lo, exec_lo, s3
	scratch_load_b64 v[73:74], off, off offset:240
	v_cmp_lt_u32_e64 s0, 30, v0
	s_waitcnt vmcnt(0)
	ds_store_b64 v76, v[73:74]
	s_waitcnt lgkmcnt(0)
	s_waitcnt_vscnt null, 0x0
	s_barrier
	buffer_gl0_inv
	s_and_saveexec_b32 s3, s0
	s_cbranch_execz .LBB99_48
; %bb.39:
	s_and_not1_b32 vcc_lo, exec_lo, s2
	s_cbranch_vccnz .LBB99_41
; %bb.40:
	scratch_load_b64 v[73:74], v77, off
	ds_load_b64 v[93:94], v76
	s_waitcnt vmcnt(0) lgkmcnt(0)
	v_mul_f64 v[73:74], v[73:74], v[93:94]
	s_cbranch_execz .LBB99_42
	s_branch .LBB99_43
.LBB99_41:
                                        ; implicit-def: $vgpr73_vgpr74
.LBB99_42:
	ds_load_b64 v[73:74], v76
.LBB99_43:
	s_and_saveexec_b32 s4, s1
	s_cbranch_execz .LBB99_47
; %bb.44:
	v_mov_b32_e32 v93, 0
	v_subrev_nc_u32_e32 v94, 31, v0
	s_movk_i32 s5, 0x218
	s_mov_b32 s1, 0
	s_delay_alu instid0(VALU_DEP_2)
	v_add_nc_u32_e32 v93, 0xf8, v93
.LBB99_45:                              ; =>This Inner Loop Header: Depth=1
	scratch_load_b64 v[95:96], v93, off
	v_dual_mov_b32 v97, s5 :: v_dual_add_nc_u32 v94, -1, v94
	v_add_nc_u32_e32 v93, 8, v93
	s_add_i32 s5, s5, 8
	ds_load_b64 v[97:98], v97
	v_cmp_eq_u32_e32 vcc_lo, 0, v94
	s_or_b32 s1, vcc_lo, s1
	s_waitcnt vmcnt(0) lgkmcnt(0)
	v_fma_f64 v[73:74], v[95:96], v[97:98], v[73:74]
	s_and_not1_b32 exec_lo, exec_lo, s1
	s_cbranch_execnz .LBB99_45
; %bb.46:
	s_or_b32 exec_lo, exec_lo, s1
.LBB99_47:
	s_delay_alu instid0(SALU_CYCLE_1)
	s_or_b32 exec_lo, exec_lo, s4
	v_mov_b32_e32 v93, 0
	ds_load_b64 v[93:94], v93 offset:240
	s_waitcnt lgkmcnt(0)
	v_mul_f64 v[73:74], v[73:74], v[93:94]
	scratch_store_b64 off, v[73:74], off offset:240
.LBB99_48:
	s_or_b32 exec_lo, exec_lo, s3
	scratch_load_b64 v[73:74], off, off offset:232
	v_cmp_lt_u32_e64 s1, 29, v0
	s_waitcnt vmcnt(0)
	ds_store_b64 v76, v[73:74]
	s_waitcnt lgkmcnt(0)
	s_waitcnt_vscnt null, 0x0
	s_barrier
	buffer_gl0_inv
	s_and_saveexec_b32 s3, s1
	s_cbranch_execz .LBB99_58
; %bb.49:
	s_and_not1_b32 vcc_lo, exec_lo, s2
	s_cbranch_vccnz .LBB99_51
; %bb.50:
	scratch_load_b64 v[73:74], v77, off
	ds_load_b64 v[93:94], v76
	s_waitcnt vmcnt(0) lgkmcnt(0)
	v_mul_f64 v[73:74], v[73:74], v[93:94]
	s_cbranch_execz .LBB99_52
	s_branch .LBB99_53
.LBB99_51:
                                        ; implicit-def: $vgpr73_vgpr74
.LBB99_52:
	ds_load_b64 v[73:74], v76
.LBB99_53:
	s_and_saveexec_b32 s4, s0
	s_cbranch_execz .LBB99_57
; %bb.54:
	v_subrev_nc_u32_e32 v93, 30, v0
	s_movk_i32 s5, 0x210
	s_mov_b32 s0, 0
.LBB99_55:                              ; =>This Inner Loop Header: Depth=1
	scratch_load_b64 v[94:95], v92, off
	v_dual_mov_b32 v96, s5 :: v_dual_add_nc_u32 v93, -1, v93
	v_add_nc_u32_e32 v92, 8, v92
	s_add_i32 s5, s5, 8
	ds_load_b64 v[96:97], v96
	v_cmp_eq_u32_e32 vcc_lo, 0, v93
	s_or_b32 s0, vcc_lo, s0
	s_waitcnt vmcnt(0) lgkmcnt(0)
	v_fma_f64 v[73:74], v[94:95], v[96:97], v[73:74]
	s_and_not1_b32 exec_lo, exec_lo, s0
	s_cbranch_execnz .LBB99_55
; %bb.56:
	s_or_b32 exec_lo, exec_lo, s0
.LBB99_57:
	s_delay_alu instid0(SALU_CYCLE_1)
	s_or_b32 exec_lo, exec_lo, s4
	v_mov_b32_e32 v92, 0
	ds_load_b64 v[92:93], v92 offset:232
	s_waitcnt lgkmcnt(0)
	v_mul_f64 v[73:74], v[73:74], v[92:93]
	scratch_store_b64 off, v[73:74], off offset:232
.LBB99_58:
	s_or_b32 exec_lo, exec_lo, s3
	scratch_load_b64 v[73:74], off, off offset:224
	v_cmp_lt_u32_e64 s0, 28, v0
	s_waitcnt vmcnt(0)
	ds_store_b64 v76, v[73:74]
	s_waitcnt lgkmcnt(0)
	s_waitcnt_vscnt null, 0x0
	s_barrier
	buffer_gl0_inv
	s_and_saveexec_b32 s3, s0
	s_cbranch_execz .LBB99_68
; %bb.59:
	s_and_not1_b32 vcc_lo, exec_lo, s2
	s_cbranch_vccnz .LBB99_61
; %bb.60:
	scratch_load_b64 v[73:74], v77, off
	ds_load_b64 v[92:93], v76
	s_waitcnt vmcnt(0) lgkmcnt(0)
	v_mul_f64 v[73:74], v[73:74], v[92:93]
	s_cbranch_execz .LBB99_62
	s_branch .LBB99_63
.LBB99_61:
                                        ; implicit-def: $vgpr73_vgpr74
.LBB99_62:
	ds_load_b64 v[73:74], v76
.LBB99_63:
	s_and_saveexec_b32 s4, s1
	s_cbranch_execz .LBB99_67
; %bb.64:
	v_mov_b32_e32 v92, 0
	v_subrev_nc_u32_e32 v93, 29, v0
	s_movk_i32 s5, 0x208
	s_mov_b32 s1, 0
	s_delay_alu instid0(VALU_DEP_2)
	v_add_nc_u32_e32 v92, 0xe8, v92
.LBB99_65:                              ; =>This Inner Loop Header: Depth=1
	scratch_load_b64 v[94:95], v92, off
	v_dual_mov_b32 v96, s5 :: v_dual_add_nc_u32 v93, -1, v93
	v_add_nc_u32_e32 v92, 8, v92
	s_add_i32 s5, s5, 8
	ds_load_b64 v[96:97], v96
	v_cmp_eq_u32_e32 vcc_lo, 0, v93
	s_or_b32 s1, vcc_lo, s1
	s_waitcnt vmcnt(0) lgkmcnt(0)
	v_fma_f64 v[73:74], v[94:95], v[96:97], v[73:74]
	s_and_not1_b32 exec_lo, exec_lo, s1
	s_cbranch_execnz .LBB99_65
; %bb.66:
	s_or_b32 exec_lo, exec_lo, s1
.LBB99_67:
	s_delay_alu instid0(SALU_CYCLE_1)
	s_or_b32 exec_lo, exec_lo, s4
	v_mov_b32_e32 v92, 0
	ds_load_b64 v[92:93], v92 offset:224
	s_waitcnt lgkmcnt(0)
	v_mul_f64 v[73:74], v[73:74], v[92:93]
	scratch_store_b64 off, v[73:74], off offset:224
.LBB99_68:
	s_or_b32 exec_lo, exec_lo, s3
	scratch_load_b64 v[73:74], off, off offset:216
	v_cmp_lt_u32_e64 s1, 27, v0
	s_waitcnt vmcnt(0)
	ds_store_b64 v76, v[73:74]
	s_waitcnt lgkmcnt(0)
	s_waitcnt_vscnt null, 0x0
	s_barrier
	buffer_gl0_inv
	s_and_saveexec_b32 s3, s1
	s_cbranch_execz .LBB99_78
; %bb.69:
	s_and_not1_b32 vcc_lo, exec_lo, s2
	s_cbranch_vccnz .LBB99_71
; %bb.70:
	scratch_load_b64 v[73:74], v77, off
	ds_load_b64 v[92:93], v76
	s_waitcnt vmcnt(0) lgkmcnt(0)
	v_mul_f64 v[73:74], v[73:74], v[92:93]
	s_cbranch_execz .LBB99_72
	s_branch .LBB99_73
.LBB99_71:
                                        ; implicit-def: $vgpr73_vgpr74
.LBB99_72:
	ds_load_b64 v[73:74], v76
.LBB99_73:
	s_and_saveexec_b32 s4, s0
	s_cbranch_execz .LBB99_77
; %bb.74:
	v_subrev_nc_u32_e32 v92, 28, v0
	s_movk_i32 s5, 0x200
	s_mov_b32 s0, 0
.LBB99_75:                              ; =>This Inner Loop Header: Depth=1
	scratch_load_b64 v[93:94], v91, off
	v_dual_mov_b32 v95, s5 :: v_dual_add_nc_u32 v92, -1, v92
	v_add_nc_u32_e32 v91, 8, v91
	s_add_i32 s5, s5, 8
	ds_load_b64 v[95:96], v95
	v_cmp_eq_u32_e32 vcc_lo, 0, v92
	s_or_b32 s0, vcc_lo, s0
	s_waitcnt vmcnt(0) lgkmcnt(0)
	v_fma_f64 v[73:74], v[93:94], v[95:96], v[73:74]
	s_and_not1_b32 exec_lo, exec_lo, s0
	s_cbranch_execnz .LBB99_75
; %bb.76:
	s_or_b32 exec_lo, exec_lo, s0
.LBB99_77:
	s_delay_alu instid0(SALU_CYCLE_1)
	s_or_b32 exec_lo, exec_lo, s4
	v_mov_b32_e32 v91, 0
	ds_load_b64 v[91:92], v91 offset:216
	s_waitcnt lgkmcnt(0)
	v_mul_f64 v[73:74], v[73:74], v[91:92]
	scratch_store_b64 off, v[73:74], off offset:216
.LBB99_78:
	s_or_b32 exec_lo, exec_lo, s3
	scratch_load_b64 v[73:74], off, off offset:208
	v_cmp_lt_u32_e64 s0, 26, v0
	s_waitcnt vmcnt(0)
	ds_store_b64 v76, v[73:74]
	s_waitcnt lgkmcnt(0)
	s_waitcnt_vscnt null, 0x0
	s_barrier
	buffer_gl0_inv
	s_and_saveexec_b32 s3, s0
	s_cbranch_execz .LBB99_88
; %bb.79:
	s_and_not1_b32 vcc_lo, exec_lo, s2
	s_cbranch_vccnz .LBB99_81
; %bb.80:
	scratch_load_b64 v[73:74], v77, off
	ds_load_b64 v[91:92], v76
	s_waitcnt vmcnt(0) lgkmcnt(0)
	v_mul_f64 v[73:74], v[73:74], v[91:92]
	s_cbranch_execz .LBB99_82
	s_branch .LBB99_83
.LBB99_81:
                                        ; implicit-def: $vgpr73_vgpr74
.LBB99_82:
	ds_load_b64 v[73:74], v76
.LBB99_83:
	s_and_saveexec_b32 s4, s1
	s_cbranch_execz .LBB99_87
; %bb.84:
	v_mov_b32_e32 v91, 0
	v_subrev_nc_u32_e32 v92, 27, v0
	s_movk_i32 s5, 0x1f8
	s_mov_b32 s1, 0
	s_delay_alu instid0(VALU_DEP_2)
	v_add_nc_u32_e32 v91, 0xd8, v91
.LBB99_85:                              ; =>This Inner Loop Header: Depth=1
	scratch_load_b64 v[93:94], v91, off
	v_dual_mov_b32 v95, s5 :: v_dual_add_nc_u32 v92, -1, v92
	v_add_nc_u32_e32 v91, 8, v91
	s_add_i32 s5, s5, 8
	ds_load_b64 v[95:96], v95
	v_cmp_eq_u32_e32 vcc_lo, 0, v92
	s_or_b32 s1, vcc_lo, s1
	s_waitcnt vmcnt(0) lgkmcnt(0)
	v_fma_f64 v[73:74], v[93:94], v[95:96], v[73:74]
	s_and_not1_b32 exec_lo, exec_lo, s1
	s_cbranch_execnz .LBB99_85
; %bb.86:
	s_or_b32 exec_lo, exec_lo, s1
.LBB99_87:
	s_delay_alu instid0(SALU_CYCLE_1)
	s_or_b32 exec_lo, exec_lo, s4
	v_mov_b32_e32 v91, 0
	ds_load_b64 v[91:92], v91 offset:208
	s_waitcnt lgkmcnt(0)
	v_mul_f64 v[73:74], v[73:74], v[91:92]
	scratch_store_b64 off, v[73:74], off offset:208
.LBB99_88:
	s_or_b32 exec_lo, exec_lo, s3
	scratch_load_b64 v[73:74], off, off offset:200
	v_cmp_lt_u32_e64 s1, 25, v0
	s_waitcnt vmcnt(0)
	ds_store_b64 v76, v[73:74]
	s_waitcnt lgkmcnt(0)
	s_waitcnt_vscnt null, 0x0
	s_barrier
	buffer_gl0_inv
	s_and_saveexec_b32 s3, s1
	s_cbranch_execz .LBB99_98
; %bb.89:
	s_and_not1_b32 vcc_lo, exec_lo, s2
	s_cbranch_vccnz .LBB99_91
; %bb.90:
	scratch_load_b64 v[73:74], v77, off
	ds_load_b64 v[91:92], v76
	s_waitcnt vmcnt(0) lgkmcnt(0)
	v_mul_f64 v[73:74], v[73:74], v[91:92]
	s_cbranch_execz .LBB99_92
	s_branch .LBB99_93
.LBB99_91:
                                        ; implicit-def: $vgpr73_vgpr74
.LBB99_92:
	ds_load_b64 v[73:74], v76
.LBB99_93:
	s_and_saveexec_b32 s4, s0
	s_cbranch_execz .LBB99_97
; %bb.94:
	v_subrev_nc_u32_e32 v91, 26, v0
	s_movk_i32 s5, 0x1f0
	s_mov_b32 s0, 0
.LBB99_95:                              ; =>This Inner Loop Header: Depth=1
	scratch_load_b64 v[92:93], v90, off
	v_dual_mov_b32 v94, s5 :: v_dual_add_nc_u32 v91, -1, v91
	v_add_nc_u32_e32 v90, 8, v90
	s_add_i32 s5, s5, 8
	ds_load_b64 v[94:95], v94
	v_cmp_eq_u32_e32 vcc_lo, 0, v91
	s_or_b32 s0, vcc_lo, s0
	s_waitcnt vmcnt(0) lgkmcnt(0)
	v_fma_f64 v[73:74], v[92:93], v[94:95], v[73:74]
	s_and_not1_b32 exec_lo, exec_lo, s0
	s_cbranch_execnz .LBB99_95
; %bb.96:
	s_or_b32 exec_lo, exec_lo, s0
.LBB99_97:
	s_delay_alu instid0(SALU_CYCLE_1)
	s_or_b32 exec_lo, exec_lo, s4
	v_mov_b32_e32 v90, 0
	ds_load_b64 v[90:91], v90 offset:200
	s_waitcnt lgkmcnt(0)
	v_mul_f64 v[73:74], v[73:74], v[90:91]
	scratch_store_b64 off, v[73:74], off offset:200
.LBB99_98:
	s_or_b32 exec_lo, exec_lo, s3
	scratch_load_b64 v[73:74], off, off offset:192
	v_cmp_lt_u32_e64 s0, 24, v0
	s_waitcnt vmcnt(0)
	ds_store_b64 v76, v[73:74]
	s_waitcnt lgkmcnt(0)
	s_waitcnt_vscnt null, 0x0
	s_barrier
	buffer_gl0_inv
	s_and_saveexec_b32 s3, s0
	s_cbranch_execz .LBB99_108
; %bb.99:
	s_and_not1_b32 vcc_lo, exec_lo, s2
	s_cbranch_vccnz .LBB99_101
; %bb.100:
	scratch_load_b64 v[73:74], v77, off
	ds_load_b64 v[90:91], v76
	s_waitcnt vmcnt(0) lgkmcnt(0)
	v_mul_f64 v[73:74], v[73:74], v[90:91]
	s_cbranch_execz .LBB99_102
	s_branch .LBB99_103
.LBB99_101:
                                        ; implicit-def: $vgpr73_vgpr74
.LBB99_102:
	ds_load_b64 v[73:74], v76
.LBB99_103:
	s_and_saveexec_b32 s4, s1
	s_cbranch_execz .LBB99_107
; %bb.104:
	v_mov_b32_e32 v90, 0
	v_subrev_nc_u32_e32 v91, 25, v0
	s_movk_i32 s5, 0x1e8
	s_mov_b32 s1, 0
	s_delay_alu instid0(VALU_DEP_2)
	v_add_nc_u32_e32 v90, 0xc8, v90
.LBB99_105:                             ; =>This Inner Loop Header: Depth=1
	scratch_load_b64 v[92:93], v90, off
	v_dual_mov_b32 v94, s5 :: v_dual_add_nc_u32 v91, -1, v91
	v_add_nc_u32_e32 v90, 8, v90
	s_add_i32 s5, s5, 8
	ds_load_b64 v[94:95], v94
	v_cmp_eq_u32_e32 vcc_lo, 0, v91
	s_or_b32 s1, vcc_lo, s1
	s_waitcnt vmcnt(0) lgkmcnt(0)
	v_fma_f64 v[73:74], v[92:93], v[94:95], v[73:74]
	s_and_not1_b32 exec_lo, exec_lo, s1
	s_cbranch_execnz .LBB99_105
; %bb.106:
	s_or_b32 exec_lo, exec_lo, s1
.LBB99_107:
	s_delay_alu instid0(SALU_CYCLE_1)
	s_or_b32 exec_lo, exec_lo, s4
	v_mov_b32_e32 v90, 0
	ds_load_b64 v[90:91], v90 offset:192
	s_waitcnt lgkmcnt(0)
	v_mul_f64 v[73:74], v[73:74], v[90:91]
	scratch_store_b64 off, v[73:74], off offset:192
.LBB99_108:
	s_or_b32 exec_lo, exec_lo, s3
	scratch_load_b64 v[73:74], off, off offset:184
	v_cmp_lt_u32_e64 s1, 23, v0
	s_waitcnt vmcnt(0)
	ds_store_b64 v76, v[73:74]
	s_waitcnt lgkmcnt(0)
	s_waitcnt_vscnt null, 0x0
	s_barrier
	buffer_gl0_inv
	s_and_saveexec_b32 s3, s1
	s_cbranch_execz .LBB99_118
; %bb.109:
	s_and_not1_b32 vcc_lo, exec_lo, s2
	s_cbranch_vccnz .LBB99_111
; %bb.110:
	scratch_load_b64 v[73:74], v77, off
	ds_load_b64 v[90:91], v76
	s_waitcnt vmcnt(0) lgkmcnt(0)
	v_mul_f64 v[73:74], v[73:74], v[90:91]
	s_cbranch_execz .LBB99_112
	s_branch .LBB99_113
.LBB99_111:
                                        ; implicit-def: $vgpr73_vgpr74
.LBB99_112:
	ds_load_b64 v[73:74], v76
.LBB99_113:
	s_and_saveexec_b32 s4, s0
	s_cbranch_execz .LBB99_117
; %bb.114:
	v_subrev_nc_u32_e32 v90, 24, v0
	s_movk_i32 s5, 0x1e0
	s_mov_b32 s0, 0
.LBB99_115:                             ; =>This Inner Loop Header: Depth=1
	scratch_load_b64 v[91:92], v89, off
	v_dual_mov_b32 v93, s5 :: v_dual_add_nc_u32 v90, -1, v90
	v_add_nc_u32_e32 v89, 8, v89
	s_add_i32 s5, s5, 8
	ds_load_b64 v[93:94], v93
	v_cmp_eq_u32_e32 vcc_lo, 0, v90
	s_or_b32 s0, vcc_lo, s0
	s_waitcnt vmcnt(0) lgkmcnt(0)
	v_fma_f64 v[73:74], v[91:92], v[93:94], v[73:74]
	s_and_not1_b32 exec_lo, exec_lo, s0
	s_cbranch_execnz .LBB99_115
; %bb.116:
	s_or_b32 exec_lo, exec_lo, s0
.LBB99_117:
	s_delay_alu instid0(SALU_CYCLE_1)
	s_or_b32 exec_lo, exec_lo, s4
	v_mov_b32_e32 v89, 0
	ds_load_b64 v[89:90], v89 offset:184
	s_waitcnt lgkmcnt(0)
	v_mul_f64 v[73:74], v[73:74], v[89:90]
	scratch_store_b64 off, v[73:74], off offset:184
.LBB99_118:
	s_or_b32 exec_lo, exec_lo, s3
	scratch_load_b64 v[73:74], off, off offset:176
	v_cmp_lt_u32_e64 s0, 22, v0
	s_waitcnt vmcnt(0)
	ds_store_b64 v76, v[73:74]
	s_waitcnt lgkmcnt(0)
	s_waitcnt_vscnt null, 0x0
	s_barrier
	buffer_gl0_inv
	s_and_saveexec_b32 s3, s0
	s_cbranch_execz .LBB99_128
; %bb.119:
	s_and_not1_b32 vcc_lo, exec_lo, s2
	s_cbranch_vccnz .LBB99_121
; %bb.120:
	scratch_load_b64 v[73:74], v77, off
	ds_load_b64 v[89:90], v76
	s_waitcnt vmcnt(0) lgkmcnt(0)
	v_mul_f64 v[73:74], v[73:74], v[89:90]
	s_cbranch_execz .LBB99_122
	s_branch .LBB99_123
.LBB99_121:
                                        ; implicit-def: $vgpr73_vgpr74
.LBB99_122:
	ds_load_b64 v[73:74], v76
.LBB99_123:
	s_and_saveexec_b32 s4, s1
	s_cbranch_execz .LBB99_127
; %bb.124:
	v_mov_b32_e32 v89, 0
	v_subrev_nc_u32_e32 v90, 23, v0
	s_movk_i32 s5, 0x1d8
	s_mov_b32 s1, 0
	s_delay_alu instid0(VALU_DEP_2)
	v_add_nc_u32_e32 v89, 0xb8, v89
.LBB99_125:                             ; =>This Inner Loop Header: Depth=1
	scratch_load_b64 v[91:92], v89, off
	v_dual_mov_b32 v93, s5 :: v_dual_add_nc_u32 v90, -1, v90
	v_add_nc_u32_e32 v89, 8, v89
	s_add_i32 s5, s5, 8
	ds_load_b64 v[93:94], v93
	v_cmp_eq_u32_e32 vcc_lo, 0, v90
	s_or_b32 s1, vcc_lo, s1
	s_waitcnt vmcnt(0) lgkmcnt(0)
	v_fma_f64 v[73:74], v[91:92], v[93:94], v[73:74]
	s_and_not1_b32 exec_lo, exec_lo, s1
	s_cbranch_execnz .LBB99_125
; %bb.126:
	s_or_b32 exec_lo, exec_lo, s1
.LBB99_127:
	s_delay_alu instid0(SALU_CYCLE_1)
	s_or_b32 exec_lo, exec_lo, s4
	v_mov_b32_e32 v89, 0
	ds_load_b64 v[89:90], v89 offset:176
	s_waitcnt lgkmcnt(0)
	v_mul_f64 v[73:74], v[73:74], v[89:90]
	scratch_store_b64 off, v[73:74], off offset:176
.LBB99_128:
	s_or_b32 exec_lo, exec_lo, s3
	scratch_load_b64 v[73:74], off, off offset:168
	v_cmp_lt_u32_e64 s1, 21, v0
	s_waitcnt vmcnt(0)
	ds_store_b64 v76, v[73:74]
	s_waitcnt lgkmcnt(0)
	s_waitcnt_vscnt null, 0x0
	s_barrier
	buffer_gl0_inv
	s_and_saveexec_b32 s3, s1
	s_cbranch_execz .LBB99_138
; %bb.129:
	s_and_not1_b32 vcc_lo, exec_lo, s2
	s_cbranch_vccnz .LBB99_131
; %bb.130:
	scratch_load_b64 v[73:74], v77, off
	ds_load_b64 v[89:90], v76
	s_waitcnt vmcnt(0) lgkmcnt(0)
	v_mul_f64 v[73:74], v[73:74], v[89:90]
	s_cbranch_execz .LBB99_132
	s_branch .LBB99_133
.LBB99_131:
                                        ; implicit-def: $vgpr73_vgpr74
.LBB99_132:
	ds_load_b64 v[73:74], v76
.LBB99_133:
	s_and_saveexec_b32 s4, s0
	s_cbranch_execz .LBB99_137
; %bb.134:
	v_subrev_nc_u32_e32 v89, 22, v0
	s_movk_i32 s5, 0x1d0
	s_mov_b32 s0, 0
.LBB99_135:                             ; =>This Inner Loop Header: Depth=1
	scratch_load_b64 v[90:91], v88, off
	v_dual_mov_b32 v92, s5 :: v_dual_add_nc_u32 v89, -1, v89
	v_add_nc_u32_e32 v88, 8, v88
	s_add_i32 s5, s5, 8
	ds_load_b64 v[92:93], v92
	v_cmp_eq_u32_e32 vcc_lo, 0, v89
	s_or_b32 s0, vcc_lo, s0
	s_waitcnt vmcnt(0) lgkmcnt(0)
	v_fma_f64 v[73:74], v[90:91], v[92:93], v[73:74]
	s_and_not1_b32 exec_lo, exec_lo, s0
	s_cbranch_execnz .LBB99_135
; %bb.136:
	s_or_b32 exec_lo, exec_lo, s0
.LBB99_137:
	s_delay_alu instid0(SALU_CYCLE_1)
	s_or_b32 exec_lo, exec_lo, s4
	v_mov_b32_e32 v88, 0
	ds_load_b64 v[88:89], v88 offset:168
	s_waitcnt lgkmcnt(0)
	v_mul_f64 v[73:74], v[73:74], v[88:89]
	scratch_store_b64 off, v[73:74], off offset:168
.LBB99_138:
	s_or_b32 exec_lo, exec_lo, s3
	scratch_load_b64 v[73:74], off, off offset:160
	v_cmp_lt_u32_e64 s0, 20, v0
	s_waitcnt vmcnt(0)
	ds_store_b64 v76, v[73:74]
	s_waitcnt lgkmcnt(0)
	s_waitcnt_vscnt null, 0x0
	s_barrier
	buffer_gl0_inv
	s_and_saveexec_b32 s3, s0
	s_cbranch_execz .LBB99_148
; %bb.139:
	s_and_not1_b32 vcc_lo, exec_lo, s2
	s_cbranch_vccnz .LBB99_141
; %bb.140:
	scratch_load_b64 v[73:74], v77, off
	ds_load_b64 v[88:89], v76
	s_waitcnt vmcnt(0) lgkmcnt(0)
	v_mul_f64 v[73:74], v[73:74], v[88:89]
	s_cbranch_execz .LBB99_142
	s_branch .LBB99_143
.LBB99_141:
                                        ; implicit-def: $vgpr73_vgpr74
.LBB99_142:
	ds_load_b64 v[73:74], v76
.LBB99_143:
	s_and_saveexec_b32 s4, s1
	s_cbranch_execz .LBB99_147
; %bb.144:
	v_mov_b32_e32 v88, 0
	v_subrev_nc_u32_e32 v89, 21, v0
	s_movk_i32 s5, 0x1c8
	s_mov_b32 s1, 0
	s_delay_alu instid0(VALU_DEP_2)
	v_add_nc_u32_e32 v88, 0xa8, v88
.LBB99_145:                             ; =>This Inner Loop Header: Depth=1
	scratch_load_b64 v[90:91], v88, off
	v_dual_mov_b32 v92, s5 :: v_dual_add_nc_u32 v89, -1, v89
	v_add_nc_u32_e32 v88, 8, v88
	s_add_i32 s5, s5, 8
	ds_load_b64 v[92:93], v92
	v_cmp_eq_u32_e32 vcc_lo, 0, v89
	s_or_b32 s1, vcc_lo, s1
	s_waitcnt vmcnt(0) lgkmcnt(0)
	v_fma_f64 v[73:74], v[90:91], v[92:93], v[73:74]
	s_and_not1_b32 exec_lo, exec_lo, s1
	s_cbranch_execnz .LBB99_145
; %bb.146:
	s_or_b32 exec_lo, exec_lo, s1
.LBB99_147:
	s_delay_alu instid0(SALU_CYCLE_1)
	s_or_b32 exec_lo, exec_lo, s4
	v_mov_b32_e32 v88, 0
	ds_load_b64 v[88:89], v88 offset:160
	s_waitcnt lgkmcnt(0)
	v_mul_f64 v[73:74], v[73:74], v[88:89]
	scratch_store_b64 off, v[73:74], off offset:160
.LBB99_148:
	s_or_b32 exec_lo, exec_lo, s3
	scratch_load_b64 v[73:74], off, off offset:152
	v_cmp_lt_u32_e64 s1, 19, v0
	s_waitcnt vmcnt(0)
	ds_store_b64 v76, v[73:74]
	s_waitcnt lgkmcnt(0)
	s_waitcnt_vscnt null, 0x0
	s_barrier
	buffer_gl0_inv
	s_and_saveexec_b32 s3, s1
	s_cbranch_execz .LBB99_158
; %bb.149:
	s_and_not1_b32 vcc_lo, exec_lo, s2
	s_cbranch_vccnz .LBB99_151
; %bb.150:
	scratch_load_b64 v[73:74], v77, off
	ds_load_b64 v[88:89], v76
	s_waitcnt vmcnt(0) lgkmcnt(0)
	v_mul_f64 v[73:74], v[73:74], v[88:89]
	s_cbranch_execz .LBB99_152
	s_branch .LBB99_153
.LBB99_151:
                                        ; implicit-def: $vgpr73_vgpr74
.LBB99_152:
	ds_load_b64 v[73:74], v76
.LBB99_153:
	s_and_saveexec_b32 s4, s0
	s_cbranch_execz .LBB99_157
; %bb.154:
	v_subrev_nc_u32_e32 v88, 20, v0
	s_movk_i32 s5, 0x1c0
	s_mov_b32 s0, 0
.LBB99_155:                             ; =>This Inner Loop Header: Depth=1
	scratch_load_b64 v[89:90], v87, off
	v_dual_mov_b32 v91, s5 :: v_dual_add_nc_u32 v88, -1, v88
	v_add_nc_u32_e32 v87, 8, v87
	s_add_i32 s5, s5, 8
	ds_load_b64 v[91:92], v91
	v_cmp_eq_u32_e32 vcc_lo, 0, v88
	s_or_b32 s0, vcc_lo, s0
	s_waitcnt vmcnt(0) lgkmcnt(0)
	v_fma_f64 v[73:74], v[89:90], v[91:92], v[73:74]
	s_and_not1_b32 exec_lo, exec_lo, s0
	s_cbranch_execnz .LBB99_155
; %bb.156:
	s_or_b32 exec_lo, exec_lo, s0
.LBB99_157:
	s_delay_alu instid0(SALU_CYCLE_1)
	s_or_b32 exec_lo, exec_lo, s4
	v_mov_b32_e32 v87, 0
	ds_load_b64 v[87:88], v87 offset:152
	s_waitcnt lgkmcnt(0)
	v_mul_f64 v[73:74], v[73:74], v[87:88]
	scratch_store_b64 off, v[73:74], off offset:152
.LBB99_158:
	s_or_b32 exec_lo, exec_lo, s3
	scratch_load_b64 v[73:74], off, off offset:144
	v_cmp_lt_u32_e64 s0, 18, v0
	s_waitcnt vmcnt(0)
	ds_store_b64 v76, v[73:74]
	s_waitcnt lgkmcnt(0)
	s_waitcnt_vscnt null, 0x0
	s_barrier
	buffer_gl0_inv
	s_and_saveexec_b32 s3, s0
	s_cbranch_execz .LBB99_168
; %bb.159:
	s_and_not1_b32 vcc_lo, exec_lo, s2
	s_cbranch_vccnz .LBB99_161
; %bb.160:
	scratch_load_b64 v[73:74], v77, off
	ds_load_b64 v[87:88], v76
	s_waitcnt vmcnt(0) lgkmcnt(0)
	v_mul_f64 v[73:74], v[73:74], v[87:88]
	s_cbranch_execz .LBB99_162
	s_branch .LBB99_163
.LBB99_161:
                                        ; implicit-def: $vgpr73_vgpr74
.LBB99_162:
	ds_load_b64 v[73:74], v76
.LBB99_163:
	s_and_saveexec_b32 s4, s1
	s_cbranch_execz .LBB99_167
; %bb.164:
	v_mov_b32_e32 v87, 0
	v_subrev_nc_u32_e32 v88, 19, v0
	s_movk_i32 s5, 0x1b8
	s_mov_b32 s1, 0
	s_delay_alu instid0(VALU_DEP_2)
	v_add_nc_u32_e32 v87, 0x98, v87
.LBB99_165:                             ; =>This Inner Loop Header: Depth=1
	scratch_load_b64 v[89:90], v87, off
	v_dual_mov_b32 v91, s5 :: v_dual_add_nc_u32 v88, -1, v88
	v_add_nc_u32_e32 v87, 8, v87
	s_add_i32 s5, s5, 8
	ds_load_b64 v[91:92], v91
	v_cmp_eq_u32_e32 vcc_lo, 0, v88
	s_or_b32 s1, vcc_lo, s1
	s_waitcnt vmcnt(0) lgkmcnt(0)
	v_fma_f64 v[73:74], v[89:90], v[91:92], v[73:74]
	s_and_not1_b32 exec_lo, exec_lo, s1
	s_cbranch_execnz .LBB99_165
; %bb.166:
	s_or_b32 exec_lo, exec_lo, s1
.LBB99_167:
	s_delay_alu instid0(SALU_CYCLE_1)
	s_or_b32 exec_lo, exec_lo, s4
	v_mov_b32_e32 v87, 0
	ds_load_b64 v[87:88], v87 offset:144
	s_waitcnt lgkmcnt(0)
	v_mul_f64 v[73:74], v[73:74], v[87:88]
	scratch_store_b64 off, v[73:74], off offset:144
.LBB99_168:
	s_or_b32 exec_lo, exec_lo, s3
	scratch_load_b64 v[73:74], off, off offset:136
	v_cmp_lt_u32_e64 s1, 17, v0
	s_waitcnt vmcnt(0)
	ds_store_b64 v76, v[73:74]
	s_waitcnt lgkmcnt(0)
	s_waitcnt_vscnt null, 0x0
	s_barrier
	buffer_gl0_inv
	s_and_saveexec_b32 s3, s1
	s_cbranch_execz .LBB99_178
; %bb.169:
	s_and_not1_b32 vcc_lo, exec_lo, s2
	s_cbranch_vccnz .LBB99_171
; %bb.170:
	scratch_load_b64 v[73:74], v77, off
	ds_load_b64 v[87:88], v76
	s_waitcnt vmcnt(0) lgkmcnt(0)
	v_mul_f64 v[73:74], v[73:74], v[87:88]
	s_cbranch_execz .LBB99_172
	s_branch .LBB99_173
.LBB99_171:
                                        ; implicit-def: $vgpr73_vgpr74
.LBB99_172:
	ds_load_b64 v[73:74], v76
.LBB99_173:
	s_and_saveexec_b32 s4, s0
	s_cbranch_execz .LBB99_177
; %bb.174:
	v_subrev_nc_u32_e32 v87, 18, v0
	s_movk_i32 s5, 0x1b0
	s_mov_b32 s0, 0
.LBB99_175:                             ; =>This Inner Loop Header: Depth=1
	scratch_load_b64 v[88:89], v86, off
	v_dual_mov_b32 v90, s5 :: v_dual_add_nc_u32 v87, -1, v87
	v_add_nc_u32_e32 v86, 8, v86
	s_add_i32 s5, s5, 8
	ds_load_b64 v[90:91], v90
	v_cmp_eq_u32_e32 vcc_lo, 0, v87
	s_or_b32 s0, vcc_lo, s0
	s_waitcnt vmcnt(0) lgkmcnt(0)
	v_fma_f64 v[73:74], v[88:89], v[90:91], v[73:74]
	s_and_not1_b32 exec_lo, exec_lo, s0
	s_cbranch_execnz .LBB99_175
; %bb.176:
	s_or_b32 exec_lo, exec_lo, s0
.LBB99_177:
	s_delay_alu instid0(SALU_CYCLE_1)
	s_or_b32 exec_lo, exec_lo, s4
	v_mov_b32_e32 v86, 0
	ds_load_b64 v[86:87], v86 offset:136
	s_waitcnt lgkmcnt(0)
	v_mul_f64 v[73:74], v[73:74], v[86:87]
	scratch_store_b64 off, v[73:74], off offset:136
.LBB99_178:
	s_or_b32 exec_lo, exec_lo, s3
	scratch_load_b64 v[73:74], off, off offset:128
	v_cmp_lt_u32_e64 s0, 16, v0
	s_waitcnt vmcnt(0)
	ds_store_b64 v76, v[73:74]
	s_waitcnt lgkmcnt(0)
	s_waitcnt_vscnt null, 0x0
	s_barrier
	buffer_gl0_inv
	s_and_saveexec_b32 s3, s0
	s_cbranch_execz .LBB99_188
; %bb.179:
	s_and_not1_b32 vcc_lo, exec_lo, s2
	s_cbranch_vccnz .LBB99_181
; %bb.180:
	scratch_load_b64 v[73:74], v77, off
	ds_load_b64 v[86:87], v76
	s_waitcnt vmcnt(0) lgkmcnt(0)
	v_mul_f64 v[73:74], v[73:74], v[86:87]
	s_cbranch_execz .LBB99_182
	s_branch .LBB99_183
.LBB99_181:
                                        ; implicit-def: $vgpr73_vgpr74
.LBB99_182:
	ds_load_b64 v[73:74], v76
.LBB99_183:
	s_and_saveexec_b32 s4, s1
	s_cbranch_execz .LBB99_187
; %bb.184:
	v_mov_b32_e32 v86, 0
	v_subrev_nc_u32_e32 v87, 17, v0
	s_movk_i32 s5, 0x1a8
	s_mov_b32 s1, 0
	s_delay_alu instid0(VALU_DEP_2)
	v_add_nc_u32_e32 v86, 0x88, v86
.LBB99_185:                             ; =>This Inner Loop Header: Depth=1
	scratch_load_b64 v[88:89], v86, off
	v_dual_mov_b32 v90, s5 :: v_dual_add_nc_u32 v87, -1, v87
	v_add_nc_u32_e32 v86, 8, v86
	s_add_i32 s5, s5, 8
	ds_load_b64 v[90:91], v90
	v_cmp_eq_u32_e32 vcc_lo, 0, v87
	s_or_b32 s1, vcc_lo, s1
	s_waitcnt vmcnt(0) lgkmcnt(0)
	v_fma_f64 v[73:74], v[88:89], v[90:91], v[73:74]
	s_and_not1_b32 exec_lo, exec_lo, s1
	s_cbranch_execnz .LBB99_185
; %bb.186:
	s_or_b32 exec_lo, exec_lo, s1
.LBB99_187:
	s_delay_alu instid0(SALU_CYCLE_1)
	s_or_b32 exec_lo, exec_lo, s4
	v_mov_b32_e32 v86, 0
	ds_load_b64 v[86:87], v86 offset:128
	s_waitcnt lgkmcnt(0)
	v_mul_f64 v[73:74], v[73:74], v[86:87]
	scratch_store_b64 off, v[73:74], off offset:128
.LBB99_188:
	s_or_b32 exec_lo, exec_lo, s3
	scratch_load_b64 v[73:74], off, off offset:120
	v_cmp_lt_u32_e64 s1, 15, v0
	s_waitcnt vmcnt(0)
	ds_store_b64 v76, v[73:74]
	s_waitcnt lgkmcnt(0)
	s_waitcnt_vscnt null, 0x0
	s_barrier
	buffer_gl0_inv
	s_and_saveexec_b32 s3, s1
	s_cbranch_execz .LBB99_198
; %bb.189:
	s_and_not1_b32 vcc_lo, exec_lo, s2
	s_cbranch_vccnz .LBB99_191
; %bb.190:
	scratch_load_b64 v[73:74], v77, off
	ds_load_b64 v[86:87], v76
	s_waitcnt vmcnt(0) lgkmcnt(0)
	v_mul_f64 v[73:74], v[73:74], v[86:87]
	s_cbranch_execz .LBB99_192
	s_branch .LBB99_193
.LBB99_191:
                                        ; implicit-def: $vgpr73_vgpr74
.LBB99_192:
	ds_load_b64 v[73:74], v76
.LBB99_193:
	s_and_saveexec_b32 s4, s0
	s_cbranch_execz .LBB99_197
; %bb.194:
	v_add_nc_u32_e32 v86, -16, v0
	s_movk_i32 s5, 0x1a0
	s_mov_b32 s0, 0
.LBB99_195:                             ; =>This Inner Loop Header: Depth=1
	scratch_load_b64 v[87:88], v85, off
	v_dual_mov_b32 v89, s5 :: v_dual_add_nc_u32 v86, -1, v86
	v_add_nc_u32_e32 v85, 8, v85
	s_add_i32 s5, s5, 8
	ds_load_b64 v[89:90], v89
	v_cmp_eq_u32_e32 vcc_lo, 0, v86
	s_or_b32 s0, vcc_lo, s0
	s_waitcnt vmcnt(0) lgkmcnt(0)
	v_fma_f64 v[73:74], v[87:88], v[89:90], v[73:74]
	s_and_not1_b32 exec_lo, exec_lo, s0
	s_cbranch_execnz .LBB99_195
; %bb.196:
	s_or_b32 exec_lo, exec_lo, s0
.LBB99_197:
	s_delay_alu instid0(SALU_CYCLE_1)
	s_or_b32 exec_lo, exec_lo, s4
	v_mov_b32_e32 v85, 0
	ds_load_b64 v[85:86], v85 offset:120
	s_waitcnt lgkmcnt(0)
	v_mul_f64 v[73:74], v[73:74], v[85:86]
	scratch_store_b64 off, v[73:74], off offset:120
.LBB99_198:
	s_or_b32 exec_lo, exec_lo, s3
	scratch_load_b64 v[73:74], off, off offset:112
	v_cmp_lt_u32_e64 s0, 14, v0
	s_waitcnt vmcnt(0)
	ds_store_b64 v76, v[73:74]
	s_waitcnt lgkmcnt(0)
	s_waitcnt_vscnt null, 0x0
	s_barrier
	buffer_gl0_inv
	s_and_saveexec_b32 s3, s0
	s_cbranch_execz .LBB99_208
; %bb.199:
	s_and_not1_b32 vcc_lo, exec_lo, s2
	s_cbranch_vccnz .LBB99_201
; %bb.200:
	scratch_load_b64 v[73:74], v77, off
	ds_load_b64 v[85:86], v76
	s_waitcnt vmcnt(0) lgkmcnt(0)
	v_mul_f64 v[73:74], v[73:74], v[85:86]
	s_cbranch_execz .LBB99_202
	s_branch .LBB99_203
.LBB99_201:
                                        ; implicit-def: $vgpr73_vgpr74
.LBB99_202:
	ds_load_b64 v[73:74], v76
.LBB99_203:
	s_and_saveexec_b32 s4, s1
	s_cbranch_execz .LBB99_207
; %bb.204:
	v_dual_mov_b32 v85, 0 :: v_dual_add_nc_u32 v86, -15, v0
	s_movk_i32 s5, 0x198
	s_mov_b32 s1, 0
	s_delay_alu instid0(VALU_DEP_1)
	v_add_nc_u32_e32 v85, 0x78, v85
.LBB99_205:                             ; =>This Inner Loop Header: Depth=1
	scratch_load_b64 v[87:88], v85, off
	v_dual_mov_b32 v89, s5 :: v_dual_add_nc_u32 v86, -1, v86
	v_add_nc_u32_e32 v85, 8, v85
	s_add_i32 s5, s5, 8
	ds_load_b64 v[89:90], v89
	v_cmp_eq_u32_e32 vcc_lo, 0, v86
	s_or_b32 s1, vcc_lo, s1
	s_waitcnt vmcnt(0) lgkmcnt(0)
	v_fma_f64 v[73:74], v[87:88], v[89:90], v[73:74]
	s_and_not1_b32 exec_lo, exec_lo, s1
	s_cbranch_execnz .LBB99_205
; %bb.206:
	s_or_b32 exec_lo, exec_lo, s1
.LBB99_207:
	s_delay_alu instid0(SALU_CYCLE_1)
	s_or_b32 exec_lo, exec_lo, s4
	v_mov_b32_e32 v85, 0
	ds_load_b64 v[85:86], v85 offset:112
	s_waitcnt lgkmcnt(0)
	v_mul_f64 v[73:74], v[73:74], v[85:86]
	scratch_store_b64 off, v[73:74], off offset:112
.LBB99_208:
	s_or_b32 exec_lo, exec_lo, s3
	scratch_load_b64 v[73:74], off, off offset:104
	v_cmp_lt_u32_e64 s1, 13, v0
	s_waitcnt vmcnt(0)
	ds_store_b64 v76, v[73:74]
	s_waitcnt lgkmcnt(0)
	s_waitcnt_vscnt null, 0x0
	s_barrier
	buffer_gl0_inv
	s_and_saveexec_b32 s3, s1
	s_cbranch_execz .LBB99_218
; %bb.209:
	s_and_not1_b32 vcc_lo, exec_lo, s2
	s_cbranch_vccnz .LBB99_211
; %bb.210:
	scratch_load_b64 v[73:74], v77, off
	ds_load_b64 v[85:86], v76
	s_waitcnt vmcnt(0) lgkmcnt(0)
	v_mul_f64 v[73:74], v[73:74], v[85:86]
	s_cbranch_execz .LBB99_212
	s_branch .LBB99_213
.LBB99_211:
                                        ; implicit-def: $vgpr73_vgpr74
.LBB99_212:
	ds_load_b64 v[73:74], v76
.LBB99_213:
	s_and_saveexec_b32 s4, s0
	s_cbranch_execz .LBB99_217
; %bb.214:
	v_add_nc_u32_e32 v85, -14, v0
	s_movk_i32 s5, 0x190
	s_mov_b32 s0, 0
.LBB99_215:                             ; =>This Inner Loop Header: Depth=1
	scratch_load_b64 v[86:87], v84, off
	v_dual_mov_b32 v88, s5 :: v_dual_add_nc_u32 v85, -1, v85
	v_add_nc_u32_e32 v84, 8, v84
	s_add_i32 s5, s5, 8
	ds_load_b64 v[88:89], v88
	v_cmp_eq_u32_e32 vcc_lo, 0, v85
	s_or_b32 s0, vcc_lo, s0
	s_waitcnt vmcnt(0) lgkmcnt(0)
	v_fma_f64 v[73:74], v[86:87], v[88:89], v[73:74]
	s_and_not1_b32 exec_lo, exec_lo, s0
	s_cbranch_execnz .LBB99_215
; %bb.216:
	s_or_b32 exec_lo, exec_lo, s0
.LBB99_217:
	s_delay_alu instid0(SALU_CYCLE_1)
	s_or_b32 exec_lo, exec_lo, s4
	v_mov_b32_e32 v84, 0
	ds_load_b64 v[84:85], v84 offset:104
	s_waitcnt lgkmcnt(0)
	v_mul_f64 v[73:74], v[73:74], v[84:85]
	scratch_store_b64 off, v[73:74], off offset:104
.LBB99_218:
	s_or_b32 exec_lo, exec_lo, s3
	scratch_load_b64 v[73:74], off, off offset:96
	v_cmp_lt_u32_e64 s0, 12, v0
	s_waitcnt vmcnt(0)
	ds_store_b64 v76, v[73:74]
	s_waitcnt lgkmcnt(0)
	s_waitcnt_vscnt null, 0x0
	s_barrier
	buffer_gl0_inv
	s_and_saveexec_b32 s3, s0
	s_cbranch_execz .LBB99_228
; %bb.219:
	s_and_not1_b32 vcc_lo, exec_lo, s2
	s_cbranch_vccnz .LBB99_221
; %bb.220:
	scratch_load_b64 v[73:74], v77, off
	ds_load_b64 v[84:85], v76
	s_waitcnt vmcnt(0) lgkmcnt(0)
	v_mul_f64 v[73:74], v[73:74], v[84:85]
	s_cbranch_execz .LBB99_222
	s_branch .LBB99_223
.LBB99_221:
                                        ; implicit-def: $vgpr73_vgpr74
.LBB99_222:
	ds_load_b64 v[73:74], v76
.LBB99_223:
	s_and_saveexec_b32 s4, s1
	s_cbranch_execz .LBB99_227
; %bb.224:
	v_dual_mov_b32 v84, 0 :: v_dual_add_nc_u32 v85, -13, v0
	s_movk_i32 s5, 0x188
	s_mov_b32 s1, 0
	s_delay_alu instid0(VALU_DEP_1)
	v_add_nc_u32_e32 v84, 0x68, v84
.LBB99_225:                             ; =>This Inner Loop Header: Depth=1
	scratch_load_b64 v[86:87], v84, off
	v_dual_mov_b32 v88, s5 :: v_dual_add_nc_u32 v85, -1, v85
	v_add_nc_u32_e32 v84, 8, v84
	s_add_i32 s5, s5, 8
	ds_load_b64 v[88:89], v88
	v_cmp_eq_u32_e32 vcc_lo, 0, v85
	s_or_b32 s1, vcc_lo, s1
	s_waitcnt vmcnt(0) lgkmcnt(0)
	v_fma_f64 v[73:74], v[86:87], v[88:89], v[73:74]
	s_and_not1_b32 exec_lo, exec_lo, s1
	s_cbranch_execnz .LBB99_225
; %bb.226:
	s_or_b32 exec_lo, exec_lo, s1
.LBB99_227:
	s_delay_alu instid0(SALU_CYCLE_1)
	s_or_b32 exec_lo, exec_lo, s4
	v_mov_b32_e32 v84, 0
	ds_load_b64 v[84:85], v84 offset:96
	s_waitcnt lgkmcnt(0)
	v_mul_f64 v[73:74], v[73:74], v[84:85]
	scratch_store_b64 off, v[73:74], off offset:96
.LBB99_228:
	s_or_b32 exec_lo, exec_lo, s3
	scratch_load_b64 v[73:74], off, off offset:88
	v_cmp_lt_u32_e64 s1, 11, v0
	s_waitcnt vmcnt(0)
	ds_store_b64 v76, v[73:74]
	s_waitcnt lgkmcnt(0)
	s_waitcnt_vscnt null, 0x0
	s_barrier
	buffer_gl0_inv
	s_and_saveexec_b32 s3, s1
	s_cbranch_execz .LBB99_238
; %bb.229:
	s_and_not1_b32 vcc_lo, exec_lo, s2
	s_cbranch_vccnz .LBB99_231
; %bb.230:
	scratch_load_b64 v[73:74], v77, off
	ds_load_b64 v[84:85], v76
	s_waitcnt vmcnt(0) lgkmcnt(0)
	v_mul_f64 v[73:74], v[73:74], v[84:85]
	s_cbranch_execz .LBB99_232
	s_branch .LBB99_233
.LBB99_231:
                                        ; implicit-def: $vgpr73_vgpr74
.LBB99_232:
	ds_load_b64 v[73:74], v76
.LBB99_233:
	s_and_saveexec_b32 s4, s0
	s_cbranch_execz .LBB99_237
; %bb.234:
	v_add_nc_u32_e32 v84, -12, v0
	s_movk_i32 s5, 0x180
	s_mov_b32 s0, 0
.LBB99_235:                             ; =>This Inner Loop Header: Depth=1
	scratch_load_b64 v[85:86], v83, off
	v_dual_mov_b32 v87, s5 :: v_dual_add_nc_u32 v84, -1, v84
	v_add_nc_u32_e32 v83, 8, v83
	s_add_i32 s5, s5, 8
	ds_load_b64 v[87:88], v87
	v_cmp_eq_u32_e32 vcc_lo, 0, v84
	s_or_b32 s0, vcc_lo, s0
	s_waitcnt vmcnt(0) lgkmcnt(0)
	v_fma_f64 v[73:74], v[85:86], v[87:88], v[73:74]
	s_and_not1_b32 exec_lo, exec_lo, s0
	s_cbranch_execnz .LBB99_235
; %bb.236:
	s_or_b32 exec_lo, exec_lo, s0
.LBB99_237:
	s_delay_alu instid0(SALU_CYCLE_1)
	s_or_b32 exec_lo, exec_lo, s4
	v_mov_b32_e32 v83, 0
	ds_load_b64 v[83:84], v83 offset:88
	s_waitcnt lgkmcnt(0)
	v_mul_f64 v[73:74], v[73:74], v[83:84]
	scratch_store_b64 off, v[73:74], off offset:88
.LBB99_238:
	s_or_b32 exec_lo, exec_lo, s3
	scratch_load_b64 v[73:74], off, off offset:80
	v_cmp_lt_u32_e64 s0, 10, v0
	s_waitcnt vmcnt(0)
	ds_store_b64 v76, v[73:74]
	s_waitcnt lgkmcnt(0)
	s_waitcnt_vscnt null, 0x0
	s_barrier
	buffer_gl0_inv
	s_and_saveexec_b32 s3, s0
	s_cbranch_execz .LBB99_248
; %bb.239:
	s_and_not1_b32 vcc_lo, exec_lo, s2
	s_cbranch_vccnz .LBB99_241
; %bb.240:
	scratch_load_b64 v[73:74], v77, off
	ds_load_b64 v[83:84], v76
	s_waitcnt vmcnt(0) lgkmcnt(0)
	v_mul_f64 v[73:74], v[73:74], v[83:84]
	s_cbranch_execz .LBB99_242
	s_branch .LBB99_243
.LBB99_241:
                                        ; implicit-def: $vgpr73_vgpr74
.LBB99_242:
	ds_load_b64 v[73:74], v76
.LBB99_243:
	s_and_saveexec_b32 s4, s1
	s_cbranch_execz .LBB99_247
; %bb.244:
	v_dual_mov_b32 v83, 0 :: v_dual_add_nc_u32 v84, -11, v0
	s_movk_i32 s5, 0x178
	s_mov_b32 s1, 0
	s_delay_alu instid0(VALU_DEP_1)
	v_add_nc_u32_e32 v83, 0x58, v83
.LBB99_245:                             ; =>This Inner Loop Header: Depth=1
	scratch_load_b64 v[85:86], v83, off
	v_dual_mov_b32 v87, s5 :: v_dual_add_nc_u32 v84, -1, v84
	v_add_nc_u32_e32 v83, 8, v83
	s_add_i32 s5, s5, 8
	ds_load_b64 v[87:88], v87
	v_cmp_eq_u32_e32 vcc_lo, 0, v84
	s_or_b32 s1, vcc_lo, s1
	s_waitcnt vmcnt(0) lgkmcnt(0)
	v_fma_f64 v[73:74], v[85:86], v[87:88], v[73:74]
	s_and_not1_b32 exec_lo, exec_lo, s1
	s_cbranch_execnz .LBB99_245
; %bb.246:
	s_or_b32 exec_lo, exec_lo, s1
.LBB99_247:
	s_delay_alu instid0(SALU_CYCLE_1)
	s_or_b32 exec_lo, exec_lo, s4
	v_mov_b32_e32 v83, 0
	ds_load_b64 v[83:84], v83 offset:80
	s_waitcnt lgkmcnt(0)
	v_mul_f64 v[73:74], v[73:74], v[83:84]
	scratch_store_b64 off, v[73:74], off offset:80
.LBB99_248:
	s_or_b32 exec_lo, exec_lo, s3
	scratch_load_b64 v[73:74], off, off offset:72
	v_cmp_lt_u32_e64 s1, 9, v0
	s_waitcnt vmcnt(0)
	ds_store_b64 v76, v[73:74]
	s_waitcnt lgkmcnt(0)
	s_waitcnt_vscnt null, 0x0
	s_barrier
	buffer_gl0_inv
	s_and_saveexec_b32 s3, s1
	s_cbranch_execz .LBB99_258
; %bb.249:
	s_and_not1_b32 vcc_lo, exec_lo, s2
	s_cbranch_vccnz .LBB99_251
; %bb.250:
	scratch_load_b64 v[73:74], v77, off
	ds_load_b64 v[83:84], v76
	s_waitcnt vmcnt(0) lgkmcnt(0)
	v_mul_f64 v[73:74], v[73:74], v[83:84]
	s_cbranch_execz .LBB99_252
	s_branch .LBB99_253
.LBB99_251:
                                        ; implicit-def: $vgpr73_vgpr74
.LBB99_252:
	ds_load_b64 v[73:74], v76
.LBB99_253:
	s_and_saveexec_b32 s4, s0
	s_cbranch_execz .LBB99_257
; %bb.254:
	v_add_nc_u32_e32 v83, -10, v0
	s_movk_i32 s5, 0x170
	s_mov_b32 s0, 0
.LBB99_255:                             ; =>This Inner Loop Header: Depth=1
	scratch_load_b64 v[84:85], v82, off
	v_dual_mov_b32 v86, s5 :: v_dual_add_nc_u32 v83, -1, v83
	v_add_nc_u32_e32 v82, 8, v82
	s_add_i32 s5, s5, 8
	ds_load_b64 v[86:87], v86
	v_cmp_eq_u32_e32 vcc_lo, 0, v83
	s_or_b32 s0, vcc_lo, s0
	s_waitcnt vmcnt(0) lgkmcnt(0)
	v_fma_f64 v[73:74], v[84:85], v[86:87], v[73:74]
	s_and_not1_b32 exec_lo, exec_lo, s0
	s_cbranch_execnz .LBB99_255
; %bb.256:
	s_or_b32 exec_lo, exec_lo, s0
.LBB99_257:
	s_delay_alu instid0(SALU_CYCLE_1)
	s_or_b32 exec_lo, exec_lo, s4
	v_mov_b32_e32 v82, 0
	ds_load_b64 v[82:83], v82 offset:72
	s_waitcnt lgkmcnt(0)
	v_mul_f64 v[73:74], v[73:74], v[82:83]
	scratch_store_b64 off, v[73:74], off offset:72
.LBB99_258:
	s_or_b32 exec_lo, exec_lo, s3
	scratch_load_b64 v[73:74], off, off offset:64
	v_cmp_lt_u32_e64 s0, 8, v0
	s_waitcnt vmcnt(0)
	ds_store_b64 v76, v[73:74]
	s_waitcnt lgkmcnt(0)
	s_waitcnt_vscnt null, 0x0
	s_barrier
	buffer_gl0_inv
	s_and_saveexec_b32 s3, s0
	s_cbranch_execz .LBB99_268
; %bb.259:
	s_and_not1_b32 vcc_lo, exec_lo, s2
	s_cbranch_vccnz .LBB99_261
; %bb.260:
	scratch_load_b64 v[73:74], v77, off
	ds_load_b64 v[82:83], v76
	s_waitcnt vmcnt(0) lgkmcnt(0)
	v_mul_f64 v[73:74], v[73:74], v[82:83]
	s_cbranch_execz .LBB99_262
	s_branch .LBB99_263
.LBB99_261:
                                        ; implicit-def: $vgpr73_vgpr74
.LBB99_262:
	ds_load_b64 v[73:74], v76
.LBB99_263:
	s_and_saveexec_b32 s4, s1
	s_cbranch_execz .LBB99_267
; %bb.264:
	v_dual_mov_b32 v82, 0 :: v_dual_add_nc_u32 v83, -9, v0
	s_movk_i32 s5, 0x168
	s_mov_b32 s1, 0
	s_delay_alu instid0(VALU_DEP_1)
	v_add_nc_u32_e32 v82, 0x48, v82
.LBB99_265:                             ; =>This Inner Loop Header: Depth=1
	scratch_load_b64 v[84:85], v82, off
	v_dual_mov_b32 v86, s5 :: v_dual_add_nc_u32 v83, -1, v83
	v_add_nc_u32_e32 v82, 8, v82
	s_add_i32 s5, s5, 8
	ds_load_b64 v[86:87], v86
	v_cmp_eq_u32_e32 vcc_lo, 0, v83
	s_or_b32 s1, vcc_lo, s1
	s_waitcnt vmcnt(0) lgkmcnt(0)
	v_fma_f64 v[73:74], v[84:85], v[86:87], v[73:74]
	s_and_not1_b32 exec_lo, exec_lo, s1
	s_cbranch_execnz .LBB99_265
; %bb.266:
	s_or_b32 exec_lo, exec_lo, s1
.LBB99_267:
	s_delay_alu instid0(SALU_CYCLE_1)
	s_or_b32 exec_lo, exec_lo, s4
	v_mov_b32_e32 v82, 0
	ds_load_b64 v[82:83], v82 offset:64
	s_waitcnt lgkmcnt(0)
	v_mul_f64 v[73:74], v[73:74], v[82:83]
	scratch_store_b64 off, v[73:74], off offset:64
.LBB99_268:
	s_or_b32 exec_lo, exec_lo, s3
	scratch_load_b64 v[73:74], off, off offset:56
	v_cmp_lt_u32_e64 s1, 7, v0
	s_waitcnt vmcnt(0)
	ds_store_b64 v76, v[73:74]
	s_waitcnt lgkmcnt(0)
	s_waitcnt_vscnt null, 0x0
	s_barrier
	buffer_gl0_inv
	s_and_saveexec_b32 s3, s1
	s_cbranch_execz .LBB99_278
; %bb.269:
	s_and_not1_b32 vcc_lo, exec_lo, s2
	s_cbranch_vccnz .LBB99_271
; %bb.270:
	scratch_load_b64 v[73:74], v77, off
	ds_load_b64 v[82:83], v76
	s_waitcnt vmcnt(0) lgkmcnt(0)
	v_mul_f64 v[73:74], v[73:74], v[82:83]
	s_cbranch_execz .LBB99_272
	s_branch .LBB99_273
.LBB99_271:
                                        ; implicit-def: $vgpr73_vgpr74
.LBB99_272:
	ds_load_b64 v[73:74], v76
.LBB99_273:
	s_and_saveexec_b32 s4, s0
	s_cbranch_execz .LBB99_277
; %bb.274:
	v_add_nc_u32_e32 v82, -8, v0
	s_movk_i32 s5, 0x160
	s_mov_b32 s0, 0
.LBB99_275:                             ; =>This Inner Loop Header: Depth=1
	scratch_load_b64 v[83:84], v81, off
	v_dual_mov_b32 v85, s5 :: v_dual_add_nc_u32 v82, -1, v82
	v_add_nc_u32_e32 v81, 8, v81
	s_add_i32 s5, s5, 8
	ds_load_b64 v[85:86], v85
	v_cmp_eq_u32_e32 vcc_lo, 0, v82
	s_or_b32 s0, vcc_lo, s0
	s_waitcnt vmcnt(0) lgkmcnt(0)
	v_fma_f64 v[73:74], v[83:84], v[85:86], v[73:74]
	s_and_not1_b32 exec_lo, exec_lo, s0
	s_cbranch_execnz .LBB99_275
; %bb.276:
	s_or_b32 exec_lo, exec_lo, s0
.LBB99_277:
	s_delay_alu instid0(SALU_CYCLE_1)
	s_or_b32 exec_lo, exec_lo, s4
	v_mov_b32_e32 v81, 0
	ds_load_b64 v[81:82], v81 offset:56
	s_waitcnt lgkmcnt(0)
	v_mul_f64 v[73:74], v[73:74], v[81:82]
	scratch_store_b64 off, v[73:74], off offset:56
.LBB99_278:
	s_or_b32 exec_lo, exec_lo, s3
	scratch_load_b64 v[73:74], off, off offset:48
	v_cmp_lt_u32_e64 s0, 6, v0
	s_waitcnt vmcnt(0)
	ds_store_b64 v76, v[73:74]
	s_waitcnt lgkmcnt(0)
	s_waitcnt_vscnt null, 0x0
	s_barrier
	buffer_gl0_inv
	s_and_saveexec_b32 s3, s0
	s_cbranch_execz .LBB99_288
; %bb.279:
	s_and_not1_b32 vcc_lo, exec_lo, s2
	s_cbranch_vccnz .LBB99_281
; %bb.280:
	scratch_load_b64 v[73:74], v77, off
	ds_load_b64 v[81:82], v76
	s_waitcnt vmcnt(0) lgkmcnt(0)
	v_mul_f64 v[73:74], v[73:74], v[81:82]
	s_cbranch_execz .LBB99_282
	s_branch .LBB99_283
.LBB99_281:
                                        ; implicit-def: $vgpr73_vgpr74
.LBB99_282:
	ds_load_b64 v[73:74], v76
.LBB99_283:
	s_and_saveexec_b32 s4, s1
	s_cbranch_execz .LBB99_287
; %bb.284:
	v_add_nc_u32_e64 v81, 0, 56
	v_add_nc_u32_e32 v82, -7, v0
	s_movk_i32 s5, 0x158
	s_mov_b32 s1, 0
.LBB99_285:                             ; =>This Inner Loop Header: Depth=1
	scratch_load_b64 v[83:84], v81, off
	v_dual_mov_b32 v85, s5 :: v_dual_add_nc_u32 v82, -1, v82
	v_add_nc_u32_e32 v81, 8, v81
	s_add_i32 s5, s5, 8
	ds_load_b64 v[85:86], v85
	v_cmp_eq_u32_e32 vcc_lo, 0, v82
	s_or_b32 s1, vcc_lo, s1
	s_waitcnt vmcnt(0) lgkmcnt(0)
	v_fma_f64 v[73:74], v[83:84], v[85:86], v[73:74]
	s_and_not1_b32 exec_lo, exec_lo, s1
	s_cbranch_execnz .LBB99_285
; %bb.286:
	s_or_b32 exec_lo, exec_lo, s1
.LBB99_287:
	s_delay_alu instid0(SALU_CYCLE_1)
	s_or_b32 exec_lo, exec_lo, s4
	v_mov_b32_e32 v81, 0
	ds_load_b64 v[81:82], v81 offset:48
	s_waitcnt lgkmcnt(0)
	v_mul_f64 v[73:74], v[73:74], v[81:82]
	scratch_store_b64 off, v[73:74], off offset:48
.LBB99_288:
	s_or_b32 exec_lo, exec_lo, s3
	scratch_load_b64 v[73:74], off, off offset:40
	v_cmp_lt_u32_e64 s1, 5, v0
	s_waitcnt vmcnt(0)
	ds_store_b64 v76, v[73:74]
	s_waitcnt lgkmcnt(0)
	s_waitcnt_vscnt null, 0x0
	s_barrier
	buffer_gl0_inv
	s_and_saveexec_b32 s3, s1
	s_cbranch_execz .LBB99_298
; %bb.289:
	s_and_not1_b32 vcc_lo, exec_lo, s2
	s_cbranch_vccnz .LBB99_291
; %bb.290:
	scratch_load_b64 v[73:74], v77, off
	ds_load_b64 v[81:82], v76
	s_waitcnt vmcnt(0) lgkmcnt(0)
	v_mul_f64 v[73:74], v[73:74], v[81:82]
	s_cbranch_execz .LBB99_292
	s_branch .LBB99_293
.LBB99_291:
                                        ; implicit-def: $vgpr73_vgpr74
.LBB99_292:
	ds_load_b64 v[73:74], v76
.LBB99_293:
	s_and_saveexec_b32 s4, s0
	s_cbranch_execz .LBB99_297
; %bb.294:
	v_add_nc_u32_e32 v81, -6, v0
	s_movk_i32 s5, 0x150
	s_mov_b32 s0, 0
.LBB99_295:                             ; =>This Inner Loop Header: Depth=1
	scratch_load_b64 v[82:83], v80, off
	v_dual_mov_b32 v84, s5 :: v_dual_add_nc_u32 v81, -1, v81
	v_add_nc_u32_e32 v80, 8, v80
	s_add_i32 s5, s5, 8
	ds_load_b64 v[84:85], v84
	v_cmp_eq_u32_e32 vcc_lo, 0, v81
	s_or_b32 s0, vcc_lo, s0
	s_waitcnt vmcnt(0) lgkmcnt(0)
	v_fma_f64 v[73:74], v[82:83], v[84:85], v[73:74]
	s_and_not1_b32 exec_lo, exec_lo, s0
	s_cbranch_execnz .LBB99_295
; %bb.296:
	s_or_b32 exec_lo, exec_lo, s0
.LBB99_297:
	s_delay_alu instid0(SALU_CYCLE_1)
	s_or_b32 exec_lo, exec_lo, s4
	v_mov_b32_e32 v80, 0
	ds_load_b64 v[80:81], v80 offset:40
	s_waitcnt lgkmcnt(0)
	v_mul_f64 v[73:74], v[73:74], v[80:81]
	scratch_store_b64 off, v[73:74], off offset:40
.LBB99_298:
	s_or_b32 exec_lo, exec_lo, s3
	scratch_load_b64 v[73:74], off, off offset:32
	v_cmp_lt_u32_e64 s0, 4, v0
	s_waitcnt vmcnt(0)
	ds_store_b64 v76, v[73:74]
	s_waitcnt lgkmcnt(0)
	s_waitcnt_vscnt null, 0x0
	s_barrier
	buffer_gl0_inv
	s_and_saveexec_b32 s3, s0
	s_cbranch_execz .LBB99_308
; %bb.299:
	s_and_not1_b32 vcc_lo, exec_lo, s2
	s_cbranch_vccnz .LBB99_301
; %bb.300:
	scratch_load_b64 v[73:74], v77, off
	ds_load_b64 v[80:81], v76
	s_waitcnt vmcnt(0) lgkmcnt(0)
	v_mul_f64 v[73:74], v[73:74], v[80:81]
	s_cbranch_execz .LBB99_302
	s_branch .LBB99_303
.LBB99_301:
                                        ; implicit-def: $vgpr73_vgpr74
.LBB99_302:
	ds_load_b64 v[73:74], v76
.LBB99_303:
	s_and_saveexec_b32 s4, s1
	s_cbranch_execz .LBB99_307
; %bb.304:
	v_add_nc_u32_e64 v80, 0, 40
	v_add_nc_u32_e32 v81, -5, v0
	s_movk_i32 s5, 0x148
	s_mov_b32 s1, 0
.LBB99_305:                             ; =>This Inner Loop Header: Depth=1
	scratch_load_b64 v[82:83], v80, off
	v_dual_mov_b32 v84, s5 :: v_dual_add_nc_u32 v81, -1, v81
	v_add_nc_u32_e32 v80, 8, v80
	s_add_i32 s5, s5, 8
	ds_load_b64 v[84:85], v84
	v_cmp_eq_u32_e32 vcc_lo, 0, v81
	s_or_b32 s1, vcc_lo, s1
	s_waitcnt vmcnt(0) lgkmcnt(0)
	v_fma_f64 v[73:74], v[82:83], v[84:85], v[73:74]
	s_and_not1_b32 exec_lo, exec_lo, s1
	s_cbranch_execnz .LBB99_305
; %bb.306:
	s_or_b32 exec_lo, exec_lo, s1
.LBB99_307:
	s_delay_alu instid0(SALU_CYCLE_1)
	s_or_b32 exec_lo, exec_lo, s4
	v_mov_b32_e32 v80, 0
	ds_load_b64 v[80:81], v80 offset:32
	s_waitcnt lgkmcnt(0)
	v_mul_f64 v[73:74], v[73:74], v[80:81]
	scratch_store_b64 off, v[73:74], off offset:32
.LBB99_308:
	s_or_b32 exec_lo, exec_lo, s3
	scratch_load_b64 v[73:74], off, off offset:24
	v_cmp_lt_u32_e64 s1, 3, v0
	s_waitcnt vmcnt(0)
	ds_store_b64 v76, v[73:74]
	s_waitcnt lgkmcnt(0)
	s_waitcnt_vscnt null, 0x0
	s_barrier
	buffer_gl0_inv
	s_and_saveexec_b32 s3, s1
	s_cbranch_execz .LBB99_318
; %bb.309:
	s_and_not1_b32 vcc_lo, exec_lo, s2
	s_cbranch_vccnz .LBB99_311
; %bb.310:
	scratch_load_b64 v[73:74], v77, off
	ds_load_b64 v[80:81], v76
	s_waitcnt vmcnt(0) lgkmcnt(0)
	v_mul_f64 v[73:74], v[73:74], v[80:81]
	s_cbranch_execz .LBB99_312
	s_branch .LBB99_313
.LBB99_311:
                                        ; implicit-def: $vgpr73_vgpr74
.LBB99_312:
	ds_load_b64 v[73:74], v76
.LBB99_313:
	s_and_saveexec_b32 s4, s0
	s_cbranch_execz .LBB99_317
; %bb.314:
	v_add_nc_u32_e32 v80, -4, v0
	s_movk_i32 s5, 0x140
	s_mov_b32 s0, 0
.LBB99_315:                             ; =>This Inner Loop Header: Depth=1
	scratch_load_b64 v[81:82], v79, off
	v_dual_mov_b32 v83, s5 :: v_dual_add_nc_u32 v80, -1, v80
	v_add_nc_u32_e32 v79, 8, v79
	s_add_i32 s5, s5, 8
	ds_load_b64 v[83:84], v83
	v_cmp_eq_u32_e32 vcc_lo, 0, v80
	s_or_b32 s0, vcc_lo, s0
	s_waitcnt vmcnt(0) lgkmcnt(0)
	v_fma_f64 v[73:74], v[81:82], v[83:84], v[73:74]
	s_and_not1_b32 exec_lo, exec_lo, s0
	s_cbranch_execnz .LBB99_315
; %bb.316:
	s_or_b32 exec_lo, exec_lo, s0
.LBB99_317:
	s_delay_alu instid0(SALU_CYCLE_1)
	s_or_b32 exec_lo, exec_lo, s4
	v_mov_b32_e32 v79, 0
	ds_load_b64 v[79:80], v79 offset:24
	s_waitcnt lgkmcnt(0)
	v_mul_f64 v[73:74], v[73:74], v[79:80]
	scratch_store_b64 off, v[73:74], off offset:24
.LBB99_318:
	s_or_b32 exec_lo, exec_lo, s3
	scratch_load_b64 v[73:74], off, off offset:16
	v_cmp_lt_u32_e64 s0, 2, v0
	s_waitcnt vmcnt(0)
	ds_store_b64 v76, v[73:74]
	s_waitcnt lgkmcnt(0)
	s_waitcnt_vscnt null, 0x0
	s_barrier
	buffer_gl0_inv
	s_and_saveexec_b32 s3, s0
	s_cbranch_execz .LBB99_328
; %bb.319:
	s_and_not1_b32 vcc_lo, exec_lo, s2
	s_cbranch_vccnz .LBB99_321
; %bb.320:
	scratch_load_b64 v[73:74], v77, off
	ds_load_b64 v[79:80], v76
	s_waitcnt vmcnt(0) lgkmcnt(0)
	v_mul_f64 v[73:74], v[73:74], v[79:80]
	s_cbranch_execz .LBB99_322
	s_branch .LBB99_323
.LBB99_321:
                                        ; implicit-def: $vgpr73_vgpr74
.LBB99_322:
	ds_load_b64 v[73:74], v76
.LBB99_323:
	s_and_saveexec_b32 s4, s1
	s_cbranch_execz .LBB99_327
; %bb.324:
	v_add_nc_u32_e64 v79, 0, 24
	v_add_nc_u32_e32 v80, -3, v0
	s_movk_i32 s5, 0x138
	s_mov_b32 s1, 0
.LBB99_325:                             ; =>This Inner Loop Header: Depth=1
	scratch_load_b64 v[81:82], v79, off
	v_dual_mov_b32 v83, s5 :: v_dual_add_nc_u32 v80, -1, v80
	v_add_nc_u32_e32 v79, 8, v79
	s_add_i32 s5, s5, 8
	ds_load_b64 v[83:84], v83
	v_cmp_eq_u32_e32 vcc_lo, 0, v80
	s_or_b32 s1, vcc_lo, s1
	s_waitcnt vmcnt(0) lgkmcnt(0)
	v_fma_f64 v[73:74], v[81:82], v[83:84], v[73:74]
	s_and_not1_b32 exec_lo, exec_lo, s1
	s_cbranch_execnz .LBB99_325
; %bb.326:
	s_or_b32 exec_lo, exec_lo, s1
.LBB99_327:
	s_delay_alu instid0(SALU_CYCLE_1)
	s_or_b32 exec_lo, exec_lo, s4
	v_mov_b32_e32 v79, 0
	ds_load_b64 v[79:80], v79 offset:16
	s_waitcnt lgkmcnt(0)
	v_mul_f64 v[73:74], v[73:74], v[79:80]
	scratch_store_b64 off, v[73:74], off offset:16
.LBB99_328:
	s_or_b32 exec_lo, exec_lo, s3
	scratch_load_b64 v[73:74], off, off offset:8
	v_cmp_lt_u32_e64 s1, 1, v0
	s_waitcnt vmcnt(0)
	ds_store_b64 v76, v[73:74]
	s_waitcnt lgkmcnt(0)
	s_waitcnt_vscnt null, 0x0
	s_barrier
	buffer_gl0_inv
	s_and_saveexec_b32 s3, s1
	s_cbranch_execz .LBB99_338
; %bb.329:
	s_and_not1_b32 vcc_lo, exec_lo, s2
	s_cbranch_vccnz .LBB99_331
; %bb.330:
	scratch_load_b64 v[73:74], v77, off
	ds_load_b64 v[79:80], v76
	s_waitcnt vmcnt(0) lgkmcnt(0)
	v_mul_f64 v[73:74], v[73:74], v[79:80]
	s_cbranch_execz .LBB99_332
	s_branch .LBB99_333
.LBB99_331:
                                        ; implicit-def: $vgpr73_vgpr74
.LBB99_332:
	ds_load_b64 v[73:74], v76
.LBB99_333:
	s_and_saveexec_b32 s4, s0
	s_cbranch_execz .LBB99_337
; %bb.334:
	v_add_nc_u32_e32 v79, -2, v0
	s_movk_i32 s5, 0x130
	s_mov_b32 s0, 0
.LBB99_335:                             ; =>This Inner Loop Header: Depth=1
	scratch_load_b64 v[80:81], v78, off
	v_dual_mov_b32 v82, s5 :: v_dual_add_nc_u32 v79, -1, v79
	v_add_nc_u32_e32 v78, 8, v78
	s_add_i32 s5, s5, 8
	ds_load_b64 v[82:83], v82
	v_cmp_eq_u32_e32 vcc_lo, 0, v79
	s_or_b32 s0, vcc_lo, s0
	s_waitcnt vmcnt(0) lgkmcnt(0)
	v_fma_f64 v[73:74], v[80:81], v[82:83], v[73:74]
	s_and_not1_b32 exec_lo, exec_lo, s0
	s_cbranch_execnz .LBB99_335
; %bb.336:
	s_or_b32 exec_lo, exec_lo, s0
.LBB99_337:
	s_delay_alu instid0(SALU_CYCLE_1)
	s_or_b32 exec_lo, exec_lo, s4
	v_mov_b32_e32 v78, 0
	ds_load_b64 v[78:79], v78 offset:8
	s_waitcnt lgkmcnt(0)
	v_mul_f64 v[73:74], v[73:74], v[78:79]
	scratch_store_b64 off, v[73:74], off offset:8
.LBB99_338:
	s_or_b32 exec_lo, exec_lo, s3
	scratch_load_b64 v[73:74], off, off
	s_mov_b32 s0, 0
	s_mov_b32 s3, exec_lo
	s_waitcnt vmcnt(0)
	ds_store_b64 v76, v[73:74]
	s_waitcnt lgkmcnt(0)
	s_waitcnt_vscnt null, 0x0
	s_barrier
	buffer_gl0_inv
	v_cmpx_ne_u32_e32 0, v0
	s_cbranch_execz .LBB99_348
; %bb.339:
	s_and_not1_b32 vcc_lo, exec_lo, s2
	s_cbranch_vccnz .LBB99_341
; %bb.340:
	scratch_load_b64 v[73:74], v77, off
	ds_load_b64 v[78:79], v76
	s_waitcnt vmcnt(0) lgkmcnt(0)
	v_mul_f64 v[73:74], v[73:74], v[78:79]
	s_cbranch_execz .LBB99_342
	s_branch .LBB99_343
.LBB99_341:
                                        ; implicit-def: $vgpr73_vgpr74
.LBB99_342:
	ds_load_b64 v[73:74], v76
.LBB99_343:
	s_and_saveexec_b32 s4, s1
	s_cbranch_execz .LBB99_347
; %bb.344:
	v_or_b32_e64 v78, 0, 8
	v_add_nc_u32_e32 v79, -1, v0
	s_movk_i32 s5, 0x128
	s_mov_b32 s1, 0
.LBB99_345:                             ; =>This Inner Loop Header: Depth=1
	scratch_load_b64 v[80:81], v78, off
	v_dual_mov_b32 v82, s5 :: v_dual_add_nc_u32 v79, -1, v79
	v_add_nc_u32_e32 v78, 8, v78
	s_add_i32 s5, s5, 8
	ds_load_b64 v[82:83], v82
	v_cmp_eq_u32_e32 vcc_lo, 0, v79
	s_or_b32 s1, vcc_lo, s1
	s_waitcnt vmcnt(0) lgkmcnt(0)
	v_fma_f64 v[73:74], v[80:81], v[82:83], v[73:74]
	s_and_not1_b32 exec_lo, exec_lo, s1
	s_cbranch_execnz .LBB99_345
; %bb.346:
	s_or_b32 exec_lo, exec_lo, s1
.LBB99_347:
	s_delay_alu instid0(SALU_CYCLE_1)
	s_or_b32 exec_lo, exec_lo, s4
	v_mov_b32_e32 v78, 0
	ds_load_b64 v[78:79], v78
	s_waitcnt lgkmcnt(0)
	v_mul_f64 v[73:74], v[73:74], v[78:79]
	scratch_store_b64 off, v[73:74], off
.LBB99_348:
	s_or_b32 exec_lo, exec_lo, s3
.LBB99_349:
	s_delay_alu instid0(SALU_CYCLE_1)
	s_and_b32 vcc_lo, exec_lo, s0
	s_cbranch_vccz .LBB99_695
; %bb.350:
	scratch_load_b64 v[73:74], off, off offset:8
	v_cmp_eq_u32_e64 s0, 0, v0
	s_waitcnt vmcnt(0)
	ds_store_b64 v76, v[73:74]
	s_waitcnt lgkmcnt(0)
	s_waitcnt_vscnt null, 0x0
	s_barrier
	buffer_gl0_inv
	s_and_saveexec_b32 s1, s0
	s_cbranch_execz .LBB99_356
; %bb.351:
	s_and_b32 vcc_lo, exec_lo, s2
	s_cbranch_vccz .LBB99_353
; %bb.352:
	scratch_load_b64 v[73:74], v77, off
	ds_load_b64 v[78:79], v76
	s_waitcnt vmcnt(0) lgkmcnt(0)
	v_mul_f64 v[73:74], v[73:74], v[78:79]
	s_cbranch_execz .LBB99_354
	s_branch .LBB99_355
.LBB99_353:
                                        ; implicit-def: $vgpr73_vgpr74
.LBB99_354:
	ds_load_b64 v[73:74], v76
.LBB99_355:
	v_mov_b32_e32 v78, 0
	ds_load_b64 v[78:79], v78 offset:8
	s_waitcnt lgkmcnt(0)
	v_mul_f64 v[73:74], v[73:74], v[78:79]
	scratch_store_b64 off, v[73:74], off offset:8
.LBB99_356:
	s_or_b32 exec_lo, exec_lo, s1
	scratch_load_b64 v[73:74], off, off offset:16
	v_cndmask_b32_e64 v78, 0, 1, s2
	s_mov_b32 s1, exec_lo
	s_waitcnt vmcnt(0)
	ds_store_b64 v76, v[73:74]
	s_waitcnt lgkmcnt(0)
	s_waitcnt_vscnt null, 0x0
	s_barrier
	buffer_gl0_inv
	v_cmpx_gt_u32_e32 2, v0
	s_cbranch_execz .LBB99_364
; %bb.357:
	s_and_not1_b32 vcc_lo, exec_lo, s2
	s_cbranch_vccnz .LBB99_359
; %bb.358:
	scratch_load_b64 v[73:74], v77, off
	ds_load_b64 v[79:80], v76
	s_waitcnt vmcnt(0) lgkmcnt(0)
	v_mul_f64 v[73:74], v[73:74], v[79:80]
	s_cbranch_execz .LBB99_360
	s_branch .LBB99_361
.LBB99_359:
                                        ; implicit-def: $vgpr73_vgpr74
.LBB99_360:
	ds_load_b64 v[73:74], v76
.LBB99_361:
	s_and_saveexec_b32 s2, s0
	s_cbranch_execz .LBB99_363
; %bb.362:
	scratch_load_b64 v[79:80], v77, off offset:8
	ds_load_b64 v[81:82], v76 offset:8
	s_waitcnt vmcnt(0) lgkmcnt(0)
	v_fma_f64 v[73:74], v[79:80], v[81:82], v[73:74]
.LBB99_363:
	s_or_b32 exec_lo, exec_lo, s2
	v_mov_b32_e32 v79, 0
	ds_load_b64 v[79:80], v79 offset:16
	s_waitcnt lgkmcnt(0)
	v_mul_f64 v[73:74], v[73:74], v[79:80]
	scratch_store_b64 off, v[73:74], off offset:16
.LBB99_364:
	s_or_b32 exec_lo, exec_lo, s1
	scratch_load_b64 v[73:74], off, off offset:24
	s_mov_b32 s1, exec_lo
	s_waitcnt vmcnt(0)
	ds_store_b64 v76, v[73:74]
	s_waitcnt lgkmcnt(0)
	s_waitcnt_vscnt null, 0x0
	s_barrier
	buffer_gl0_inv
	v_cmpx_gt_u32_e32 3, v0
	s_cbranch_execz .LBB99_374
; %bb.365:
	v_cmp_ne_u32_e32 vcc_lo, 1, v78
	s_cbranch_vccnz .LBB99_367
; %bb.366:
	scratch_load_b64 v[73:74], v77, off
	ds_load_b64 v[79:80], v76
	s_waitcnt vmcnt(0) lgkmcnt(0)
	v_mul_f64 v[73:74], v[73:74], v[79:80]
	s_cbranch_execz .LBB99_368
	s_branch .LBB99_369
.LBB99_367:
                                        ; implicit-def: $vgpr73_vgpr74
.LBB99_368:
	ds_load_b64 v[73:74], v76
.LBB99_369:
	s_mov_b32 s2, exec_lo
	v_cmpx_ne_u32_e32 2, v0
	s_cbranch_execz .LBB99_373
; %bb.370:
	scratch_load_b64 v[79:80], v77, off offset:8
	ds_load_b64 v[81:82], v76 offset:8
	s_waitcnt vmcnt(0) lgkmcnt(0)
	v_fma_f64 v[73:74], v[79:80], v[81:82], v[73:74]
	s_and_saveexec_b32 s3, s0
	s_cbranch_execz .LBB99_372
; %bb.371:
	scratch_load_b64 v[79:80], off, off offset:16
	v_mov_b32_e32 v81, 0
	ds_load_b64 v[81:82], v81 offset:304
	s_waitcnt vmcnt(0) lgkmcnt(0)
	v_fma_f64 v[73:74], v[79:80], v[81:82], v[73:74]
.LBB99_372:
	s_or_b32 exec_lo, exec_lo, s3
.LBB99_373:
	s_delay_alu instid0(SALU_CYCLE_1)
	s_or_b32 exec_lo, exec_lo, s2
	v_mov_b32_e32 v79, 0
	ds_load_b64 v[79:80], v79 offset:24
	s_waitcnt lgkmcnt(0)
	v_mul_f64 v[73:74], v[73:74], v[79:80]
	scratch_store_b64 off, v[73:74], off offset:24
.LBB99_374:
	s_or_b32 exec_lo, exec_lo, s1
	scratch_load_b64 v[73:74], off, off offset:32
	s_mov_b32 s0, exec_lo
	s_waitcnt vmcnt(0)
	ds_store_b64 v76, v[73:74]
	s_waitcnt lgkmcnt(0)
	s_waitcnt_vscnt null, 0x0
	s_barrier
	buffer_gl0_inv
	v_cmpx_gt_u32_e32 4, v0
	s_cbranch_execz .LBB99_384
; %bb.375:
	v_cmp_ne_u32_e32 vcc_lo, 1, v78
	s_cbranch_vccnz .LBB99_377
; %bb.376:
	scratch_load_b64 v[73:74], v77, off
	ds_load_b64 v[79:80], v76
	s_waitcnt vmcnt(0) lgkmcnt(0)
	v_mul_f64 v[73:74], v[73:74], v[79:80]
	s_cbranch_execz .LBB99_378
	s_branch .LBB99_379
.LBB99_377:
                                        ; implicit-def: $vgpr73_vgpr74
.LBB99_378:
	ds_load_b64 v[73:74], v76
.LBB99_379:
	s_mov_b32 s1, exec_lo
	v_cmpx_ne_u32_e32 3, v0
	s_cbranch_execz .LBB99_383
; %bb.380:
	v_add_nc_u32_e32 v79, 0x128, v75
	v_add3_u32 v80, 0, v75, 8
	v_mov_b32_e32 v81, v0
	s_mov_b32 s2, 0
.LBB99_381:                             ; =>This Inner Loop Header: Depth=1
	scratch_load_b64 v[82:83], v80, off
	ds_load_b64 v[84:85], v79
	v_add_nc_u32_e32 v81, 1, v81
	v_add_nc_u32_e32 v79, 8, v79
	v_add_nc_u32_e32 v80, 8, v80
	s_delay_alu instid0(VALU_DEP_3)
	v_cmp_lt_u32_e32 vcc_lo, 2, v81
	s_or_b32 s2, vcc_lo, s2
	s_waitcnt vmcnt(0) lgkmcnt(0)
	v_fma_f64 v[73:74], v[82:83], v[84:85], v[73:74]
	s_and_not1_b32 exec_lo, exec_lo, s2
	s_cbranch_execnz .LBB99_381
; %bb.382:
	s_or_b32 exec_lo, exec_lo, s2
.LBB99_383:
	s_delay_alu instid0(SALU_CYCLE_1)
	s_or_b32 exec_lo, exec_lo, s1
	v_mov_b32_e32 v79, 0
	ds_load_b64 v[79:80], v79 offset:32
	s_waitcnt lgkmcnt(0)
	v_mul_f64 v[73:74], v[73:74], v[79:80]
	scratch_store_b64 off, v[73:74], off offset:32
.LBB99_384:
	s_or_b32 exec_lo, exec_lo, s0
	scratch_load_b64 v[73:74], off, off offset:40
	s_mov_b32 s0, exec_lo
	s_waitcnt vmcnt(0)
	ds_store_b64 v76, v[73:74]
	s_waitcnt lgkmcnt(0)
	s_waitcnt_vscnt null, 0x0
	s_barrier
	buffer_gl0_inv
	v_cmpx_gt_u32_e32 5, v0
	s_cbranch_execz .LBB99_394
; %bb.385:
	v_cmp_ne_u32_e32 vcc_lo, 1, v78
	s_cbranch_vccnz .LBB99_387
; %bb.386:
	scratch_load_b64 v[73:74], v77, off
	ds_load_b64 v[79:80], v76
	s_waitcnt vmcnt(0) lgkmcnt(0)
	v_mul_f64 v[73:74], v[73:74], v[79:80]
	s_cbranch_execz .LBB99_388
	s_branch .LBB99_389
.LBB99_387:
                                        ; implicit-def: $vgpr73_vgpr74
.LBB99_388:
	ds_load_b64 v[73:74], v76
.LBB99_389:
	s_mov_b32 s1, exec_lo
	v_cmpx_ne_u32_e32 4, v0
	s_cbranch_execz .LBB99_393
; %bb.390:
	v_add_nc_u32_e32 v79, 0x128, v75
	v_add3_u32 v80, 0, v75, 8
	v_mov_b32_e32 v81, v0
	s_mov_b32 s2, 0
.LBB99_391:                             ; =>This Inner Loop Header: Depth=1
	scratch_load_b64 v[82:83], v80, off
	ds_load_b64 v[84:85], v79
	v_add_nc_u32_e32 v81, 1, v81
	v_add_nc_u32_e32 v79, 8, v79
	v_add_nc_u32_e32 v80, 8, v80
	s_delay_alu instid0(VALU_DEP_3)
	v_cmp_lt_u32_e32 vcc_lo, 3, v81
	s_or_b32 s2, vcc_lo, s2
	s_waitcnt vmcnt(0) lgkmcnt(0)
	v_fma_f64 v[73:74], v[82:83], v[84:85], v[73:74]
	s_and_not1_b32 exec_lo, exec_lo, s2
	s_cbranch_execnz .LBB99_391
; %bb.392:
	s_or_b32 exec_lo, exec_lo, s2
.LBB99_393:
	s_delay_alu instid0(SALU_CYCLE_1)
	s_or_b32 exec_lo, exec_lo, s1
	v_mov_b32_e32 v79, 0
	ds_load_b64 v[79:80], v79 offset:40
	s_waitcnt lgkmcnt(0)
	v_mul_f64 v[73:74], v[73:74], v[79:80]
	scratch_store_b64 off, v[73:74], off offset:40
.LBB99_394:
	;; [unrolled: 58-line block ×30, first 2 shown]
	s_or_b32 exec_lo, exec_lo, s0
	scratch_load_b64 v[73:74], off, off offset:272
	v_cmp_gt_u32_e64 s0, 34, v0
	s_waitcnt vmcnt(0)
	ds_store_b64 v76, v[73:74]
	s_waitcnt lgkmcnt(0)
	s_waitcnt_vscnt null, 0x0
	s_barrier
	buffer_gl0_inv
	s_and_saveexec_b32 s1, s0
	s_cbranch_execz .LBB99_684
; %bb.675:
	v_cmp_ne_u32_e32 vcc_lo, 1, v78
	s_cbranch_vccnz .LBB99_677
; %bb.676:
	scratch_load_b64 v[73:74], v77, off
	ds_load_b64 v[79:80], v76
	s_waitcnt vmcnt(0) lgkmcnt(0)
	v_mul_f64 v[73:74], v[73:74], v[79:80]
	s_cbranch_execz .LBB99_678
	s_branch .LBB99_679
.LBB99_677:
                                        ; implicit-def: $vgpr73_vgpr74
.LBB99_678:
	ds_load_b64 v[73:74], v76
.LBB99_679:
	s_mov_b32 s2, exec_lo
	v_cmpx_ne_u32_e32 33, v0
	s_cbranch_execz .LBB99_683
; %bb.680:
	v_add_nc_u32_e32 v79, 0x128, v75
	v_add3_u32 v80, 0, v75, 8
	v_mov_b32_e32 v81, v0
	s_mov_b32 s3, 0
.LBB99_681:                             ; =>This Inner Loop Header: Depth=1
	scratch_load_b64 v[82:83], v80, off
	ds_load_b64 v[84:85], v79
	v_add_nc_u32_e32 v81, 1, v81
	v_add_nc_u32_e32 v79, 8, v79
	;; [unrolled: 1-line block ×3, first 2 shown]
	s_delay_alu instid0(VALU_DEP_3)
	v_cmp_lt_u32_e32 vcc_lo, 32, v81
	s_or_b32 s3, vcc_lo, s3
	s_waitcnt vmcnt(0) lgkmcnt(0)
	v_fma_f64 v[73:74], v[82:83], v[84:85], v[73:74]
	s_and_not1_b32 exec_lo, exec_lo, s3
	s_cbranch_execnz .LBB99_681
; %bb.682:
	s_or_b32 exec_lo, exec_lo, s3
.LBB99_683:
	s_delay_alu instid0(SALU_CYCLE_1)
	s_or_b32 exec_lo, exec_lo, s2
	v_mov_b32_e32 v79, 0
	ds_load_b64 v[79:80], v79 offset:272
	s_waitcnt lgkmcnt(0)
	v_mul_f64 v[73:74], v[73:74], v[79:80]
	scratch_store_b64 off, v[73:74], off offset:272
.LBB99_684:
	s_or_b32 exec_lo, exec_lo, s1
	scratch_load_b64 v[73:74], off, off offset:280
	s_mov_b32 s1, exec_lo
	s_waitcnt vmcnt(0)
	ds_store_b64 v76, v[73:74]
	s_waitcnt lgkmcnt(0)
	s_waitcnt_vscnt null, 0x0
	s_barrier
	buffer_gl0_inv
	v_cmpx_ne_u32_e32 35, v0
	s_cbranch_execz .LBB99_694
; %bb.685:
	v_cmp_ne_u32_e32 vcc_lo, 1, v78
	s_cbranch_vccnz .LBB99_687
; %bb.686:
	scratch_load_b64 v[73:74], v77, off
	ds_load_b64 v[77:78], v76
	s_waitcnt vmcnt(0) lgkmcnt(0)
	v_mul_f64 v[73:74], v[73:74], v[77:78]
	s_cbranch_execz .LBB99_688
	s_branch .LBB99_689
.LBB99_687:
                                        ; implicit-def: $vgpr73_vgpr74
.LBB99_688:
	ds_load_b64 v[73:74], v76
.LBB99_689:
	s_and_saveexec_b32 s2, s0
	s_cbranch_execz .LBB99_693
; %bb.690:
	v_add_nc_u32_e32 v76, 0x128, v75
	v_add3_u32 v75, 0, v75, 8
	s_mov_b32 s0, 0
.LBB99_691:                             ; =>This Inner Loop Header: Depth=1
	scratch_load_b64 v[77:78], v75, off
	ds_load_b64 v[79:80], v76
	v_add_nc_u32_e32 v0, 1, v0
	v_add_nc_u32_e32 v76, 8, v76
	;; [unrolled: 1-line block ×3, first 2 shown]
	s_delay_alu instid0(VALU_DEP_3)
	v_cmp_lt_u32_e32 vcc_lo, 33, v0
	s_or_b32 s0, vcc_lo, s0
	s_waitcnt vmcnt(0) lgkmcnt(0)
	v_fma_f64 v[73:74], v[77:78], v[79:80], v[73:74]
	s_and_not1_b32 exec_lo, exec_lo, s0
	s_cbranch_execnz .LBB99_691
; %bb.692:
	s_or_b32 exec_lo, exec_lo, s0
.LBB99_693:
	s_delay_alu instid0(SALU_CYCLE_1)
	s_or_b32 exec_lo, exec_lo, s2
	v_mov_b32_e32 v0, 0
	ds_load_b64 v[75:76], v0 offset:280
	s_waitcnt lgkmcnt(0)
	v_mul_f64 v[73:74], v[73:74], v[75:76]
	scratch_store_b64 off, v[73:74], off offset:280
.LBB99_694:
	s_or_b32 exec_lo, exec_lo, s1
.LBB99_695:
	s_clause 0xb
	scratch_load_b128 v[73:76], off, off
	scratch_load_b128 v[77:80], off, off offset:16
	scratch_load_b128 v[81:84], off, off offset:32
	;; [unrolled: 1-line block ×11, first 2 shown]
	s_waitcnt vmcnt(11)
	s_clause 0x1
	global_store_b64 v[21:22], v[73:74], off
	global_store_b64 v[11:12], v[75:76], off
	scratch_load_b128 v[73:76], off, off offset:176
	s_waitcnt vmcnt(11)
	s_clause 0x1
	global_store_b64 v[3:4], v[77:78], off
	global_store_b64 v[1:2], v[79:80], off
	s_clause 0x1
	scratch_load_b128 v[0:3], off, off offset:208
	scratch_load_b128 v[77:80], off, off offset:224
	s_waitcnt vmcnt(12)
	s_clause 0x1
	global_store_b64 v[17:18], v[81:82], off
	global_store_b64 v[9:10], v[83:84], off
	s_clause 0x1
	scratch_load_b128 v[9:12], off, off offset:240
	scratch_load_b128 v[81:84], off, off offset:256
	s_waitcnt vmcnt(13)
	s_clause 0x1
	global_store_b64 v[7:8], v[85:86], off
	global_store_b64 v[5:6], v[87:88], off
	scratch_load_b128 v[4:7], off, off offset:272
	s_waitcnt vmcnt(13)
	s_clause 0x1
	global_store_b64 v[13:14], v[89:90], off
	global_store_b64 v[15:16], v[91:92], off
	s_waitcnt vmcnt(12)
	s_clause 0x1
	global_store_b64 v[19:20], v[93:94], off
	global_store_b64 v[23:24], v[95:96], off
	;; [unrolled: 4-line block ×8, first 2 shown]
	global_store_b64 v[51:52], v[117:118], off
	global_store_b64 v[53:54], v[119:120], off
	s_waitcnt vmcnt(4)
	s_clause 0x1
	global_store_b64 v[55:56], v[0:1], off
	global_store_b64 v[57:58], v[2:3], off
	s_waitcnt vmcnt(3)
	s_clause 0x1
	;; [unrolled: 4-line block ×5, first 2 shown]
	global_store_b64 v[65:66], v[4:5], off
	global_store_b64 v[39:40], v[6:7], off
.LBB99_696:
	s_endpgm
	.section	.rodata,"a",@progbits
	.p2align	6, 0x0
	.amdhsa_kernel _ZN9rocsolver6v33100L18trti2_kernel_smallILi36EdPKPdEEv13rocblas_fill_17rocblas_diagonal_T1_iil
		.amdhsa_group_segment_fixed_size 576
		.amdhsa_private_segment_fixed_size 304
		.amdhsa_kernarg_size 32
		.amdhsa_user_sgpr_count 15
		.amdhsa_user_sgpr_dispatch_ptr 0
		.amdhsa_user_sgpr_queue_ptr 0
		.amdhsa_user_sgpr_kernarg_segment_ptr 1
		.amdhsa_user_sgpr_dispatch_id 0
		.amdhsa_user_sgpr_private_segment_size 0
		.amdhsa_wavefront_size32 1
		.amdhsa_uses_dynamic_stack 0
		.amdhsa_enable_private_segment 1
		.amdhsa_system_sgpr_workgroup_id_x 1
		.amdhsa_system_sgpr_workgroup_id_y 0
		.amdhsa_system_sgpr_workgroup_id_z 0
		.amdhsa_system_sgpr_workgroup_info 0
		.amdhsa_system_vgpr_workitem_id 0
		.amdhsa_next_free_vgpr 122
		.amdhsa_next_free_sgpr 16
		.amdhsa_reserve_vcc 1
		.amdhsa_float_round_mode_32 0
		.amdhsa_float_round_mode_16_64 0
		.amdhsa_float_denorm_mode_32 3
		.amdhsa_float_denorm_mode_16_64 3
		.amdhsa_dx10_clamp 1
		.amdhsa_ieee_mode 1
		.amdhsa_fp16_overflow 0
		.amdhsa_workgroup_processor_mode 1
		.amdhsa_memory_ordered 1
		.amdhsa_forward_progress 0
		.amdhsa_shared_vgpr_count 0
		.amdhsa_exception_fp_ieee_invalid_op 0
		.amdhsa_exception_fp_denorm_src 0
		.amdhsa_exception_fp_ieee_div_zero 0
		.amdhsa_exception_fp_ieee_overflow 0
		.amdhsa_exception_fp_ieee_underflow 0
		.amdhsa_exception_fp_ieee_inexact 0
		.amdhsa_exception_int_div_zero 0
	.end_amdhsa_kernel
	.section	.text._ZN9rocsolver6v33100L18trti2_kernel_smallILi36EdPKPdEEv13rocblas_fill_17rocblas_diagonal_T1_iil,"axG",@progbits,_ZN9rocsolver6v33100L18trti2_kernel_smallILi36EdPKPdEEv13rocblas_fill_17rocblas_diagonal_T1_iil,comdat
.Lfunc_end99:
	.size	_ZN9rocsolver6v33100L18trti2_kernel_smallILi36EdPKPdEEv13rocblas_fill_17rocblas_diagonal_T1_iil, .Lfunc_end99-_ZN9rocsolver6v33100L18trti2_kernel_smallILi36EdPKPdEEv13rocblas_fill_17rocblas_diagonal_T1_iil
                                        ; -- End function
	.section	.AMDGPU.csdata,"",@progbits
; Kernel info:
; codeLenInByte = 19552
; NumSgprs: 18
; NumVgprs: 122
; ScratchSize: 304
; MemoryBound: 0
; FloatMode: 240
; IeeeMode: 1
; LDSByteSize: 576 bytes/workgroup (compile time only)
; SGPRBlocks: 2
; VGPRBlocks: 15
; NumSGPRsForWavesPerEU: 18
; NumVGPRsForWavesPerEU: 122
; Occupancy: 10
; WaveLimiterHint : 1
; COMPUTE_PGM_RSRC2:SCRATCH_EN: 1
; COMPUTE_PGM_RSRC2:USER_SGPR: 15
; COMPUTE_PGM_RSRC2:TRAP_HANDLER: 0
; COMPUTE_PGM_RSRC2:TGID_X_EN: 1
; COMPUTE_PGM_RSRC2:TGID_Y_EN: 0
; COMPUTE_PGM_RSRC2:TGID_Z_EN: 0
; COMPUTE_PGM_RSRC2:TIDIG_COMP_CNT: 0
	.section	.text._ZN9rocsolver6v33100L18trti2_kernel_smallILi37EdPKPdEEv13rocblas_fill_17rocblas_diagonal_T1_iil,"axG",@progbits,_ZN9rocsolver6v33100L18trti2_kernel_smallILi37EdPKPdEEv13rocblas_fill_17rocblas_diagonal_T1_iil,comdat
	.globl	_ZN9rocsolver6v33100L18trti2_kernel_smallILi37EdPKPdEEv13rocblas_fill_17rocblas_diagonal_T1_iil ; -- Begin function _ZN9rocsolver6v33100L18trti2_kernel_smallILi37EdPKPdEEv13rocblas_fill_17rocblas_diagonal_T1_iil
	.p2align	8
	.type	_ZN9rocsolver6v33100L18trti2_kernel_smallILi37EdPKPdEEv13rocblas_fill_17rocblas_diagonal_T1_iil,@function
_ZN9rocsolver6v33100L18trti2_kernel_smallILi37EdPKPdEEv13rocblas_fill_17rocblas_diagonal_T1_iil: ; @_ZN9rocsolver6v33100L18trti2_kernel_smallILi37EdPKPdEEv13rocblas_fill_17rocblas_diagonal_T1_iil
; %bb.0:
	s_mov_b32 s2, exec_lo
	v_cmpx_gt_u32_e32 37, v0
	s_cbranch_execz .LBB100_716
; %bb.1:
	s_clause 0x1
	s_load_b64 s[4:5], s[0:1], 0x10
	s_load_b128 s[0:3], s[0:1], 0x0
	s_mov_b32 s6, s15
	s_ashr_i32 s7, s15, 31
	v_lshlrev_b32_e32 v87, 3, v0
	s_lshl_b64 s[6:7], s[6:7], 3
	s_waitcnt lgkmcnt(0)
	s_ashr_i32 s9, s4, 31
	v_add3_u32 v1, s5, s5, v0
	s_add_u32 s2, s2, s6
	s_addc_u32 s3, s3, s7
	s_mov_b32 s8, s4
	s_load_b64 s[2:3], s[2:3], 0x0
	v_add_nc_u32_e32 v3, s5, v1
	v_ashrrev_i32_e32 v2, 31, v1
	s_lshl_b64 s[8:9], s[8:9], 3
	s_mov_b32 s6, s5
	s_delay_alu instid0(VALU_DEP_2) | instskip(SKIP_2) | instid1(VALU_DEP_3)
	v_add_nc_u32_e32 v5, s5, v3
	v_ashrrev_i32_e32 v4, 31, v3
	v_lshlrev_b64 v[9:10], 3, v[1:2]
	v_add_nc_u32_e32 v7, s5, v5
	v_ashrrev_i32_e32 v6, 31, v5
	s_delay_alu instid0(VALU_DEP_4) | instskip(NEXT) | instid1(VALU_DEP_3)
	v_lshlrev_b64 v[3:4], 3, v[3:4]
	v_add_nc_u32_e32 v11, s5, v7
	v_ashrrev_i32_e32 v8, 31, v7
	s_delay_alu instid0(VALU_DEP_4)
	v_lshlrev_b64 v[5:6], 3, v[5:6]
	s_waitcnt lgkmcnt(0)
	s_add_u32 s2, s2, s8
	s_addc_u32 s3, s3, s9
	v_add_nc_u32_e32 v19, s5, v11
	v_add_co_u32 v23, vcc_lo, s2, v9
	v_add_co_ci_u32_e32 v24, vcc_lo, s3, v10, vcc_lo
	v_lshlrev_b64 v[7:8], 3, v[7:8]
	v_add_co_u32 v17, vcc_lo, s2, v3
	v_ashrrev_i32_e32 v12, 31, v11
	v_add_co_ci_u32_e32 v18, vcc_lo, s3, v4, vcc_lo
	v_add_nc_u32_e32 v21, s5, v19
	v_add_co_u32 v15, vcc_lo, s2, v5
	v_add_co_u32 v29, s4, s2, v87
	v_ashrrev_i32_e32 v20, 31, v19
	s_ashr_i32 s7, s5, 31
	v_add_co_ci_u32_e32 v16, vcc_lo, s3, v6, vcc_lo
	v_add_co_ci_u32_e64 v30, null, s3, 0, s4
	v_add_co_u32 v13, vcc_lo, s2, v7
	v_lshlrev_b64 v[25:26], 3, v[11:12]
	s_lshl_b64 s[6:7], s[6:7], 3
	v_add_nc_u32_e32 v33, s5, v21
	v_add_co_ci_u32_e32 v14, vcc_lo, s3, v8, vcc_lo
	v_add_co_u32 v31, vcc_lo, v29, s6
	v_lshlrev_b64 v[27:28], 3, v[19:20]
	v_add_co_ci_u32_e32 v32, vcc_lo, s7, v30, vcc_lo
	v_add_co_u32 v19, vcc_lo, s2, v25
	v_ashrrev_i32_e32 v34, 31, v33
	v_add_nc_u32_e32 v35, s5, v33
	v_add_co_ci_u32_e32 v20, vcc_lo, s3, v26, vcc_lo
	v_ashrrev_i32_e32 v22, 31, v21
	v_add_co_u32 v25, vcc_lo, s2, v27
	v_add_co_ci_u32_e32 v26, vcc_lo, s3, v28, vcc_lo
	v_lshlrev_b64 v[27:28], 3, v[33:34]
	v_add_nc_u32_e32 v33, s5, v35
	v_lshlrev_b64 v[21:22], 3, v[21:22]
	v_ashrrev_i32_e32 v36, 31, v35
	s_clause 0x1
	global_load_b64 v[1:2], v87, s[2:3]
	global_load_b64 v[7:8], v[13:14], off
	v_add_nc_u32_e32 v37, s5, v33
	v_ashrrev_i32_e32 v34, 31, v33
	v_add_co_u32 v21, vcc_lo, s2, v21
	v_lshlrev_b64 v[35:36], 3, v[35:36]
	s_delay_alu instid0(VALU_DEP_4)
	v_add_nc_u32_e32 v41, s5, v37
	v_add_co_ci_u32_e32 v22, vcc_lo, s3, v22, vcc_lo
	v_add_co_u32 v27, vcc_lo, s2, v27
	v_lshlrev_b64 v[39:40], 3, v[33:34]
	v_add_co_ci_u32_e32 v28, vcc_lo, s3, v28, vcc_lo
	v_add_co_u32 v33, vcc_lo, s2, v35
	v_ashrrev_i32_e32 v42, 31, v41
	v_add_nc_u32_e32 v43, s5, v41
	v_add_co_ci_u32_e32 v34, vcc_lo, s3, v36, vcc_lo
	v_ashrrev_i32_e32 v38, 31, v37
	v_add_co_u32 v35, vcc_lo, s2, v39
	v_add_co_ci_u32_e32 v36, vcc_lo, s3, v40, vcc_lo
	v_lshlrev_b64 v[39:40], 3, v[41:42]
	v_add_nc_u32_e32 v41, s5, v43
	v_lshlrev_b64 v[37:38], 3, v[37:38]
	v_ashrrev_i32_e32 v44, 31, v43
	s_clause 0x3
	global_load_b64 v[3:4], v[31:32], off
	global_load_b64 v[9:10], v[23:24], off
	global_load_b64 v[11:12], v[17:18], off
	global_load_b64 v[5:6], v[15:16], off
	s_cmpk_lg_i32 s1, 0x84
	v_add_nc_u32_e32 v45, s5, v41
	v_ashrrev_i32_e32 v42, 31, v41
	v_add_co_u32 v37, vcc_lo, s2, v37
	v_lshlrev_b64 v[43:44], 3, v[43:44]
	s_delay_alu instid0(VALU_DEP_4)
	v_add_nc_u32_e32 v49, s5, v45
	v_add_co_ci_u32_e32 v38, vcc_lo, s3, v38, vcc_lo
	v_add_co_u32 v39, vcc_lo, s2, v39
	v_lshlrev_b64 v[47:48], 3, v[41:42]
	v_ashrrev_i32_e32 v46, 31, v45
	v_add_co_ci_u32_e32 v40, vcc_lo, s3, v40, vcc_lo
	v_add_co_u32 v41, vcc_lo, s2, v43
	v_ashrrev_i32_e32 v50, 31, v49
	v_add_co_ci_u32_e32 v42, vcc_lo, s3, v44, vcc_lo
	v_lshlrev_b64 v[45:46], 3, v[45:46]
	v_add_co_u32 v43, vcc_lo, s2, v47
	v_add_co_ci_u32_e32 v44, vcc_lo, s3, v48, vcc_lo
	v_lshlrev_b64 v[47:48], 3, v[49:50]
	s_delay_alu instid0(VALU_DEP_4)
	v_add_co_u32 v45, vcc_lo, s2, v45
	v_add_co_ci_u32_e32 v46, vcc_lo, s3, v46, vcc_lo
	s_clause 0x7
	global_load_b64 v[88:89], v[19:20], off
	global_load_b64 v[90:91], v[25:26], off
	;; [unrolled: 1-line block ×8, first 2 shown]
	v_add_co_u32 v47, vcc_lo, s2, v47
	v_add_co_ci_u32_e32 v48, vcc_lo, s3, v48, vcc_lo
	s_clause 0x3
	global_load_b64 v[104:105], v[41:42], off
	global_load_b64 v[106:107], v[43:44], off
	;; [unrolled: 1-line block ×4, first 2 shown]
	v_add_nc_u32_e32 v49, s5, v49
	s_delay_alu instid0(VALU_DEP_1) | instskip(SKIP_1) | instid1(VALU_DEP_2)
	v_add_nc_u32_e32 v51, s5, v49
	v_ashrrev_i32_e32 v50, 31, v49
	v_add_nc_u32_e32 v53, s5, v51
	v_ashrrev_i32_e32 v52, 31, v51
	s_delay_alu instid0(VALU_DEP_3) | instskip(NEXT) | instid1(VALU_DEP_3)
	v_lshlrev_b64 v[49:50], 3, v[49:50]
	v_add_nc_u32_e32 v55, s5, v53
	v_ashrrev_i32_e32 v54, 31, v53
	s_delay_alu instid0(VALU_DEP_4) | instskip(NEXT) | instid1(VALU_DEP_4)
	v_lshlrev_b64 v[51:52], 3, v[51:52]
	v_add_co_u32 v49, vcc_lo, s2, v49
	s_delay_alu instid0(VALU_DEP_4) | instskip(SKIP_3) | instid1(VALU_DEP_4)
	v_add_nc_u32_e32 v57, s5, v55
	v_ashrrev_i32_e32 v56, 31, v55
	v_lshlrev_b64 v[53:54], 3, v[53:54]
	v_add_co_ci_u32_e32 v50, vcc_lo, s3, v50, vcc_lo
	v_add_nc_u32_e32 v59, s5, v57
	v_ashrrev_i32_e32 v58, 31, v57
	v_add_co_u32 v51, vcc_lo, s2, v51
	v_lshlrev_b64 v[55:56], 3, v[55:56]
	s_delay_alu instid0(VALU_DEP_4) | instskip(SKIP_3) | instid1(VALU_DEP_4)
	v_add_nc_u32_e32 v61, s5, v59
	v_ashrrev_i32_e32 v60, 31, v59
	v_add_co_ci_u32_e32 v52, vcc_lo, s3, v52, vcc_lo
	v_add_co_u32 v53, vcc_lo, s2, v53
	v_add_nc_u32_e32 v63, s5, v61
	v_lshlrev_b64 v[57:58], 3, v[57:58]
	v_ashrrev_i32_e32 v62, 31, v61
	v_add_co_ci_u32_e32 v54, vcc_lo, s3, v54, vcc_lo
	s_delay_alu instid0(VALU_DEP_4) | instskip(SKIP_3) | instid1(VALU_DEP_4)
	v_add_nc_u32_e32 v65, s5, v63
	v_add_co_u32 v55, vcc_lo, s2, v55
	v_lshlrev_b64 v[59:60], 3, v[59:60]
	v_ashrrev_i32_e32 v64, 31, v63
	v_add_nc_u32_e32 v67, s5, v65
	v_add_co_ci_u32_e32 v56, vcc_lo, s3, v56, vcc_lo
	v_add_co_u32 v57, vcc_lo, s2, v57
	s_delay_alu instid0(VALU_DEP_3) | instskip(SKIP_3) | instid1(VALU_DEP_4)
	v_add_nc_u32_e32 v69, s5, v67
	v_lshlrev_b64 v[61:62], 3, v[61:62]
	v_ashrrev_i32_e32 v66, 31, v65
	v_add_co_ci_u32_e32 v58, vcc_lo, s3, v58, vcc_lo
	v_add_nc_u32_e32 v71, s5, v69
	v_add_co_u32 v59, vcc_lo, s2, v59
	v_lshlrev_b64 v[63:64], 3, v[63:64]
	v_ashrrev_i32_e32 v68, 31, v67
	s_delay_alu instid0(VALU_DEP_4) | instskip(SKIP_2) | instid1(VALU_DEP_3)
	v_add_nc_u32_e32 v73, s5, v71
	v_add_co_ci_u32_e32 v60, vcc_lo, s3, v60, vcc_lo
	v_add_co_u32 v61, vcc_lo, s2, v61
	v_add_nc_u32_e32 v75, s5, v73
	v_lshlrev_b64 v[65:66], 3, v[65:66]
	v_ashrrev_i32_e32 v70, 31, v69
	v_add_co_ci_u32_e32 v62, vcc_lo, s3, v62, vcc_lo
	s_delay_alu instid0(VALU_DEP_4)
	v_add_nc_u32_e32 v77, s5, v75
	v_add_co_u32 v63, vcc_lo, s2, v63
	v_lshlrev_b64 v[67:68], 3, v[67:68]
	v_ashrrev_i32_e32 v72, 31, v71
	v_add_co_ci_u32_e32 v64, vcc_lo, s3, v64, vcc_lo
	v_add_nc_u32_e32 v79, s5, v77
	v_add_co_u32 v65, vcc_lo, s2, v65
	v_lshlrev_b64 v[69:70], 3, v[69:70]
	v_ashrrev_i32_e32 v74, 31, v73
	v_add_co_ci_u32_e32 v66, vcc_lo, s3, v66, vcc_lo
	v_add_co_u32 v67, vcc_lo, s2, v67
	v_lshlrev_b64 v[71:72], 3, v[71:72]
	v_ashrrev_i32_e32 v76, 31, v75
	v_add_nc_u32_e32 v81, s5, v79
	v_add_co_ci_u32_e32 v68, vcc_lo, s3, v68, vcc_lo
	v_add_co_u32 v69, vcc_lo, s2, v69
	v_lshlrev_b64 v[73:74], 3, v[73:74]
	v_ashrrev_i32_e32 v78, 31, v77
	v_add_co_ci_u32_e32 v70, vcc_lo, s3, v70, vcc_lo
	v_add_co_u32 v71, vcc_lo, s2, v71
	v_lshlrev_b64 v[75:76], 3, v[75:76]
	v_add_nc_u32_e32 v83, s5, v81
	v_ashrrev_i32_e32 v80, 31, v79
	v_add_co_ci_u32_e32 v72, vcc_lo, s3, v72, vcc_lo
	v_add_co_u32 v73, vcc_lo, s2, v73
	v_lshlrev_b64 v[77:78], 3, v[77:78]
	v_ashrrev_i32_e32 v82, 31, v81
	v_add_co_ci_u32_e32 v74, vcc_lo, s3, v74, vcc_lo
	v_add_nc_u32_e32 v85, s5, v83
	v_add_co_u32 v75, vcc_lo, s2, v75
	v_lshlrev_b64 v[79:80], 3, v[79:80]
	v_ashrrev_i32_e32 v84, 31, v83
	v_add_co_ci_u32_e32 v76, vcc_lo, s3, v76, vcc_lo
	v_add_co_u32 v77, vcc_lo, s2, v77
	v_lshlrev_b64 v[81:82], 3, v[81:82]
	v_ashrrev_i32_e32 v86, 31, v85
	v_add_co_ci_u32_e32 v78, vcc_lo, s3, v78, vcc_lo
	v_add_co_u32 v79, vcc_lo, s2, v79
	v_lshlrev_b64 v[83:84], 3, v[83:84]
	v_add_co_ci_u32_e32 v80, vcc_lo, s3, v80, vcc_lo
	v_add_co_u32 v81, vcc_lo, s2, v81
	v_lshlrev_b64 v[85:86], 3, v[85:86]
	v_add_co_ci_u32_e32 v82, vcc_lo, s3, v82, vcc_lo
	v_add_co_u32 v83, vcc_lo, s2, v83
	v_add_co_ci_u32_e32 v84, vcc_lo, s3, v84, vcc_lo
	s_delay_alu instid0(VALU_DEP_4)
	v_add_co_u32 v85, vcc_lo, s2, v85
	v_add_co_ci_u32_e32 v86, vcc_lo, s3, v86, vcc_lo
	s_cselect_b32 s3, -1, 0
	s_cmpk_eq_i32 s1, 0x84
	s_waitcnt vmcnt(15)
	scratch_store_b128 off, v[1:4], off
	s_clause 0x2
	global_load_b64 v[1:2], v[49:50], off
	global_load_b64 v[3:4], v[51:52], off
	global_load_b64 v[112:113], v[53:54], off
	s_waitcnt vmcnt(16)
	scratch_store_b128 off, v[9:12], off offset:16
	s_waitcnt vmcnt(15)
	scratch_store_b128 off, v[5:8], off offset:32
	s_clause 0x3
	global_load_b64 v[114:115], v[55:56], off
	global_load_b64 v[5:6], v[57:58], off
	global_load_b64 v[7:8], v[59:60], off
	global_load_b64 v[9:10], v[61:62], off
	s_waitcnt vmcnt(17)
	scratch_store_b128 off, v[88:91], off offset:48
	s_waitcnt vmcnt(15)
	scratch_store_b128 off, v[92:95], off offset:64
	s_clause 0x3
	global_load_b64 v[11:12], v[63:64], off
	;; [unrolled: 9-line block ×4, first 2 shown]
	global_load_b64 v[104:105], v[81:82], off
	global_load_b64 v[106:107], v[83:84], off
	;; [unrolled: 1-line block ×3, first 2 shown]
	s_waitcnt vmcnt(17)
	scratch_store_b128 off, v[1:4], off offset:144
	s_waitcnt vmcnt(15)
	scratch_store_b128 off, v[112:115], off offset:160
	;; [unrolled: 2-line block ×7, first 2 shown]
	v_mov_b32_e32 v1, 0
	v_mov_b32_e32 v2, 0xbff00000
	s_waitcnt vmcnt(3)
	scratch_store_b128 off, v[100:103], off offset:256
	s_waitcnt vmcnt(1)
	scratch_store_b128 off, v[104:107], off offset:272
	s_waitcnt vmcnt(0)
	scratch_store_b64 off, v[108:109], off offset:288
	s_cbranch_scc1 .LBB100_3
; %bb.2:
	scratch_load_b64 v[1:2], v87, off
	s_waitcnt vmcnt(0)
	v_div_scale_f64 v[3:4], null, v[1:2], v[1:2], 1.0
	v_div_scale_f64 v[9:10], vcc_lo, 1.0, v[1:2], 1.0
	s_delay_alu instid0(VALU_DEP_2) | instskip(SKIP_2) | instid1(VALU_DEP_1)
	v_rcp_f64_e32 v[5:6], v[3:4]
	s_waitcnt_depctr 0xfff
	v_fma_f64 v[7:8], -v[3:4], v[5:6], 1.0
	v_fma_f64 v[5:6], v[5:6], v[7:8], v[5:6]
	s_delay_alu instid0(VALU_DEP_1) | instskip(NEXT) | instid1(VALU_DEP_1)
	v_fma_f64 v[7:8], -v[3:4], v[5:6], 1.0
	v_fma_f64 v[5:6], v[5:6], v[7:8], v[5:6]
	s_delay_alu instid0(VALU_DEP_1) | instskip(NEXT) | instid1(VALU_DEP_1)
	v_mul_f64 v[7:8], v[9:10], v[5:6]
	v_fma_f64 v[3:4], -v[3:4], v[7:8], v[9:10]
	s_delay_alu instid0(VALU_DEP_1) | instskip(NEXT) | instid1(VALU_DEP_1)
	v_div_fmas_f64 v[3:4], v[3:4], v[5:6], v[7:8]
	v_div_fixup_f64 v[1:2], v[3:4], v[1:2], 1.0
	scratch_store_b64 v87, v[1:2], off
	v_xor_b32_e32 v2, 0x80000000, v2
.LBB100_3:
	v_add_nc_u32_e32 v3, 0x130, v87
	v_add_nc_u32_e32 v4, 0, v87
	s_cmpk_eq_i32 s0, 0x79
	s_mov_b32 s0, -1
	ds_store_b64 v87, v[1:2]
	s_cbranch_scc1 .LBB100_359
; %bb.4:
	scratch_load_b64 v[1:2], off, off offset:280
	v_cmp_eq_u32_e64 s0, 36, v0
	s_movk_i32 s1, 0x50
	s_movk_i32 s2, 0x60
	;; [unrolled: 1-line block ×13, first 2 shown]
	s_waitcnt vmcnt(0)
	ds_store_b64 v3, v[1:2]
	s_waitcnt lgkmcnt(0)
	s_waitcnt_vscnt null, 0x0
	s_barrier
	buffer_gl0_inv
	s_and_saveexec_b32 s15, s0
	s_cbranch_execz .LBB100_10
; %bb.5:
	s_and_b32 vcc_lo, exec_lo, s3
	s_cbranch_vccz .LBB100_7
; %bb.6:
	scratch_load_b64 v[1:2], v4, off
	ds_load_b64 v[5:6], v3
	s_waitcnt vmcnt(0) lgkmcnt(0)
	v_mul_f64 v[1:2], v[1:2], v[5:6]
	s_cbranch_execz .LBB100_8
	s_branch .LBB100_9
.LBB100_7:
                                        ; implicit-def: $vgpr1_vgpr2
.LBB100_8:
	ds_load_b64 v[1:2], v3
.LBB100_9:
	v_mov_b32_e32 v5, 0
	ds_load_b64 v[5:6], v5 offset:280
	s_waitcnt lgkmcnt(0)
	v_mul_f64 v[1:2], v[1:2], v[5:6]
	scratch_store_b64 off, v[1:2], off offset:280
.LBB100_10:
	s_or_b32 exec_lo, exec_lo, s15
	scratch_load_b64 v[1:2], off, off offset:272
	v_add_nc_u32_e64 v5, 0, 16
	v_add_nc_u32_e64 v6, 0, 32
	v_add_nc_u32_e64 v7, 0, 48
	v_add_nc_u32_e64 v8, 0, 64
	v_add_nc_u32_e64 v9, s1, 0
	v_add_nc_u32_e64 v10, s2, 0
	v_add_nc_u32_e64 v11, s4, 0
	v_add_nc_u32_e64 v12, s5, 0
	v_add_nc_u32_e64 v88, s6, 0
	v_add_nc_u32_e64 v89, s7, 0
	v_add_nc_u32_e64 v90, s8, 0
	v_add_nc_u32_e64 v91, s9, 0
	v_add_nc_u32_e64 v92, s10, 0
	v_add_nc_u32_e64 v93, s11, 0
	v_add_nc_u32_e64 v94, s12, 0
	v_add_nc_u32_e64 v95, s13, 0
	v_add_nc_u32_e64 v96, s14, 0
	v_cmp_lt_u32_e64 s2, 34, v0
	s_waitcnt vmcnt(0)
	ds_store_b64 v3, v[1:2]
	s_waitcnt lgkmcnt(0)
	s_waitcnt_vscnt null, 0x0
	s_barrier
	buffer_gl0_inv
	s_and_saveexec_b32 s1, s2
	s_cbranch_execz .LBB100_18
; %bb.11:
	s_and_not1_b32 vcc_lo, exec_lo, s3
	s_cbranch_vccnz .LBB100_13
; %bb.12:
	scratch_load_b64 v[1:2], v4, off
	ds_load_b64 v[97:98], v3
	s_waitcnt vmcnt(0) lgkmcnt(0)
	v_mul_f64 v[1:2], v[1:2], v[97:98]
	s_cbranch_execz .LBB100_14
	s_branch .LBB100_15
.LBB100_13:
                                        ; implicit-def: $vgpr1_vgpr2
.LBB100_14:
	ds_load_b64 v[1:2], v3
.LBB100_15:
	s_and_saveexec_b32 s4, s0
	s_cbranch_execz .LBB100_17
; %bb.16:
	scratch_load_b64 v[97:98], off, off offset:280
	v_mov_b32_e32 v99, 0
	ds_load_b64 v[99:100], v99 offset:584
	s_waitcnt vmcnt(0) lgkmcnt(0)
	v_fma_f64 v[1:2], v[97:98], v[99:100], v[1:2]
.LBB100_17:
	s_or_b32 exec_lo, exec_lo, s4
	v_mov_b32_e32 v97, 0
	ds_load_b64 v[97:98], v97 offset:272
	s_waitcnt lgkmcnt(0)
	v_mul_f64 v[1:2], v[1:2], v[97:98]
	scratch_store_b64 off, v[1:2], off offset:272
.LBB100_18:
	s_or_b32 exec_lo, exec_lo, s1
	scratch_load_b64 v[1:2], off, off offset:264
	v_cmp_lt_u32_e64 s1, 33, v0
	s_waitcnt vmcnt(0)
	ds_store_b64 v3, v[1:2]
	s_waitcnt lgkmcnt(0)
	s_waitcnt_vscnt null, 0x0
	s_barrier
	buffer_gl0_inv
	s_and_saveexec_b32 s0, s1
	s_cbranch_execz .LBB100_28
; %bb.19:
	s_and_not1_b32 vcc_lo, exec_lo, s3
	s_cbranch_vccnz .LBB100_21
; %bb.20:
	scratch_load_b64 v[1:2], v4, off
	ds_load_b64 v[97:98], v3
	s_waitcnt vmcnt(0) lgkmcnt(0)
	v_mul_f64 v[1:2], v[1:2], v[97:98]
	s_cbranch_execz .LBB100_22
	s_branch .LBB100_23
.LBB100_21:
                                        ; implicit-def: $vgpr1_vgpr2
.LBB100_22:
	ds_load_b64 v[1:2], v3
.LBB100_23:
	s_and_saveexec_b32 s4, s2
	s_cbranch_execz .LBB100_27
; %bb.24:
	v_subrev_nc_u32_e32 v97, 34, v0
	s_movk_i32 s5, 0x240
	s_mov_b32 s2, 0
.LBB100_25:                             ; =>This Inner Loop Header: Depth=1
	scratch_load_b64 v[98:99], v96, off
	v_dual_mov_b32 v100, s5 :: v_dual_add_nc_u32 v97, -1, v97
	v_add_nc_u32_e32 v96, 8, v96
	s_add_i32 s5, s5, 8
	ds_load_b64 v[100:101], v100
	v_cmp_eq_u32_e32 vcc_lo, 0, v97
	s_or_b32 s2, vcc_lo, s2
	s_waitcnt vmcnt(0) lgkmcnt(0)
	v_fma_f64 v[1:2], v[98:99], v[100:101], v[1:2]
	s_and_not1_b32 exec_lo, exec_lo, s2
	s_cbranch_execnz .LBB100_25
; %bb.26:
	s_or_b32 exec_lo, exec_lo, s2
.LBB100_27:
	s_delay_alu instid0(SALU_CYCLE_1)
	s_or_b32 exec_lo, exec_lo, s4
	v_mov_b32_e32 v96, 0
	ds_load_b64 v[96:97], v96 offset:264
	s_waitcnt lgkmcnt(0)
	v_mul_f64 v[1:2], v[1:2], v[96:97]
	scratch_store_b64 off, v[1:2], off offset:264
.LBB100_28:
	s_or_b32 exec_lo, exec_lo, s0
	scratch_load_b64 v[1:2], off, off offset:256
	v_cmp_lt_u32_e64 s0, 32, v0
	s_waitcnt vmcnt(0)
	ds_store_b64 v3, v[1:2]
	s_waitcnt lgkmcnt(0)
	s_waitcnt_vscnt null, 0x0
	s_barrier
	buffer_gl0_inv
	s_and_saveexec_b32 s2, s0
	s_cbranch_execz .LBB100_38
; %bb.29:
	s_and_not1_b32 vcc_lo, exec_lo, s3
	s_cbranch_vccnz .LBB100_31
; %bb.30:
	scratch_load_b64 v[1:2], v4, off
	ds_load_b64 v[96:97], v3
	s_waitcnt vmcnt(0) lgkmcnt(0)
	v_mul_f64 v[1:2], v[1:2], v[96:97]
	s_cbranch_execz .LBB100_32
	s_branch .LBB100_33
.LBB100_31:
                                        ; implicit-def: $vgpr1_vgpr2
.LBB100_32:
	ds_load_b64 v[1:2], v3
.LBB100_33:
	s_and_saveexec_b32 s4, s1
	s_cbranch_execz .LBB100_37
; %bb.34:
	v_mov_b32_e32 v96, 0
	v_subrev_nc_u32_e32 v97, 33, v0
	s_movk_i32 s5, 0x238
	s_mov_b32 s1, 0
	s_delay_alu instid0(VALU_DEP_2)
	v_add_nc_u32_e32 v96, 0x108, v96
.LBB100_35:                             ; =>This Inner Loop Header: Depth=1
	scratch_load_b64 v[98:99], v96, off
	v_dual_mov_b32 v100, s5 :: v_dual_add_nc_u32 v97, -1, v97
	v_add_nc_u32_e32 v96, 8, v96
	s_add_i32 s5, s5, 8
	ds_load_b64 v[100:101], v100
	v_cmp_eq_u32_e32 vcc_lo, 0, v97
	s_or_b32 s1, vcc_lo, s1
	s_waitcnt vmcnt(0) lgkmcnt(0)
	v_fma_f64 v[1:2], v[98:99], v[100:101], v[1:2]
	s_and_not1_b32 exec_lo, exec_lo, s1
	s_cbranch_execnz .LBB100_35
; %bb.36:
	s_or_b32 exec_lo, exec_lo, s1
.LBB100_37:
	s_delay_alu instid0(SALU_CYCLE_1)
	s_or_b32 exec_lo, exec_lo, s4
	v_mov_b32_e32 v96, 0
	ds_load_b64 v[96:97], v96 offset:256
	s_waitcnt lgkmcnt(0)
	v_mul_f64 v[1:2], v[1:2], v[96:97]
	scratch_store_b64 off, v[1:2], off offset:256
.LBB100_38:
	s_or_b32 exec_lo, exec_lo, s2
	scratch_load_b64 v[1:2], off, off offset:248
	v_cmp_lt_u32_e64 s1, 31, v0
	s_waitcnt vmcnt(0)
	ds_store_b64 v3, v[1:2]
	s_waitcnt lgkmcnt(0)
	s_waitcnt_vscnt null, 0x0
	s_barrier
	buffer_gl0_inv
	s_and_saveexec_b32 s2, s1
	s_cbranch_execz .LBB100_48
; %bb.39:
	s_and_not1_b32 vcc_lo, exec_lo, s3
	s_cbranch_vccnz .LBB100_41
; %bb.40:
	scratch_load_b64 v[1:2], v4, off
	ds_load_b64 v[96:97], v3
	s_waitcnt vmcnt(0) lgkmcnt(0)
	v_mul_f64 v[1:2], v[1:2], v[96:97]
	s_cbranch_execz .LBB100_42
	s_branch .LBB100_43
.LBB100_41:
                                        ; implicit-def: $vgpr1_vgpr2
.LBB100_42:
	ds_load_b64 v[1:2], v3
.LBB100_43:
	s_and_saveexec_b32 s4, s0
	s_cbranch_execz .LBB100_47
; %bb.44:
	v_subrev_nc_u32_e32 v96, 32, v0
	s_movk_i32 s5, 0x230
	s_mov_b32 s0, 0
.LBB100_45:                             ; =>This Inner Loop Header: Depth=1
	scratch_load_b64 v[97:98], v95, off
	v_dual_mov_b32 v99, s5 :: v_dual_add_nc_u32 v96, -1, v96
	v_add_nc_u32_e32 v95, 8, v95
	s_add_i32 s5, s5, 8
	ds_load_b64 v[99:100], v99
	v_cmp_eq_u32_e32 vcc_lo, 0, v96
	s_or_b32 s0, vcc_lo, s0
	s_waitcnt vmcnt(0) lgkmcnt(0)
	v_fma_f64 v[1:2], v[97:98], v[99:100], v[1:2]
	s_and_not1_b32 exec_lo, exec_lo, s0
	s_cbranch_execnz .LBB100_45
; %bb.46:
	s_or_b32 exec_lo, exec_lo, s0
.LBB100_47:
	s_delay_alu instid0(SALU_CYCLE_1)
	s_or_b32 exec_lo, exec_lo, s4
	v_mov_b32_e32 v95, 0
	ds_load_b64 v[95:96], v95 offset:248
	s_waitcnt lgkmcnt(0)
	v_mul_f64 v[1:2], v[1:2], v[95:96]
	scratch_store_b64 off, v[1:2], off offset:248
.LBB100_48:
	s_or_b32 exec_lo, exec_lo, s2
	scratch_load_b64 v[1:2], off, off offset:240
	v_cmp_lt_u32_e64 s0, 30, v0
	s_waitcnt vmcnt(0)
	ds_store_b64 v3, v[1:2]
	s_waitcnt lgkmcnt(0)
	s_waitcnt_vscnt null, 0x0
	s_barrier
	buffer_gl0_inv
	s_and_saveexec_b32 s2, s0
	s_cbranch_execz .LBB100_58
; %bb.49:
	s_and_not1_b32 vcc_lo, exec_lo, s3
	s_cbranch_vccnz .LBB100_51
; %bb.50:
	scratch_load_b64 v[1:2], v4, off
	ds_load_b64 v[95:96], v3
	s_waitcnt vmcnt(0) lgkmcnt(0)
	v_mul_f64 v[1:2], v[1:2], v[95:96]
	s_cbranch_execz .LBB100_52
	s_branch .LBB100_53
.LBB100_51:
                                        ; implicit-def: $vgpr1_vgpr2
.LBB100_52:
	ds_load_b64 v[1:2], v3
.LBB100_53:
	s_and_saveexec_b32 s4, s1
	s_cbranch_execz .LBB100_57
; %bb.54:
	v_mov_b32_e32 v95, 0
	v_subrev_nc_u32_e32 v96, 31, v0
	s_movk_i32 s5, 0x228
	s_mov_b32 s1, 0
	s_delay_alu instid0(VALU_DEP_2)
	v_add_nc_u32_e32 v95, 0xf8, v95
.LBB100_55:                             ; =>This Inner Loop Header: Depth=1
	scratch_load_b64 v[97:98], v95, off
	v_dual_mov_b32 v99, s5 :: v_dual_add_nc_u32 v96, -1, v96
	v_add_nc_u32_e32 v95, 8, v95
	s_add_i32 s5, s5, 8
	ds_load_b64 v[99:100], v99
	v_cmp_eq_u32_e32 vcc_lo, 0, v96
	s_or_b32 s1, vcc_lo, s1
	s_waitcnt vmcnt(0) lgkmcnt(0)
	v_fma_f64 v[1:2], v[97:98], v[99:100], v[1:2]
	s_and_not1_b32 exec_lo, exec_lo, s1
	s_cbranch_execnz .LBB100_55
; %bb.56:
	s_or_b32 exec_lo, exec_lo, s1
.LBB100_57:
	s_delay_alu instid0(SALU_CYCLE_1)
	s_or_b32 exec_lo, exec_lo, s4
	v_mov_b32_e32 v95, 0
	ds_load_b64 v[95:96], v95 offset:240
	s_waitcnt lgkmcnt(0)
	v_mul_f64 v[1:2], v[1:2], v[95:96]
	scratch_store_b64 off, v[1:2], off offset:240
.LBB100_58:
	s_or_b32 exec_lo, exec_lo, s2
	scratch_load_b64 v[1:2], off, off offset:232
	v_cmp_lt_u32_e64 s1, 29, v0
	s_waitcnt vmcnt(0)
	ds_store_b64 v3, v[1:2]
	s_waitcnt lgkmcnt(0)
	s_waitcnt_vscnt null, 0x0
	s_barrier
	buffer_gl0_inv
	s_and_saveexec_b32 s2, s1
	s_cbranch_execz .LBB100_68
; %bb.59:
	s_and_not1_b32 vcc_lo, exec_lo, s3
	s_cbranch_vccnz .LBB100_61
; %bb.60:
	scratch_load_b64 v[1:2], v4, off
	ds_load_b64 v[95:96], v3
	s_waitcnt vmcnt(0) lgkmcnt(0)
	v_mul_f64 v[1:2], v[1:2], v[95:96]
	s_cbranch_execz .LBB100_62
	s_branch .LBB100_63
.LBB100_61:
                                        ; implicit-def: $vgpr1_vgpr2
.LBB100_62:
	ds_load_b64 v[1:2], v3
.LBB100_63:
	s_and_saveexec_b32 s4, s0
	s_cbranch_execz .LBB100_67
; %bb.64:
	v_subrev_nc_u32_e32 v95, 30, v0
	s_movk_i32 s5, 0x220
	s_mov_b32 s0, 0
.LBB100_65:                             ; =>This Inner Loop Header: Depth=1
	scratch_load_b64 v[96:97], v94, off
	v_dual_mov_b32 v98, s5 :: v_dual_add_nc_u32 v95, -1, v95
	v_add_nc_u32_e32 v94, 8, v94
	s_add_i32 s5, s5, 8
	ds_load_b64 v[98:99], v98
	v_cmp_eq_u32_e32 vcc_lo, 0, v95
	s_or_b32 s0, vcc_lo, s0
	s_waitcnt vmcnt(0) lgkmcnt(0)
	v_fma_f64 v[1:2], v[96:97], v[98:99], v[1:2]
	s_and_not1_b32 exec_lo, exec_lo, s0
	s_cbranch_execnz .LBB100_65
; %bb.66:
	s_or_b32 exec_lo, exec_lo, s0
.LBB100_67:
	s_delay_alu instid0(SALU_CYCLE_1)
	s_or_b32 exec_lo, exec_lo, s4
	v_mov_b32_e32 v94, 0
	ds_load_b64 v[94:95], v94 offset:232
	s_waitcnt lgkmcnt(0)
	v_mul_f64 v[1:2], v[1:2], v[94:95]
	scratch_store_b64 off, v[1:2], off offset:232
.LBB100_68:
	s_or_b32 exec_lo, exec_lo, s2
	scratch_load_b64 v[1:2], off, off offset:224
	v_cmp_lt_u32_e64 s0, 28, v0
	s_waitcnt vmcnt(0)
	ds_store_b64 v3, v[1:2]
	s_waitcnt lgkmcnt(0)
	s_waitcnt_vscnt null, 0x0
	s_barrier
	buffer_gl0_inv
	s_and_saveexec_b32 s2, s0
	s_cbranch_execz .LBB100_78
; %bb.69:
	s_and_not1_b32 vcc_lo, exec_lo, s3
	s_cbranch_vccnz .LBB100_71
; %bb.70:
	scratch_load_b64 v[1:2], v4, off
	ds_load_b64 v[94:95], v3
	s_waitcnt vmcnt(0) lgkmcnt(0)
	v_mul_f64 v[1:2], v[1:2], v[94:95]
	s_cbranch_execz .LBB100_72
	s_branch .LBB100_73
.LBB100_71:
                                        ; implicit-def: $vgpr1_vgpr2
.LBB100_72:
	ds_load_b64 v[1:2], v3
.LBB100_73:
	s_and_saveexec_b32 s4, s1
	s_cbranch_execz .LBB100_77
; %bb.74:
	v_mov_b32_e32 v94, 0
	v_subrev_nc_u32_e32 v95, 29, v0
	s_movk_i32 s5, 0x218
	s_mov_b32 s1, 0
	s_delay_alu instid0(VALU_DEP_2)
	v_add_nc_u32_e32 v94, 0xe8, v94
.LBB100_75:                             ; =>This Inner Loop Header: Depth=1
	scratch_load_b64 v[96:97], v94, off
	v_dual_mov_b32 v98, s5 :: v_dual_add_nc_u32 v95, -1, v95
	v_add_nc_u32_e32 v94, 8, v94
	s_add_i32 s5, s5, 8
	ds_load_b64 v[98:99], v98
	v_cmp_eq_u32_e32 vcc_lo, 0, v95
	s_or_b32 s1, vcc_lo, s1
	s_waitcnt vmcnt(0) lgkmcnt(0)
	v_fma_f64 v[1:2], v[96:97], v[98:99], v[1:2]
	s_and_not1_b32 exec_lo, exec_lo, s1
	s_cbranch_execnz .LBB100_75
; %bb.76:
	s_or_b32 exec_lo, exec_lo, s1
.LBB100_77:
	s_delay_alu instid0(SALU_CYCLE_1)
	s_or_b32 exec_lo, exec_lo, s4
	v_mov_b32_e32 v94, 0
	ds_load_b64 v[94:95], v94 offset:224
	s_waitcnt lgkmcnt(0)
	v_mul_f64 v[1:2], v[1:2], v[94:95]
	scratch_store_b64 off, v[1:2], off offset:224
.LBB100_78:
	s_or_b32 exec_lo, exec_lo, s2
	scratch_load_b64 v[1:2], off, off offset:216
	v_cmp_lt_u32_e64 s1, 27, v0
	s_waitcnt vmcnt(0)
	ds_store_b64 v3, v[1:2]
	s_waitcnt lgkmcnt(0)
	s_waitcnt_vscnt null, 0x0
	s_barrier
	buffer_gl0_inv
	s_and_saveexec_b32 s2, s1
	s_cbranch_execz .LBB100_88
; %bb.79:
	s_and_not1_b32 vcc_lo, exec_lo, s3
	s_cbranch_vccnz .LBB100_81
; %bb.80:
	scratch_load_b64 v[1:2], v4, off
	ds_load_b64 v[94:95], v3
	s_waitcnt vmcnt(0) lgkmcnt(0)
	v_mul_f64 v[1:2], v[1:2], v[94:95]
	s_cbranch_execz .LBB100_82
	s_branch .LBB100_83
.LBB100_81:
                                        ; implicit-def: $vgpr1_vgpr2
.LBB100_82:
	ds_load_b64 v[1:2], v3
.LBB100_83:
	s_and_saveexec_b32 s4, s0
	s_cbranch_execz .LBB100_87
; %bb.84:
	v_subrev_nc_u32_e32 v94, 28, v0
	s_movk_i32 s5, 0x210
	s_mov_b32 s0, 0
.LBB100_85:                             ; =>This Inner Loop Header: Depth=1
	scratch_load_b64 v[95:96], v93, off
	v_dual_mov_b32 v97, s5 :: v_dual_add_nc_u32 v94, -1, v94
	v_add_nc_u32_e32 v93, 8, v93
	s_add_i32 s5, s5, 8
	ds_load_b64 v[97:98], v97
	v_cmp_eq_u32_e32 vcc_lo, 0, v94
	s_or_b32 s0, vcc_lo, s0
	s_waitcnt vmcnt(0) lgkmcnt(0)
	v_fma_f64 v[1:2], v[95:96], v[97:98], v[1:2]
	s_and_not1_b32 exec_lo, exec_lo, s0
	s_cbranch_execnz .LBB100_85
; %bb.86:
	s_or_b32 exec_lo, exec_lo, s0
.LBB100_87:
	s_delay_alu instid0(SALU_CYCLE_1)
	s_or_b32 exec_lo, exec_lo, s4
	v_mov_b32_e32 v93, 0
	ds_load_b64 v[93:94], v93 offset:216
	s_waitcnt lgkmcnt(0)
	v_mul_f64 v[1:2], v[1:2], v[93:94]
	scratch_store_b64 off, v[1:2], off offset:216
.LBB100_88:
	s_or_b32 exec_lo, exec_lo, s2
	scratch_load_b64 v[1:2], off, off offset:208
	v_cmp_lt_u32_e64 s0, 26, v0
	s_waitcnt vmcnt(0)
	ds_store_b64 v3, v[1:2]
	s_waitcnt lgkmcnt(0)
	s_waitcnt_vscnt null, 0x0
	s_barrier
	buffer_gl0_inv
	s_and_saveexec_b32 s2, s0
	s_cbranch_execz .LBB100_98
; %bb.89:
	s_and_not1_b32 vcc_lo, exec_lo, s3
	s_cbranch_vccnz .LBB100_91
; %bb.90:
	scratch_load_b64 v[1:2], v4, off
	ds_load_b64 v[93:94], v3
	s_waitcnt vmcnt(0) lgkmcnt(0)
	v_mul_f64 v[1:2], v[1:2], v[93:94]
	s_cbranch_execz .LBB100_92
	s_branch .LBB100_93
.LBB100_91:
                                        ; implicit-def: $vgpr1_vgpr2
.LBB100_92:
	ds_load_b64 v[1:2], v3
.LBB100_93:
	s_and_saveexec_b32 s4, s1
	s_cbranch_execz .LBB100_97
; %bb.94:
	v_mov_b32_e32 v93, 0
	v_subrev_nc_u32_e32 v94, 27, v0
	s_movk_i32 s5, 0x208
	s_mov_b32 s1, 0
	s_delay_alu instid0(VALU_DEP_2)
	v_add_nc_u32_e32 v93, 0xd8, v93
.LBB100_95:                             ; =>This Inner Loop Header: Depth=1
	scratch_load_b64 v[95:96], v93, off
	v_dual_mov_b32 v97, s5 :: v_dual_add_nc_u32 v94, -1, v94
	v_add_nc_u32_e32 v93, 8, v93
	s_add_i32 s5, s5, 8
	ds_load_b64 v[97:98], v97
	v_cmp_eq_u32_e32 vcc_lo, 0, v94
	s_or_b32 s1, vcc_lo, s1
	s_waitcnt vmcnt(0) lgkmcnt(0)
	v_fma_f64 v[1:2], v[95:96], v[97:98], v[1:2]
	s_and_not1_b32 exec_lo, exec_lo, s1
	s_cbranch_execnz .LBB100_95
; %bb.96:
	s_or_b32 exec_lo, exec_lo, s1
.LBB100_97:
	s_delay_alu instid0(SALU_CYCLE_1)
	s_or_b32 exec_lo, exec_lo, s4
	v_mov_b32_e32 v93, 0
	ds_load_b64 v[93:94], v93 offset:208
	s_waitcnt lgkmcnt(0)
	v_mul_f64 v[1:2], v[1:2], v[93:94]
	scratch_store_b64 off, v[1:2], off offset:208
.LBB100_98:
	s_or_b32 exec_lo, exec_lo, s2
	scratch_load_b64 v[1:2], off, off offset:200
	v_cmp_lt_u32_e64 s1, 25, v0
	s_waitcnt vmcnt(0)
	ds_store_b64 v3, v[1:2]
	s_waitcnt lgkmcnt(0)
	s_waitcnt_vscnt null, 0x0
	s_barrier
	buffer_gl0_inv
	s_and_saveexec_b32 s2, s1
	s_cbranch_execz .LBB100_108
; %bb.99:
	s_and_not1_b32 vcc_lo, exec_lo, s3
	s_cbranch_vccnz .LBB100_101
; %bb.100:
	scratch_load_b64 v[1:2], v4, off
	ds_load_b64 v[93:94], v3
	s_waitcnt vmcnt(0) lgkmcnt(0)
	v_mul_f64 v[1:2], v[1:2], v[93:94]
	s_cbranch_execz .LBB100_102
	s_branch .LBB100_103
.LBB100_101:
                                        ; implicit-def: $vgpr1_vgpr2
.LBB100_102:
	ds_load_b64 v[1:2], v3
.LBB100_103:
	s_and_saveexec_b32 s4, s0
	s_cbranch_execz .LBB100_107
; %bb.104:
	v_subrev_nc_u32_e32 v93, 26, v0
	s_movk_i32 s5, 0x200
	s_mov_b32 s0, 0
.LBB100_105:                            ; =>This Inner Loop Header: Depth=1
	scratch_load_b64 v[94:95], v92, off
	v_dual_mov_b32 v96, s5 :: v_dual_add_nc_u32 v93, -1, v93
	v_add_nc_u32_e32 v92, 8, v92
	s_add_i32 s5, s5, 8
	ds_load_b64 v[96:97], v96
	v_cmp_eq_u32_e32 vcc_lo, 0, v93
	s_or_b32 s0, vcc_lo, s0
	s_waitcnt vmcnt(0) lgkmcnt(0)
	v_fma_f64 v[1:2], v[94:95], v[96:97], v[1:2]
	s_and_not1_b32 exec_lo, exec_lo, s0
	s_cbranch_execnz .LBB100_105
; %bb.106:
	s_or_b32 exec_lo, exec_lo, s0
.LBB100_107:
	s_delay_alu instid0(SALU_CYCLE_1)
	s_or_b32 exec_lo, exec_lo, s4
	v_mov_b32_e32 v92, 0
	ds_load_b64 v[92:93], v92 offset:200
	s_waitcnt lgkmcnt(0)
	v_mul_f64 v[1:2], v[1:2], v[92:93]
	scratch_store_b64 off, v[1:2], off offset:200
.LBB100_108:
	s_or_b32 exec_lo, exec_lo, s2
	scratch_load_b64 v[1:2], off, off offset:192
	v_cmp_lt_u32_e64 s0, 24, v0
	s_waitcnt vmcnt(0)
	ds_store_b64 v3, v[1:2]
	s_waitcnt lgkmcnt(0)
	s_waitcnt_vscnt null, 0x0
	s_barrier
	buffer_gl0_inv
	s_and_saveexec_b32 s2, s0
	s_cbranch_execz .LBB100_118
; %bb.109:
	s_and_not1_b32 vcc_lo, exec_lo, s3
	s_cbranch_vccnz .LBB100_111
; %bb.110:
	scratch_load_b64 v[1:2], v4, off
	ds_load_b64 v[92:93], v3
	s_waitcnt vmcnt(0) lgkmcnt(0)
	v_mul_f64 v[1:2], v[1:2], v[92:93]
	s_cbranch_execz .LBB100_112
	s_branch .LBB100_113
.LBB100_111:
                                        ; implicit-def: $vgpr1_vgpr2
.LBB100_112:
	ds_load_b64 v[1:2], v3
.LBB100_113:
	s_and_saveexec_b32 s4, s1
	s_cbranch_execz .LBB100_117
; %bb.114:
	v_mov_b32_e32 v92, 0
	v_subrev_nc_u32_e32 v93, 25, v0
	s_movk_i32 s5, 0x1f8
	s_mov_b32 s1, 0
	s_delay_alu instid0(VALU_DEP_2)
	v_add_nc_u32_e32 v92, 0xc8, v92
.LBB100_115:                            ; =>This Inner Loop Header: Depth=1
	scratch_load_b64 v[94:95], v92, off
	v_dual_mov_b32 v96, s5 :: v_dual_add_nc_u32 v93, -1, v93
	v_add_nc_u32_e32 v92, 8, v92
	s_add_i32 s5, s5, 8
	ds_load_b64 v[96:97], v96
	v_cmp_eq_u32_e32 vcc_lo, 0, v93
	s_or_b32 s1, vcc_lo, s1
	s_waitcnt vmcnt(0) lgkmcnt(0)
	v_fma_f64 v[1:2], v[94:95], v[96:97], v[1:2]
	s_and_not1_b32 exec_lo, exec_lo, s1
	s_cbranch_execnz .LBB100_115
; %bb.116:
	s_or_b32 exec_lo, exec_lo, s1
.LBB100_117:
	s_delay_alu instid0(SALU_CYCLE_1)
	s_or_b32 exec_lo, exec_lo, s4
	v_mov_b32_e32 v92, 0
	ds_load_b64 v[92:93], v92 offset:192
	s_waitcnt lgkmcnt(0)
	v_mul_f64 v[1:2], v[1:2], v[92:93]
	scratch_store_b64 off, v[1:2], off offset:192
.LBB100_118:
	s_or_b32 exec_lo, exec_lo, s2
	scratch_load_b64 v[1:2], off, off offset:184
	v_cmp_lt_u32_e64 s1, 23, v0
	s_waitcnt vmcnt(0)
	ds_store_b64 v3, v[1:2]
	s_waitcnt lgkmcnt(0)
	s_waitcnt_vscnt null, 0x0
	s_barrier
	buffer_gl0_inv
	s_and_saveexec_b32 s2, s1
	s_cbranch_execz .LBB100_128
; %bb.119:
	s_and_not1_b32 vcc_lo, exec_lo, s3
	s_cbranch_vccnz .LBB100_121
; %bb.120:
	scratch_load_b64 v[1:2], v4, off
	ds_load_b64 v[92:93], v3
	s_waitcnt vmcnt(0) lgkmcnt(0)
	v_mul_f64 v[1:2], v[1:2], v[92:93]
	s_cbranch_execz .LBB100_122
	s_branch .LBB100_123
.LBB100_121:
                                        ; implicit-def: $vgpr1_vgpr2
.LBB100_122:
	ds_load_b64 v[1:2], v3
.LBB100_123:
	s_and_saveexec_b32 s4, s0
	s_cbranch_execz .LBB100_127
; %bb.124:
	v_subrev_nc_u32_e32 v92, 24, v0
	s_movk_i32 s5, 0x1f0
	s_mov_b32 s0, 0
.LBB100_125:                            ; =>This Inner Loop Header: Depth=1
	scratch_load_b64 v[93:94], v91, off
	v_dual_mov_b32 v95, s5 :: v_dual_add_nc_u32 v92, -1, v92
	v_add_nc_u32_e32 v91, 8, v91
	s_add_i32 s5, s5, 8
	ds_load_b64 v[95:96], v95
	v_cmp_eq_u32_e32 vcc_lo, 0, v92
	s_or_b32 s0, vcc_lo, s0
	s_waitcnt vmcnt(0) lgkmcnt(0)
	v_fma_f64 v[1:2], v[93:94], v[95:96], v[1:2]
	s_and_not1_b32 exec_lo, exec_lo, s0
	s_cbranch_execnz .LBB100_125
; %bb.126:
	s_or_b32 exec_lo, exec_lo, s0
.LBB100_127:
	s_delay_alu instid0(SALU_CYCLE_1)
	s_or_b32 exec_lo, exec_lo, s4
	v_mov_b32_e32 v91, 0
	ds_load_b64 v[91:92], v91 offset:184
	s_waitcnt lgkmcnt(0)
	v_mul_f64 v[1:2], v[1:2], v[91:92]
	scratch_store_b64 off, v[1:2], off offset:184
.LBB100_128:
	s_or_b32 exec_lo, exec_lo, s2
	scratch_load_b64 v[1:2], off, off offset:176
	v_cmp_lt_u32_e64 s0, 22, v0
	s_waitcnt vmcnt(0)
	ds_store_b64 v3, v[1:2]
	s_waitcnt lgkmcnt(0)
	s_waitcnt_vscnt null, 0x0
	s_barrier
	buffer_gl0_inv
	s_and_saveexec_b32 s2, s0
	s_cbranch_execz .LBB100_138
; %bb.129:
	s_and_not1_b32 vcc_lo, exec_lo, s3
	s_cbranch_vccnz .LBB100_131
; %bb.130:
	scratch_load_b64 v[1:2], v4, off
	ds_load_b64 v[91:92], v3
	s_waitcnt vmcnt(0) lgkmcnt(0)
	v_mul_f64 v[1:2], v[1:2], v[91:92]
	s_cbranch_execz .LBB100_132
	s_branch .LBB100_133
.LBB100_131:
                                        ; implicit-def: $vgpr1_vgpr2
.LBB100_132:
	ds_load_b64 v[1:2], v3
.LBB100_133:
	s_and_saveexec_b32 s4, s1
	s_cbranch_execz .LBB100_137
; %bb.134:
	v_mov_b32_e32 v91, 0
	v_subrev_nc_u32_e32 v92, 23, v0
	s_movk_i32 s5, 0x1e8
	s_mov_b32 s1, 0
	s_delay_alu instid0(VALU_DEP_2)
	v_add_nc_u32_e32 v91, 0xb8, v91
.LBB100_135:                            ; =>This Inner Loop Header: Depth=1
	scratch_load_b64 v[93:94], v91, off
	v_dual_mov_b32 v95, s5 :: v_dual_add_nc_u32 v92, -1, v92
	v_add_nc_u32_e32 v91, 8, v91
	s_add_i32 s5, s5, 8
	ds_load_b64 v[95:96], v95
	v_cmp_eq_u32_e32 vcc_lo, 0, v92
	s_or_b32 s1, vcc_lo, s1
	s_waitcnt vmcnt(0) lgkmcnt(0)
	v_fma_f64 v[1:2], v[93:94], v[95:96], v[1:2]
	s_and_not1_b32 exec_lo, exec_lo, s1
	s_cbranch_execnz .LBB100_135
; %bb.136:
	s_or_b32 exec_lo, exec_lo, s1
.LBB100_137:
	s_delay_alu instid0(SALU_CYCLE_1)
	s_or_b32 exec_lo, exec_lo, s4
	v_mov_b32_e32 v91, 0
	ds_load_b64 v[91:92], v91 offset:176
	s_waitcnt lgkmcnt(0)
	v_mul_f64 v[1:2], v[1:2], v[91:92]
	scratch_store_b64 off, v[1:2], off offset:176
.LBB100_138:
	s_or_b32 exec_lo, exec_lo, s2
	scratch_load_b64 v[1:2], off, off offset:168
	v_cmp_lt_u32_e64 s1, 21, v0
	s_waitcnt vmcnt(0)
	ds_store_b64 v3, v[1:2]
	s_waitcnt lgkmcnt(0)
	s_waitcnt_vscnt null, 0x0
	s_barrier
	buffer_gl0_inv
	s_and_saveexec_b32 s2, s1
	s_cbranch_execz .LBB100_148
; %bb.139:
	s_and_not1_b32 vcc_lo, exec_lo, s3
	s_cbranch_vccnz .LBB100_141
; %bb.140:
	scratch_load_b64 v[1:2], v4, off
	ds_load_b64 v[91:92], v3
	s_waitcnt vmcnt(0) lgkmcnt(0)
	v_mul_f64 v[1:2], v[1:2], v[91:92]
	s_cbranch_execz .LBB100_142
	s_branch .LBB100_143
.LBB100_141:
                                        ; implicit-def: $vgpr1_vgpr2
.LBB100_142:
	ds_load_b64 v[1:2], v3
.LBB100_143:
	s_and_saveexec_b32 s4, s0
	s_cbranch_execz .LBB100_147
; %bb.144:
	v_subrev_nc_u32_e32 v91, 22, v0
	s_movk_i32 s5, 0x1e0
	s_mov_b32 s0, 0
.LBB100_145:                            ; =>This Inner Loop Header: Depth=1
	scratch_load_b64 v[92:93], v90, off
	v_dual_mov_b32 v94, s5 :: v_dual_add_nc_u32 v91, -1, v91
	v_add_nc_u32_e32 v90, 8, v90
	s_add_i32 s5, s5, 8
	ds_load_b64 v[94:95], v94
	v_cmp_eq_u32_e32 vcc_lo, 0, v91
	s_or_b32 s0, vcc_lo, s0
	s_waitcnt vmcnt(0) lgkmcnt(0)
	v_fma_f64 v[1:2], v[92:93], v[94:95], v[1:2]
	s_and_not1_b32 exec_lo, exec_lo, s0
	s_cbranch_execnz .LBB100_145
; %bb.146:
	s_or_b32 exec_lo, exec_lo, s0
.LBB100_147:
	s_delay_alu instid0(SALU_CYCLE_1)
	s_or_b32 exec_lo, exec_lo, s4
	v_mov_b32_e32 v90, 0
	ds_load_b64 v[90:91], v90 offset:168
	s_waitcnt lgkmcnt(0)
	v_mul_f64 v[1:2], v[1:2], v[90:91]
	scratch_store_b64 off, v[1:2], off offset:168
.LBB100_148:
	s_or_b32 exec_lo, exec_lo, s2
	scratch_load_b64 v[1:2], off, off offset:160
	v_cmp_lt_u32_e64 s0, 20, v0
	s_waitcnt vmcnt(0)
	ds_store_b64 v3, v[1:2]
	s_waitcnt lgkmcnt(0)
	s_waitcnt_vscnt null, 0x0
	s_barrier
	buffer_gl0_inv
	s_and_saveexec_b32 s2, s0
	s_cbranch_execz .LBB100_158
; %bb.149:
	s_and_not1_b32 vcc_lo, exec_lo, s3
	s_cbranch_vccnz .LBB100_151
; %bb.150:
	scratch_load_b64 v[1:2], v4, off
	ds_load_b64 v[90:91], v3
	s_waitcnt vmcnt(0) lgkmcnt(0)
	v_mul_f64 v[1:2], v[1:2], v[90:91]
	s_cbranch_execz .LBB100_152
	s_branch .LBB100_153
.LBB100_151:
                                        ; implicit-def: $vgpr1_vgpr2
.LBB100_152:
	ds_load_b64 v[1:2], v3
.LBB100_153:
	s_and_saveexec_b32 s4, s1
	s_cbranch_execz .LBB100_157
; %bb.154:
	v_mov_b32_e32 v90, 0
	v_subrev_nc_u32_e32 v91, 21, v0
	s_movk_i32 s5, 0x1d8
	s_mov_b32 s1, 0
	s_delay_alu instid0(VALU_DEP_2)
	v_add_nc_u32_e32 v90, 0xa8, v90
.LBB100_155:                            ; =>This Inner Loop Header: Depth=1
	scratch_load_b64 v[92:93], v90, off
	v_dual_mov_b32 v94, s5 :: v_dual_add_nc_u32 v91, -1, v91
	v_add_nc_u32_e32 v90, 8, v90
	s_add_i32 s5, s5, 8
	ds_load_b64 v[94:95], v94
	v_cmp_eq_u32_e32 vcc_lo, 0, v91
	s_or_b32 s1, vcc_lo, s1
	s_waitcnt vmcnt(0) lgkmcnt(0)
	v_fma_f64 v[1:2], v[92:93], v[94:95], v[1:2]
	s_and_not1_b32 exec_lo, exec_lo, s1
	s_cbranch_execnz .LBB100_155
; %bb.156:
	s_or_b32 exec_lo, exec_lo, s1
.LBB100_157:
	s_delay_alu instid0(SALU_CYCLE_1)
	s_or_b32 exec_lo, exec_lo, s4
	v_mov_b32_e32 v90, 0
	ds_load_b64 v[90:91], v90 offset:160
	s_waitcnt lgkmcnt(0)
	v_mul_f64 v[1:2], v[1:2], v[90:91]
	scratch_store_b64 off, v[1:2], off offset:160
.LBB100_158:
	s_or_b32 exec_lo, exec_lo, s2
	scratch_load_b64 v[1:2], off, off offset:152
	v_cmp_lt_u32_e64 s1, 19, v0
	s_waitcnt vmcnt(0)
	ds_store_b64 v3, v[1:2]
	s_waitcnt lgkmcnt(0)
	s_waitcnt_vscnt null, 0x0
	s_barrier
	buffer_gl0_inv
	s_and_saveexec_b32 s2, s1
	s_cbranch_execz .LBB100_168
; %bb.159:
	s_and_not1_b32 vcc_lo, exec_lo, s3
	s_cbranch_vccnz .LBB100_161
; %bb.160:
	scratch_load_b64 v[1:2], v4, off
	ds_load_b64 v[90:91], v3
	s_waitcnt vmcnt(0) lgkmcnt(0)
	v_mul_f64 v[1:2], v[1:2], v[90:91]
	s_cbranch_execz .LBB100_162
	s_branch .LBB100_163
.LBB100_161:
                                        ; implicit-def: $vgpr1_vgpr2
.LBB100_162:
	ds_load_b64 v[1:2], v3
.LBB100_163:
	s_and_saveexec_b32 s4, s0
	s_cbranch_execz .LBB100_167
; %bb.164:
	v_subrev_nc_u32_e32 v90, 20, v0
	s_movk_i32 s5, 0x1d0
	s_mov_b32 s0, 0
.LBB100_165:                            ; =>This Inner Loop Header: Depth=1
	scratch_load_b64 v[91:92], v89, off
	v_dual_mov_b32 v93, s5 :: v_dual_add_nc_u32 v90, -1, v90
	v_add_nc_u32_e32 v89, 8, v89
	s_add_i32 s5, s5, 8
	ds_load_b64 v[93:94], v93
	v_cmp_eq_u32_e32 vcc_lo, 0, v90
	s_or_b32 s0, vcc_lo, s0
	s_waitcnt vmcnt(0) lgkmcnt(0)
	v_fma_f64 v[1:2], v[91:92], v[93:94], v[1:2]
	s_and_not1_b32 exec_lo, exec_lo, s0
	s_cbranch_execnz .LBB100_165
; %bb.166:
	s_or_b32 exec_lo, exec_lo, s0
.LBB100_167:
	s_delay_alu instid0(SALU_CYCLE_1)
	s_or_b32 exec_lo, exec_lo, s4
	v_mov_b32_e32 v89, 0
	ds_load_b64 v[89:90], v89 offset:152
	s_waitcnt lgkmcnt(0)
	v_mul_f64 v[1:2], v[1:2], v[89:90]
	scratch_store_b64 off, v[1:2], off offset:152
.LBB100_168:
	s_or_b32 exec_lo, exec_lo, s2
	scratch_load_b64 v[1:2], off, off offset:144
	v_cmp_lt_u32_e64 s0, 18, v0
	s_waitcnt vmcnt(0)
	ds_store_b64 v3, v[1:2]
	s_waitcnt lgkmcnt(0)
	s_waitcnt_vscnt null, 0x0
	s_barrier
	buffer_gl0_inv
	s_and_saveexec_b32 s2, s0
	s_cbranch_execz .LBB100_178
; %bb.169:
	s_and_not1_b32 vcc_lo, exec_lo, s3
	s_cbranch_vccnz .LBB100_171
; %bb.170:
	scratch_load_b64 v[1:2], v4, off
	ds_load_b64 v[89:90], v3
	s_waitcnt vmcnt(0) lgkmcnt(0)
	v_mul_f64 v[1:2], v[1:2], v[89:90]
	s_cbranch_execz .LBB100_172
	s_branch .LBB100_173
.LBB100_171:
                                        ; implicit-def: $vgpr1_vgpr2
.LBB100_172:
	ds_load_b64 v[1:2], v3
.LBB100_173:
	s_and_saveexec_b32 s4, s1
	s_cbranch_execz .LBB100_177
; %bb.174:
	v_mov_b32_e32 v89, 0
	v_subrev_nc_u32_e32 v90, 19, v0
	s_movk_i32 s5, 0x1c8
	s_mov_b32 s1, 0
	s_delay_alu instid0(VALU_DEP_2)
	v_add_nc_u32_e32 v89, 0x98, v89
.LBB100_175:                            ; =>This Inner Loop Header: Depth=1
	scratch_load_b64 v[91:92], v89, off
	v_dual_mov_b32 v93, s5 :: v_dual_add_nc_u32 v90, -1, v90
	v_add_nc_u32_e32 v89, 8, v89
	s_add_i32 s5, s5, 8
	ds_load_b64 v[93:94], v93
	v_cmp_eq_u32_e32 vcc_lo, 0, v90
	s_or_b32 s1, vcc_lo, s1
	s_waitcnt vmcnt(0) lgkmcnt(0)
	v_fma_f64 v[1:2], v[91:92], v[93:94], v[1:2]
	s_and_not1_b32 exec_lo, exec_lo, s1
	s_cbranch_execnz .LBB100_175
; %bb.176:
	s_or_b32 exec_lo, exec_lo, s1
.LBB100_177:
	s_delay_alu instid0(SALU_CYCLE_1)
	s_or_b32 exec_lo, exec_lo, s4
	v_mov_b32_e32 v89, 0
	ds_load_b64 v[89:90], v89 offset:144
	s_waitcnt lgkmcnt(0)
	v_mul_f64 v[1:2], v[1:2], v[89:90]
	scratch_store_b64 off, v[1:2], off offset:144
.LBB100_178:
	s_or_b32 exec_lo, exec_lo, s2
	scratch_load_b64 v[1:2], off, off offset:136
	v_cmp_lt_u32_e64 s1, 17, v0
	s_waitcnt vmcnt(0)
	ds_store_b64 v3, v[1:2]
	s_waitcnt lgkmcnt(0)
	s_waitcnt_vscnt null, 0x0
	s_barrier
	buffer_gl0_inv
	s_and_saveexec_b32 s2, s1
	s_cbranch_execz .LBB100_188
; %bb.179:
	s_and_not1_b32 vcc_lo, exec_lo, s3
	s_cbranch_vccnz .LBB100_181
; %bb.180:
	scratch_load_b64 v[1:2], v4, off
	ds_load_b64 v[89:90], v3
	s_waitcnt vmcnt(0) lgkmcnt(0)
	v_mul_f64 v[1:2], v[1:2], v[89:90]
	s_cbranch_execz .LBB100_182
	s_branch .LBB100_183
.LBB100_181:
                                        ; implicit-def: $vgpr1_vgpr2
.LBB100_182:
	ds_load_b64 v[1:2], v3
.LBB100_183:
	s_and_saveexec_b32 s4, s0
	s_cbranch_execz .LBB100_187
; %bb.184:
	v_subrev_nc_u32_e32 v89, 18, v0
	s_movk_i32 s5, 0x1c0
	s_mov_b32 s0, 0
.LBB100_185:                            ; =>This Inner Loop Header: Depth=1
	scratch_load_b64 v[90:91], v88, off
	v_dual_mov_b32 v92, s5 :: v_dual_add_nc_u32 v89, -1, v89
	v_add_nc_u32_e32 v88, 8, v88
	s_add_i32 s5, s5, 8
	ds_load_b64 v[92:93], v92
	v_cmp_eq_u32_e32 vcc_lo, 0, v89
	s_or_b32 s0, vcc_lo, s0
	s_waitcnt vmcnt(0) lgkmcnt(0)
	v_fma_f64 v[1:2], v[90:91], v[92:93], v[1:2]
	s_and_not1_b32 exec_lo, exec_lo, s0
	s_cbranch_execnz .LBB100_185
; %bb.186:
	s_or_b32 exec_lo, exec_lo, s0
.LBB100_187:
	s_delay_alu instid0(SALU_CYCLE_1)
	s_or_b32 exec_lo, exec_lo, s4
	v_mov_b32_e32 v88, 0
	ds_load_b64 v[88:89], v88 offset:136
	s_waitcnt lgkmcnt(0)
	v_mul_f64 v[1:2], v[1:2], v[88:89]
	scratch_store_b64 off, v[1:2], off offset:136
.LBB100_188:
	s_or_b32 exec_lo, exec_lo, s2
	scratch_load_b64 v[1:2], off, off offset:128
	v_cmp_lt_u32_e64 s0, 16, v0
	s_waitcnt vmcnt(0)
	ds_store_b64 v3, v[1:2]
	s_waitcnt lgkmcnt(0)
	s_waitcnt_vscnt null, 0x0
	s_barrier
	buffer_gl0_inv
	s_and_saveexec_b32 s2, s0
	s_cbranch_execz .LBB100_198
; %bb.189:
	s_and_not1_b32 vcc_lo, exec_lo, s3
	s_cbranch_vccnz .LBB100_191
; %bb.190:
	scratch_load_b64 v[1:2], v4, off
	ds_load_b64 v[88:89], v3
	s_waitcnt vmcnt(0) lgkmcnt(0)
	v_mul_f64 v[1:2], v[1:2], v[88:89]
	s_cbranch_execz .LBB100_192
	s_branch .LBB100_193
.LBB100_191:
                                        ; implicit-def: $vgpr1_vgpr2
.LBB100_192:
	ds_load_b64 v[1:2], v3
.LBB100_193:
	s_and_saveexec_b32 s4, s1
	s_cbranch_execz .LBB100_197
; %bb.194:
	v_mov_b32_e32 v88, 0
	v_subrev_nc_u32_e32 v89, 17, v0
	s_movk_i32 s5, 0x1b8
	s_mov_b32 s1, 0
	s_delay_alu instid0(VALU_DEP_2)
	v_add_nc_u32_e32 v88, 0x88, v88
.LBB100_195:                            ; =>This Inner Loop Header: Depth=1
	scratch_load_b64 v[90:91], v88, off
	v_dual_mov_b32 v92, s5 :: v_dual_add_nc_u32 v89, -1, v89
	v_add_nc_u32_e32 v88, 8, v88
	s_add_i32 s5, s5, 8
	ds_load_b64 v[92:93], v92
	v_cmp_eq_u32_e32 vcc_lo, 0, v89
	s_or_b32 s1, vcc_lo, s1
	s_waitcnt vmcnt(0) lgkmcnt(0)
	v_fma_f64 v[1:2], v[90:91], v[92:93], v[1:2]
	s_and_not1_b32 exec_lo, exec_lo, s1
	s_cbranch_execnz .LBB100_195
; %bb.196:
	s_or_b32 exec_lo, exec_lo, s1
.LBB100_197:
	s_delay_alu instid0(SALU_CYCLE_1)
	s_or_b32 exec_lo, exec_lo, s4
	v_mov_b32_e32 v88, 0
	ds_load_b64 v[88:89], v88 offset:128
	s_waitcnt lgkmcnt(0)
	v_mul_f64 v[1:2], v[1:2], v[88:89]
	scratch_store_b64 off, v[1:2], off offset:128
.LBB100_198:
	s_or_b32 exec_lo, exec_lo, s2
	scratch_load_b64 v[1:2], off, off offset:120
	v_cmp_lt_u32_e64 s1, 15, v0
	s_waitcnt vmcnt(0)
	ds_store_b64 v3, v[1:2]
	s_waitcnt lgkmcnt(0)
	s_waitcnt_vscnt null, 0x0
	s_barrier
	buffer_gl0_inv
	s_and_saveexec_b32 s2, s1
	s_cbranch_execz .LBB100_208
; %bb.199:
	s_and_not1_b32 vcc_lo, exec_lo, s3
	s_cbranch_vccnz .LBB100_201
; %bb.200:
	scratch_load_b64 v[1:2], v4, off
	ds_load_b64 v[88:89], v3
	s_waitcnt vmcnt(0) lgkmcnt(0)
	v_mul_f64 v[1:2], v[1:2], v[88:89]
	s_cbranch_execz .LBB100_202
	s_branch .LBB100_203
.LBB100_201:
                                        ; implicit-def: $vgpr1_vgpr2
.LBB100_202:
	ds_load_b64 v[1:2], v3
.LBB100_203:
	s_and_saveexec_b32 s4, s0
	s_cbranch_execz .LBB100_207
; %bb.204:
	v_add_nc_u32_e32 v88, -16, v0
	s_movk_i32 s5, 0x1b0
	s_mov_b32 s0, 0
.LBB100_205:                            ; =>This Inner Loop Header: Depth=1
	scratch_load_b64 v[89:90], v12, off
	v_dual_mov_b32 v91, s5 :: v_dual_add_nc_u32 v88, -1, v88
	v_add_nc_u32_e32 v12, 8, v12
	s_add_i32 s5, s5, 8
	ds_load_b64 v[91:92], v91
	v_cmp_eq_u32_e32 vcc_lo, 0, v88
	s_or_b32 s0, vcc_lo, s0
	s_waitcnt vmcnt(0) lgkmcnt(0)
	v_fma_f64 v[1:2], v[89:90], v[91:92], v[1:2]
	s_and_not1_b32 exec_lo, exec_lo, s0
	s_cbranch_execnz .LBB100_205
; %bb.206:
	s_or_b32 exec_lo, exec_lo, s0
.LBB100_207:
	s_delay_alu instid0(SALU_CYCLE_1)
	s_or_b32 exec_lo, exec_lo, s4
	v_mov_b32_e32 v12, 0
	ds_load_b64 v[88:89], v12 offset:120
	s_waitcnt lgkmcnt(0)
	v_mul_f64 v[1:2], v[1:2], v[88:89]
	scratch_store_b64 off, v[1:2], off offset:120
.LBB100_208:
	s_or_b32 exec_lo, exec_lo, s2
	scratch_load_b64 v[1:2], off, off offset:112
	v_cmp_lt_u32_e64 s0, 14, v0
	s_waitcnt vmcnt(0)
	ds_store_b64 v3, v[1:2]
	s_waitcnt lgkmcnt(0)
	s_waitcnt_vscnt null, 0x0
	s_barrier
	buffer_gl0_inv
	s_and_saveexec_b32 s2, s0
	s_cbranch_execz .LBB100_218
; %bb.209:
	s_and_not1_b32 vcc_lo, exec_lo, s3
	s_cbranch_vccnz .LBB100_211
; %bb.210:
	scratch_load_b64 v[1:2], v4, off
	ds_load_b64 v[88:89], v3
	s_waitcnt vmcnt(0) lgkmcnt(0)
	v_mul_f64 v[1:2], v[1:2], v[88:89]
	s_cbranch_execz .LBB100_212
	s_branch .LBB100_213
.LBB100_211:
                                        ; implicit-def: $vgpr1_vgpr2
.LBB100_212:
	ds_load_b64 v[1:2], v3
.LBB100_213:
	s_and_saveexec_b32 s4, s1
	s_cbranch_execz .LBB100_217
; %bb.214:
	v_mov_b32_e32 v12, 0
	v_add_nc_u32_e32 v88, -15, v0
	s_movk_i32 s5, 0x1a8
	s_mov_b32 s1, 0
	s_delay_alu instid0(VALU_DEP_2)
	v_add_nc_u32_e32 v12, 0x78, v12
.LBB100_215:                            ; =>This Inner Loop Header: Depth=1
	scratch_load_b64 v[89:90], v12, off
	v_dual_mov_b32 v91, s5 :: v_dual_add_nc_u32 v88, -1, v88
	v_add_nc_u32_e32 v12, 8, v12
	s_add_i32 s5, s5, 8
	ds_load_b64 v[91:92], v91
	v_cmp_eq_u32_e32 vcc_lo, 0, v88
	s_or_b32 s1, vcc_lo, s1
	s_waitcnt vmcnt(0) lgkmcnt(0)
	v_fma_f64 v[1:2], v[89:90], v[91:92], v[1:2]
	s_and_not1_b32 exec_lo, exec_lo, s1
	s_cbranch_execnz .LBB100_215
; %bb.216:
	s_or_b32 exec_lo, exec_lo, s1
.LBB100_217:
	s_delay_alu instid0(SALU_CYCLE_1)
	s_or_b32 exec_lo, exec_lo, s4
	v_mov_b32_e32 v12, 0
	ds_load_b64 v[88:89], v12 offset:112
	s_waitcnt lgkmcnt(0)
	v_mul_f64 v[1:2], v[1:2], v[88:89]
	scratch_store_b64 off, v[1:2], off offset:112
.LBB100_218:
	s_or_b32 exec_lo, exec_lo, s2
	scratch_load_b64 v[1:2], off, off offset:104
	v_cmp_lt_u32_e64 s1, 13, v0
	s_waitcnt vmcnt(0)
	ds_store_b64 v3, v[1:2]
	s_waitcnt lgkmcnt(0)
	s_waitcnt_vscnt null, 0x0
	s_barrier
	buffer_gl0_inv
	s_and_saveexec_b32 s2, s1
	s_cbranch_execz .LBB100_228
; %bb.219:
	s_and_not1_b32 vcc_lo, exec_lo, s3
	s_cbranch_vccnz .LBB100_221
; %bb.220:
	scratch_load_b64 v[1:2], v4, off
	ds_load_b64 v[88:89], v3
	s_waitcnt vmcnt(0) lgkmcnt(0)
	v_mul_f64 v[1:2], v[1:2], v[88:89]
	s_cbranch_execz .LBB100_222
	s_branch .LBB100_223
.LBB100_221:
                                        ; implicit-def: $vgpr1_vgpr2
.LBB100_222:
	ds_load_b64 v[1:2], v3
.LBB100_223:
	s_and_saveexec_b32 s4, s0
	s_cbranch_execz .LBB100_227
; %bb.224:
	v_add_nc_u32_e32 v12, -14, v0
	s_movk_i32 s5, 0x1a0
	s_mov_b32 s0, 0
.LBB100_225:                            ; =>This Inner Loop Header: Depth=1
	scratch_load_b64 v[88:89], v11, off
	v_dual_mov_b32 v90, s5 :: v_dual_add_nc_u32 v11, 8, v11
	v_add_nc_u32_e32 v12, -1, v12
	s_add_i32 s5, s5, 8
	ds_load_b64 v[90:91], v90
	v_cmp_eq_u32_e32 vcc_lo, 0, v12
	s_or_b32 s0, vcc_lo, s0
	s_waitcnt vmcnt(0) lgkmcnt(0)
	v_fma_f64 v[1:2], v[88:89], v[90:91], v[1:2]
	s_and_not1_b32 exec_lo, exec_lo, s0
	s_cbranch_execnz .LBB100_225
; %bb.226:
	s_or_b32 exec_lo, exec_lo, s0
.LBB100_227:
	s_delay_alu instid0(SALU_CYCLE_1)
	s_or_b32 exec_lo, exec_lo, s4
	v_mov_b32_e32 v11, 0
	ds_load_b64 v[11:12], v11 offset:104
	s_waitcnt lgkmcnt(0)
	v_mul_f64 v[1:2], v[1:2], v[11:12]
	scratch_store_b64 off, v[1:2], off offset:104
.LBB100_228:
	s_or_b32 exec_lo, exec_lo, s2
	scratch_load_b64 v[1:2], off, off offset:96
	v_cmp_lt_u32_e64 s0, 12, v0
	s_waitcnt vmcnt(0)
	ds_store_b64 v3, v[1:2]
	s_waitcnt lgkmcnt(0)
	s_waitcnt_vscnt null, 0x0
	s_barrier
	buffer_gl0_inv
	s_and_saveexec_b32 s2, s0
	s_cbranch_execz .LBB100_238
; %bb.229:
	s_and_not1_b32 vcc_lo, exec_lo, s3
	s_cbranch_vccnz .LBB100_231
; %bb.230:
	scratch_load_b64 v[1:2], v4, off
	ds_load_b64 v[11:12], v3
	s_waitcnt vmcnt(0) lgkmcnt(0)
	v_mul_f64 v[1:2], v[1:2], v[11:12]
	s_cbranch_execz .LBB100_232
	s_branch .LBB100_233
.LBB100_231:
                                        ; implicit-def: $vgpr1_vgpr2
.LBB100_232:
	ds_load_b64 v[1:2], v3
.LBB100_233:
	s_and_saveexec_b32 s4, s1
	s_cbranch_execz .LBB100_237
; %bb.234:
	v_dual_mov_b32 v11, 0 :: v_dual_add_nc_u32 v12, -13, v0
	s_movk_i32 s5, 0x198
	s_mov_b32 s1, 0
	s_delay_alu instid0(VALU_DEP_1)
	v_add_nc_u32_e32 v11, 0x68, v11
.LBB100_235:                            ; =>This Inner Loop Header: Depth=1
	scratch_load_b64 v[88:89], v11, off
	v_dual_mov_b32 v90, s5 :: v_dual_add_nc_u32 v11, 8, v11
	v_add_nc_u32_e32 v12, -1, v12
	s_add_i32 s5, s5, 8
	ds_load_b64 v[90:91], v90
	v_cmp_eq_u32_e32 vcc_lo, 0, v12
	s_or_b32 s1, vcc_lo, s1
	s_waitcnt vmcnt(0) lgkmcnt(0)
	v_fma_f64 v[1:2], v[88:89], v[90:91], v[1:2]
	s_and_not1_b32 exec_lo, exec_lo, s1
	s_cbranch_execnz .LBB100_235
; %bb.236:
	s_or_b32 exec_lo, exec_lo, s1
.LBB100_237:
	s_delay_alu instid0(SALU_CYCLE_1)
	s_or_b32 exec_lo, exec_lo, s4
	v_mov_b32_e32 v11, 0
	ds_load_b64 v[11:12], v11 offset:96
	s_waitcnt lgkmcnt(0)
	v_mul_f64 v[1:2], v[1:2], v[11:12]
	scratch_store_b64 off, v[1:2], off offset:96
.LBB100_238:
	s_or_b32 exec_lo, exec_lo, s2
	scratch_load_b64 v[1:2], off, off offset:88
	v_cmp_lt_u32_e64 s1, 11, v0
	s_waitcnt vmcnt(0)
	ds_store_b64 v3, v[1:2]
	s_waitcnt lgkmcnt(0)
	s_waitcnt_vscnt null, 0x0
	s_barrier
	buffer_gl0_inv
	s_and_saveexec_b32 s2, s1
	s_cbranch_execz .LBB100_248
; %bb.239:
	s_and_not1_b32 vcc_lo, exec_lo, s3
	s_cbranch_vccnz .LBB100_241
; %bb.240:
	scratch_load_b64 v[1:2], v4, off
	ds_load_b64 v[11:12], v3
	s_waitcnt vmcnt(0) lgkmcnt(0)
	v_mul_f64 v[1:2], v[1:2], v[11:12]
	s_cbranch_execz .LBB100_242
	s_branch .LBB100_243
.LBB100_241:
                                        ; implicit-def: $vgpr1_vgpr2
.LBB100_242:
	ds_load_b64 v[1:2], v3
.LBB100_243:
	s_and_saveexec_b32 s4, s0
	s_cbranch_execz .LBB100_247
; %bb.244:
	v_add_nc_u32_e32 v11, -12, v0
	s_movk_i32 s5, 0x190
	s_mov_b32 s0, 0
.LBB100_245:                            ; =>This Inner Loop Header: Depth=1
	scratch_load_b64 v[88:89], v10, off
	v_dual_mov_b32 v12, s5 :: v_dual_add_nc_u32 v11, -1, v11
	v_add_nc_u32_e32 v10, 8, v10
	s_add_i32 s5, s5, 8
	ds_load_b64 v[90:91], v12
	v_cmp_eq_u32_e32 vcc_lo, 0, v11
	s_or_b32 s0, vcc_lo, s0
	s_waitcnt vmcnt(0) lgkmcnt(0)
	v_fma_f64 v[1:2], v[88:89], v[90:91], v[1:2]
	s_and_not1_b32 exec_lo, exec_lo, s0
	s_cbranch_execnz .LBB100_245
; %bb.246:
	s_or_b32 exec_lo, exec_lo, s0
.LBB100_247:
	s_delay_alu instid0(SALU_CYCLE_1)
	s_or_b32 exec_lo, exec_lo, s4
	v_mov_b32_e32 v10, 0
	ds_load_b64 v[10:11], v10 offset:88
	s_waitcnt lgkmcnt(0)
	v_mul_f64 v[1:2], v[1:2], v[10:11]
	scratch_store_b64 off, v[1:2], off offset:88
.LBB100_248:
	s_or_b32 exec_lo, exec_lo, s2
	scratch_load_b64 v[1:2], off, off offset:80
	v_cmp_lt_u32_e64 s0, 10, v0
	s_waitcnt vmcnt(0)
	ds_store_b64 v3, v[1:2]
	s_waitcnt lgkmcnt(0)
	s_waitcnt_vscnt null, 0x0
	s_barrier
	buffer_gl0_inv
	s_and_saveexec_b32 s2, s0
	s_cbranch_execz .LBB100_258
; %bb.249:
	s_and_not1_b32 vcc_lo, exec_lo, s3
	s_cbranch_vccnz .LBB100_251
; %bb.250:
	scratch_load_b64 v[1:2], v4, off
	ds_load_b64 v[10:11], v3
	s_waitcnt vmcnt(0) lgkmcnt(0)
	v_mul_f64 v[1:2], v[1:2], v[10:11]
	s_cbranch_execz .LBB100_252
	s_branch .LBB100_253
.LBB100_251:
                                        ; implicit-def: $vgpr1_vgpr2
.LBB100_252:
	ds_load_b64 v[1:2], v3
.LBB100_253:
	s_and_saveexec_b32 s4, s1
	s_cbranch_execz .LBB100_257
; %bb.254:
	v_dual_mov_b32 v10, 0 :: v_dual_add_nc_u32 v11, -11, v0
	s_movk_i32 s5, 0x188
	s_mov_b32 s1, 0
	s_delay_alu instid0(VALU_DEP_1)
	v_add_nc_u32_e32 v10, 0x58, v10
.LBB100_255:                            ; =>This Inner Loop Header: Depth=1
	scratch_load_b64 v[88:89], v10, off
	v_dual_mov_b32 v12, s5 :: v_dual_add_nc_u32 v11, -1, v11
	v_add_nc_u32_e32 v10, 8, v10
	s_add_i32 s5, s5, 8
	ds_load_b64 v[90:91], v12
	v_cmp_eq_u32_e32 vcc_lo, 0, v11
	s_or_b32 s1, vcc_lo, s1
	s_waitcnt vmcnt(0) lgkmcnt(0)
	v_fma_f64 v[1:2], v[88:89], v[90:91], v[1:2]
	s_and_not1_b32 exec_lo, exec_lo, s1
	s_cbranch_execnz .LBB100_255
; %bb.256:
	s_or_b32 exec_lo, exec_lo, s1
.LBB100_257:
	s_delay_alu instid0(SALU_CYCLE_1)
	s_or_b32 exec_lo, exec_lo, s4
	v_mov_b32_e32 v10, 0
	ds_load_b64 v[10:11], v10 offset:80
	s_waitcnt lgkmcnt(0)
	v_mul_f64 v[1:2], v[1:2], v[10:11]
	scratch_store_b64 off, v[1:2], off offset:80
.LBB100_258:
	s_or_b32 exec_lo, exec_lo, s2
	scratch_load_b64 v[1:2], off, off offset:72
	v_cmp_lt_u32_e64 s1, 9, v0
	s_waitcnt vmcnt(0)
	ds_store_b64 v3, v[1:2]
	s_waitcnt lgkmcnt(0)
	s_waitcnt_vscnt null, 0x0
	s_barrier
	buffer_gl0_inv
	s_and_saveexec_b32 s2, s1
	s_cbranch_execz .LBB100_268
; %bb.259:
	s_and_not1_b32 vcc_lo, exec_lo, s3
	s_cbranch_vccnz .LBB100_261
; %bb.260:
	scratch_load_b64 v[1:2], v4, off
	ds_load_b64 v[10:11], v3
	s_waitcnt vmcnt(0) lgkmcnt(0)
	v_mul_f64 v[1:2], v[1:2], v[10:11]
	s_cbranch_execz .LBB100_262
	s_branch .LBB100_263
.LBB100_261:
                                        ; implicit-def: $vgpr1_vgpr2
.LBB100_262:
	ds_load_b64 v[1:2], v3
.LBB100_263:
	s_and_saveexec_b32 s4, s0
	s_cbranch_execz .LBB100_267
; %bb.264:
	v_add_nc_u32_e32 v10, -10, v0
	s_movk_i32 s5, 0x180
	s_mov_b32 s0, 0
.LBB100_265:                            ; =>This Inner Loop Header: Depth=1
	scratch_load_b64 v[11:12], v9, off
	v_dual_mov_b32 v88, s5 :: v_dual_add_nc_u32 v9, 8, v9
	v_add_nc_u32_e32 v10, -1, v10
	s_add_i32 s5, s5, 8
	ds_load_b64 v[88:89], v88
	v_cmp_eq_u32_e32 vcc_lo, 0, v10
	s_or_b32 s0, vcc_lo, s0
	s_waitcnt vmcnt(0) lgkmcnt(0)
	v_fma_f64 v[1:2], v[11:12], v[88:89], v[1:2]
	s_and_not1_b32 exec_lo, exec_lo, s0
	s_cbranch_execnz .LBB100_265
; %bb.266:
	s_or_b32 exec_lo, exec_lo, s0
.LBB100_267:
	s_delay_alu instid0(SALU_CYCLE_1)
	s_or_b32 exec_lo, exec_lo, s4
	v_mov_b32_e32 v9, 0
	ds_load_b64 v[9:10], v9 offset:72
	s_waitcnt lgkmcnt(0)
	v_mul_f64 v[1:2], v[1:2], v[9:10]
	scratch_store_b64 off, v[1:2], off offset:72
.LBB100_268:
	s_or_b32 exec_lo, exec_lo, s2
	scratch_load_b64 v[1:2], off, off offset:64
	v_cmp_lt_u32_e64 s0, 8, v0
	s_waitcnt vmcnt(0)
	ds_store_b64 v3, v[1:2]
	s_waitcnt lgkmcnt(0)
	s_waitcnt_vscnt null, 0x0
	s_barrier
	buffer_gl0_inv
	s_and_saveexec_b32 s2, s0
	s_cbranch_execz .LBB100_278
; %bb.269:
	s_and_not1_b32 vcc_lo, exec_lo, s3
	s_cbranch_vccnz .LBB100_271
; %bb.270:
	scratch_load_b64 v[1:2], v4, off
	ds_load_b64 v[9:10], v3
	s_waitcnt vmcnt(0) lgkmcnt(0)
	v_mul_f64 v[1:2], v[1:2], v[9:10]
	s_cbranch_execz .LBB100_272
	s_branch .LBB100_273
.LBB100_271:
                                        ; implicit-def: $vgpr1_vgpr2
.LBB100_272:
	ds_load_b64 v[1:2], v3
.LBB100_273:
	s_and_saveexec_b32 s4, s1
	s_cbranch_execz .LBB100_277
; %bb.274:
	v_dual_mov_b32 v9, 0 :: v_dual_add_nc_u32 v10, -9, v0
	s_movk_i32 s5, 0x178
	s_mov_b32 s1, 0
	s_delay_alu instid0(VALU_DEP_1)
	v_add_nc_u32_e32 v9, 0x48, v9
.LBB100_275:                            ; =>This Inner Loop Header: Depth=1
	scratch_load_b64 v[11:12], v9, off
	v_dual_mov_b32 v88, s5 :: v_dual_add_nc_u32 v9, 8, v9
	v_add_nc_u32_e32 v10, -1, v10
	s_add_i32 s5, s5, 8
	ds_load_b64 v[88:89], v88
	v_cmp_eq_u32_e32 vcc_lo, 0, v10
	s_or_b32 s1, vcc_lo, s1
	s_waitcnt vmcnt(0) lgkmcnt(0)
	v_fma_f64 v[1:2], v[11:12], v[88:89], v[1:2]
	s_and_not1_b32 exec_lo, exec_lo, s1
	s_cbranch_execnz .LBB100_275
; %bb.276:
	s_or_b32 exec_lo, exec_lo, s1
.LBB100_277:
	s_delay_alu instid0(SALU_CYCLE_1)
	s_or_b32 exec_lo, exec_lo, s4
	v_mov_b32_e32 v9, 0
	ds_load_b64 v[9:10], v9 offset:64
	s_waitcnt lgkmcnt(0)
	v_mul_f64 v[1:2], v[1:2], v[9:10]
	scratch_store_b64 off, v[1:2], off offset:64
.LBB100_278:
	s_or_b32 exec_lo, exec_lo, s2
	scratch_load_b64 v[1:2], off, off offset:56
	v_cmp_lt_u32_e64 s1, 7, v0
	s_waitcnt vmcnt(0)
	ds_store_b64 v3, v[1:2]
	s_waitcnt lgkmcnt(0)
	s_waitcnt_vscnt null, 0x0
	s_barrier
	buffer_gl0_inv
	s_and_saveexec_b32 s2, s1
	s_cbranch_execz .LBB100_288
; %bb.279:
	s_and_not1_b32 vcc_lo, exec_lo, s3
	s_cbranch_vccnz .LBB100_281
; %bb.280:
	scratch_load_b64 v[1:2], v4, off
	ds_load_b64 v[9:10], v3
	s_waitcnt vmcnt(0) lgkmcnt(0)
	v_mul_f64 v[1:2], v[1:2], v[9:10]
	s_cbranch_execz .LBB100_282
	s_branch .LBB100_283
.LBB100_281:
                                        ; implicit-def: $vgpr1_vgpr2
.LBB100_282:
	ds_load_b64 v[1:2], v3
.LBB100_283:
	s_and_saveexec_b32 s4, s0
	s_cbranch_execz .LBB100_287
; %bb.284:
	v_add_nc_u32_e32 v9, -8, v0
	s_movk_i32 s5, 0x170
	s_mov_b32 s0, 0
.LBB100_285:                            ; =>This Inner Loop Header: Depth=1
	scratch_load_b64 v[10:11], v8, off
	v_dual_mov_b32 v12, s5 :: v_dual_add_nc_u32 v9, -1, v9
	v_add_nc_u32_e32 v8, 8, v8
	s_add_i32 s5, s5, 8
	ds_load_b64 v[88:89], v12
	v_cmp_eq_u32_e32 vcc_lo, 0, v9
	s_or_b32 s0, vcc_lo, s0
	s_waitcnt vmcnt(0) lgkmcnt(0)
	v_fma_f64 v[1:2], v[10:11], v[88:89], v[1:2]
	s_and_not1_b32 exec_lo, exec_lo, s0
	s_cbranch_execnz .LBB100_285
; %bb.286:
	s_or_b32 exec_lo, exec_lo, s0
.LBB100_287:
	s_delay_alu instid0(SALU_CYCLE_1)
	s_or_b32 exec_lo, exec_lo, s4
	v_mov_b32_e32 v8, 0
	ds_load_b64 v[8:9], v8 offset:56
	s_waitcnt lgkmcnt(0)
	v_mul_f64 v[1:2], v[1:2], v[8:9]
	scratch_store_b64 off, v[1:2], off offset:56
.LBB100_288:
	s_or_b32 exec_lo, exec_lo, s2
	scratch_load_b64 v[1:2], off, off offset:48
	v_cmp_lt_u32_e64 s0, 6, v0
	s_waitcnt vmcnt(0)
	ds_store_b64 v3, v[1:2]
	s_waitcnt lgkmcnt(0)
	s_waitcnt_vscnt null, 0x0
	s_barrier
	buffer_gl0_inv
	s_and_saveexec_b32 s2, s0
	s_cbranch_execz .LBB100_298
; %bb.289:
	s_and_not1_b32 vcc_lo, exec_lo, s3
	s_cbranch_vccnz .LBB100_291
; %bb.290:
	scratch_load_b64 v[1:2], v4, off
	ds_load_b64 v[8:9], v3
	s_waitcnt vmcnt(0) lgkmcnt(0)
	v_mul_f64 v[1:2], v[1:2], v[8:9]
	s_cbranch_execz .LBB100_292
	s_branch .LBB100_293
.LBB100_291:
                                        ; implicit-def: $vgpr1_vgpr2
.LBB100_292:
	ds_load_b64 v[1:2], v3
.LBB100_293:
	s_and_saveexec_b32 s4, s1
	s_cbranch_execz .LBB100_297
; %bb.294:
	v_add_nc_u32_e64 v8, 0, 56
	v_add_nc_u32_e32 v9, -7, v0
	s_movk_i32 s5, 0x168
	s_mov_b32 s1, 0
.LBB100_295:                            ; =>This Inner Loop Header: Depth=1
	scratch_load_b64 v[10:11], v8, off
	v_dual_mov_b32 v12, s5 :: v_dual_add_nc_u32 v9, -1, v9
	v_add_nc_u32_e32 v8, 8, v8
	s_add_i32 s5, s5, 8
	ds_load_b64 v[88:89], v12
	v_cmp_eq_u32_e32 vcc_lo, 0, v9
	s_or_b32 s1, vcc_lo, s1
	s_waitcnt vmcnt(0) lgkmcnt(0)
	v_fma_f64 v[1:2], v[10:11], v[88:89], v[1:2]
	s_and_not1_b32 exec_lo, exec_lo, s1
	s_cbranch_execnz .LBB100_295
; %bb.296:
	s_or_b32 exec_lo, exec_lo, s1
.LBB100_297:
	s_delay_alu instid0(SALU_CYCLE_1)
	s_or_b32 exec_lo, exec_lo, s4
	v_mov_b32_e32 v8, 0
	ds_load_b64 v[8:9], v8 offset:48
	s_waitcnt lgkmcnt(0)
	v_mul_f64 v[1:2], v[1:2], v[8:9]
	scratch_store_b64 off, v[1:2], off offset:48
.LBB100_298:
	s_or_b32 exec_lo, exec_lo, s2
	scratch_load_b64 v[1:2], off, off offset:40
	v_cmp_lt_u32_e64 s1, 5, v0
	s_waitcnt vmcnt(0)
	ds_store_b64 v3, v[1:2]
	s_waitcnt lgkmcnt(0)
	s_waitcnt_vscnt null, 0x0
	s_barrier
	buffer_gl0_inv
	s_and_saveexec_b32 s2, s1
	s_cbranch_execz .LBB100_308
; %bb.299:
	s_and_not1_b32 vcc_lo, exec_lo, s3
	s_cbranch_vccnz .LBB100_301
; %bb.300:
	scratch_load_b64 v[1:2], v4, off
	ds_load_b64 v[8:9], v3
	s_waitcnt vmcnt(0) lgkmcnt(0)
	v_mul_f64 v[1:2], v[1:2], v[8:9]
	s_cbranch_execz .LBB100_302
	s_branch .LBB100_303
.LBB100_301:
                                        ; implicit-def: $vgpr1_vgpr2
.LBB100_302:
	ds_load_b64 v[1:2], v3
.LBB100_303:
	s_and_saveexec_b32 s4, s0
	s_cbranch_execz .LBB100_307
; %bb.304:
	v_add_nc_u32_e32 v8, -6, v0
	s_movk_i32 s5, 0x160
	s_mov_b32 s0, 0
.LBB100_305:                            ; =>This Inner Loop Header: Depth=1
	scratch_load_b64 v[9:10], v7, off
	v_dual_mov_b32 v11, s5 :: v_dual_add_nc_u32 v8, -1, v8
	v_add_nc_u32_e32 v7, 8, v7
	s_add_i32 s5, s5, 8
	ds_load_b64 v[11:12], v11
	v_cmp_eq_u32_e32 vcc_lo, 0, v8
	s_or_b32 s0, vcc_lo, s0
	s_waitcnt vmcnt(0) lgkmcnt(0)
	v_fma_f64 v[1:2], v[9:10], v[11:12], v[1:2]
	s_and_not1_b32 exec_lo, exec_lo, s0
	s_cbranch_execnz .LBB100_305
; %bb.306:
	s_or_b32 exec_lo, exec_lo, s0
.LBB100_307:
	s_delay_alu instid0(SALU_CYCLE_1)
	s_or_b32 exec_lo, exec_lo, s4
	v_mov_b32_e32 v7, 0
	ds_load_b64 v[7:8], v7 offset:40
	s_waitcnt lgkmcnt(0)
	v_mul_f64 v[1:2], v[1:2], v[7:8]
	scratch_store_b64 off, v[1:2], off offset:40
.LBB100_308:
	s_or_b32 exec_lo, exec_lo, s2
	scratch_load_b64 v[1:2], off, off offset:32
	v_cmp_lt_u32_e64 s0, 4, v0
	s_waitcnt vmcnt(0)
	ds_store_b64 v3, v[1:2]
	s_waitcnt lgkmcnt(0)
	s_waitcnt_vscnt null, 0x0
	s_barrier
	buffer_gl0_inv
	s_and_saveexec_b32 s2, s0
	s_cbranch_execz .LBB100_318
; %bb.309:
	s_and_not1_b32 vcc_lo, exec_lo, s3
	s_cbranch_vccnz .LBB100_311
; %bb.310:
	scratch_load_b64 v[1:2], v4, off
	ds_load_b64 v[7:8], v3
	s_waitcnt vmcnt(0) lgkmcnt(0)
	v_mul_f64 v[1:2], v[1:2], v[7:8]
	s_cbranch_execz .LBB100_312
	s_branch .LBB100_313
.LBB100_311:
                                        ; implicit-def: $vgpr1_vgpr2
.LBB100_312:
	ds_load_b64 v[1:2], v3
.LBB100_313:
	s_and_saveexec_b32 s4, s1
	s_cbranch_execz .LBB100_317
; %bb.314:
	v_add_nc_u32_e64 v7, 0, 40
	v_add_nc_u32_e32 v8, -5, v0
	s_movk_i32 s5, 0x158
	s_mov_b32 s1, 0
.LBB100_315:                            ; =>This Inner Loop Header: Depth=1
	scratch_load_b64 v[9:10], v7, off
	v_dual_mov_b32 v11, s5 :: v_dual_add_nc_u32 v8, -1, v8
	v_add_nc_u32_e32 v7, 8, v7
	s_add_i32 s5, s5, 8
	ds_load_b64 v[11:12], v11
	v_cmp_eq_u32_e32 vcc_lo, 0, v8
	s_or_b32 s1, vcc_lo, s1
	s_waitcnt vmcnt(0) lgkmcnt(0)
	v_fma_f64 v[1:2], v[9:10], v[11:12], v[1:2]
	s_and_not1_b32 exec_lo, exec_lo, s1
	s_cbranch_execnz .LBB100_315
; %bb.316:
	s_or_b32 exec_lo, exec_lo, s1
.LBB100_317:
	s_delay_alu instid0(SALU_CYCLE_1)
	s_or_b32 exec_lo, exec_lo, s4
	v_mov_b32_e32 v7, 0
	ds_load_b64 v[7:8], v7 offset:32
	s_waitcnt lgkmcnt(0)
	v_mul_f64 v[1:2], v[1:2], v[7:8]
	scratch_store_b64 off, v[1:2], off offset:32
.LBB100_318:
	s_or_b32 exec_lo, exec_lo, s2
	scratch_load_b64 v[1:2], off, off offset:24
	v_cmp_lt_u32_e64 s1, 3, v0
	s_waitcnt vmcnt(0)
	ds_store_b64 v3, v[1:2]
	s_waitcnt lgkmcnt(0)
	s_waitcnt_vscnt null, 0x0
	s_barrier
	buffer_gl0_inv
	s_and_saveexec_b32 s2, s1
	s_cbranch_execz .LBB100_328
; %bb.319:
	s_and_not1_b32 vcc_lo, exec_lo, s3
	s_cbranch_vccnz .LBB100_321
; %bb.320:
	scratch_load_b64 v[1:2], v4, off
	ds_load_b64 v[7:8], v3
	s_waitcnt vmcnt(0) lgkmcnt(0)
	v_mul_f64 v[1:2], v[1:2], v[7:8]
	s_cbranch_execz .LBB100_322
	s_branch .LBB100_323
.LBB100_321:
                                        ; implicit-def: $vgpr1_vgpr2
.LBB100_322:
	ds_load_b64 v[1:2], v3
.LBB100_323:
	s_and_saveexec_b32 s4, s0
	s_cbranch_execz .LBB100_327
; %bb.324:
	v_add_nc_u32_e32 v7, -4, v0
	s_movk_i32 s5, 0x150
	s_mov_b32 s0, 0
.LBB100_325:                            ; =>This Inner Loop Header: Depth=1
	scratch_load_b64 v[8:9], v6, off
	v_dual_mov_b32 v10, s5 :: v_dual_add_nc_u32 v7, -1, v7
	v_add_nc_u32_e32 v6, 8, v6
	s_add_i32 s5, s5, 8
	ds_load_b64 v[10:11], v10
	v_cmp_eq_u32_e32 vcc_lo, 0, v7
	s_or_b32 s0, vcc_lo, s0
	s_waitcnt vmcnt(0) lgkmcnt(0)
	v_fma_f64 v[1:2], v[8:9], v[10:11], v[1:2]
	s_and_not1_b32 exec_lo, exec_lo, s0
	s_cbranch_execnz .LBB100_325
; %bb.326:
	s_or_b32 exec_lo, exec_lo, s0
.LBB100_327:
	s_delay_alu instid0(SALU_CYCLE_1)
	s_or_b32 exec_lo, exec_lo, s4
	v_mov_b32_e32 v6, 0
	ds_load_b64 v[6:7], v6 offset:24
	s_waitcnt lgkmcnt(0)
	v_mul_f64 v[1:2], v[1:2], v[6:7]
	scratch_store_b64 off, v[1:2], off offset:24
.LBB100_328:
	s_or_b32 exec_lo, exec_lo, s2
	scratch_load_b64 v[1:2], off, off offset:16
	v_cmp_lt_u32_e64 s0, 2, v0
	s_waitcnt vmcnt(0)
	ds_store_b64 v3, v[1:2]
	s_waitcnt lgkmcnt(0)
	s_waitcnt_vscnt null, 0x0
	s_barrier
	buffer_gl0_inv
	s_and_saveexec_b32 s2, s0
	s_cbranch_execz .LBB100_338
; %bb.329:
	s_and_not1_b32 vcc_lo, exec_lo, s3
	s_cbranch_vccnz .LBB100_331
; %bb.330:
	scratch_load_b64 v[1:2], v4, off
	ds_load_b64 v[6:7], v3
	s_waitcnt vmcnt(0) lgkmcnt(0)
	v_mul_f64 v[1:2], v[1:2], v[6:7]
	s_cbranch_execz .LBB100_332
	s_branch .LBB100_333
.LBB100_331:
                                        ; implicit-def: $vgpr1_vgpr2
.LBB100_332:
	ds_load_b64 v[1:2], v3
.LBB100_333:
	s_and_saveexec_b32 s4, s1
	s_cbranch_execz .LBB100_337
; %bb.334:
	v_add_nc_u32_e64 v6, 0, 24
	v_add_nc_u32_e32 v7, -3, v0
	s_movk_i32 s5, 0x148
	s_mov_b32 s1, 0
.LBB100_335:                            ; =>This Inner Loop Header: Depth=1
	scratch_load_b64 v[8:9], v6, off
	v_dual_mov_b32 v10, s5 :: v_dual_add_nc_u32 v7, -1, v7
	v_add_nc_u32_e32 v6, 8, v6
	s_add_i32 s5, s5, 8
	ds_load_b64 v[10:11], v10
	v_cmp_eq_u32_e32 vcc_lo, 0, v7
	s_or_b32 s1, vcc_lo, s1
	s_waitcnt vmcnt(0) lgkmcnt(0)
	v_fma_f64 v[1:2], v[8:9], v[10:11], v[1:2]
	s_and_not1_b32 exec_lo, exec_lo, s1
	s_cbranch_execnz .LBB100_335
; %bb.336:
	s_or_b32 exec_lo, exec_lo, s1
.LBB100_337:
	s_delay_alu instid0(SALU_CYCLE_1)
	s_or_b32 exec_lo, exec_lo, s4
	v_mov_b32_e32 v6, 0
	ds_load_b64 v[6:7], v6 offset:16
	s_waitcnt lgkmcnt(0)
	v_mul_f64 v[1:2], v[1:2], v[6:7]
	scratch_store_b64 off, v[1:2], off offset:16
.LBB100_338:
	s_or_b32 exec_lo, exec_lo, s2
	scratch_load_b64 v[1:2], off, off offset:8
	v_cmp_lt_u32_e64 s1, 1, v0
	s_waitcnt vmcnt(0)
	ds_store_b64 v3, v[1:2]
	s_waitcnt lgkmcnt(0)
	s_waitcnt_vscnt null, 0x0
	s_barrier
	buffer_gl0_inv
	s_and_saveexec_b32 s2, s1
	s_cbranch_execz .LBB100_348
; %bb.339:
	s_and_not1_b32 vcc_lo, exec_lo, s3
	s_cbranch_vccnz .LBB100_341
; %bb.340:
	scratch_load_b64 v[1:2], v4, off
	ds_load_b64 v[6:7], v3
	s_waitcnt vmcnt(0) lgkmcnt(0)
	v_mul_f64 v[1:2], v[1:2], v[6:7]
	s_cbranch_execz .LBB100_342
	s_branch .LBB100_343
.LBB100_341:
                                        ; implicit-def: $vgpr1_vgpr2
.LBB100_342:
	ds_load_b64 v[1:2], v3
.LBB100_343:
	s_and_saveexec_b32 s4, s0
	s_cbranch_execz .LBB100_347
; %bb.344:
	v_add_nc_u32_e32 v6, -2, v0
	s_movk_i32 s5, 0x140
	s_mov_b32 s0, 0
.LBB100_345:                            ; =>This Inner Loop Header: Depth=1
	scratch_load_b64 v[7:8], v5, off
	v_dual_mov_b32 v9, s5 :: v_dual_add_nc_u32 v6, -1, v6
	v_add_nc_u32_e32 v5, 8, v5
	s_add_i32 s5, s5, 8
	ds_load_b64 v[9:10], v9
	v_cmp_eq_u32_e32 vcc_lo, 0, v6
	s_or_b32 s0, vcc_lo, s0
	s_waitcnt vmcnt(0) lgkmcnt(0)
	v_fma_f64 v[1:2], v[7:8], v[9:10], v[1:2]
	s_and_not1_b32 exec_lo, exec_lo, s0
	s_cbranch_execnz .LBB100_345
; %bb.346:
	s_or_b32 exec_lo, exec_lo, s0
.LBB100_347:
	s_delay_alu instid0(SALU_CYCLE_1)
	s_or_b32 exec_lo, exec_lo, s4
	v_mov_b32_e32 v5, 0
	ds_load_b64 v[5:6], v5 offset:8
	s_waitcnt lgkmcnt(0)
	v_mul_f64 v[1:2], v[1:2], v[5:6]
	scratch_store_b64 off, v[1:2], off offset:8
.LBB100_348:
	s_or_b32 exec_lo, exec_lo, s2
	scratch_load_b64 v[1:2], off, off
	s_mov_b32 s0, 0
	s_mov_b32 s2, exec_lo
	s_waitcnt vmcnt(0)
	ds_store_b64 v3, v[1:2]
	s_waitcnt lgkmcnt(0)
	s_waitcnt_vscnt null, 0x0
	s_barrier
	buffer_gl0_inv
	v_cmpx_ne_u32_e32 0, v0
	s_cbranch_execz .LBB100_358
; %bb.349:
	s_and_not1_b32 vcc_lo, exec_lo, s3
	s_cbranch_vccnz .LBB100_351
; %bb.350:
	scratch_load_b64 v[1:2], v4, off
	ds_load_b64 v[5:6], v3
	s_waitcnt vmcnt(0) lgkmcnt(0)
	v_mul_f64 v[1:2], v[1:2], v[5:6]
	s_cbranch_execz .LBB100_352
	s_branch .LBB100_353
.LBB100_351:
                                        ; implicit-def: $vgpr1_vgpr2
.LBB100_352:
	ds_load_b64 v[1:2], v3
.LBB100_353:
	s_and_saveexec_b32 s4, s1
	s_cbranch_execz .LBB100_357
; %bb.354:
	v_or_b32_e64 v5, 0, 8
	v_add_nc_u32_e32 v6, -1, v0
	s_movk_i32 s5, 0x138
	s_mov_b32 s1, 0
.LBB100_355:                            ; =>This Inner Loop Header: Depth=1
	scratch_load_b64 v[7:8], v5, off
	v_dual_mov_b32 v9, s5 :: v_dual_add_nc_u32 v6, -1, v6
	v_add_nc_u32_e32 v5, 8, v5
	s_add_i32 s5, s5, 8
	ds_load_b64 v[9:10], v9
	v_cmp_eq_u32_e32 vcc_lo, 0, v6
	s_or_b32 s1, vcc_lo, s1
	s_waitcnt vmcnt(0) lgkmcnt(0)
	v_fma_f64 v[1:2], v[7:8], v[9:10], v[1:2]
	s_and_not1_b32 exec_lo, exec_lo, s1
	s_cbranch_execnz .LBB100_355
; %bb.356:
	s_or_b32 exec_lo, exec_lo, s1
.LBB100_357:
	s_delay_alu instid0(SALU_CYCLE_1)
	s_or_b32 exec_lo, exec_lo, s4
	v_mov_b32_e32 v5, 0
	ds_load_b64 v[5:6], v5
	s_waitcnt lgkmcnt(0)
	v_mul_f64 v[1:2], v[1:2], v[5:6]
	scratch_store_b64 off, v[1:2], off
.LBB100_358:
	s_or_b32 exec_lo, exec_lo, s2
.LBB100_359:
	s_delay_alu instid0(SALU_CYCLE_1)
	s_and_b32 vcc_lo, exec_lo, s0
	s_cbranch_vccz .LBB100_715
; %bb.360:
	scratch_load_b64 v[1:2], off, off offset:8
	v_cmp_eq_u32_e64 s0, 0, v0
	s_waitcnt vmcnt(0)
	ds_store_b64 v3, v[1:2]
	s_waitcnt lgkmcnt(0)
	s_waitcnt_vscnt null, 0x0
	s_barrier
	buffer_gl0_inv
	s_and_saveexec_b32 s1, s0
	s_cbranch_execz .LBB100_366
; %bb.361:
	s_and_b32 vcc_lo, exec_lo, s3
	s_cbranch_vccz .LBB100_363
; %bb.362:
	scratch_load_b64 v[1:2], v4, off
	ds_load_b64 v[5:6], v3
	s_waitcnt vmcnt(0) lgkmcnt(0)
	v_mul_f64 v[1:2], v[1:2], v[5:6]
	s_cbranch_execz .LBB100_364
	s_branch .LBB100_365
.LBB100_363:
                                        ; implicit-def: $vgpr1_vgpr2
.LBB100_364:
	ds_load_b64 v[1:2], v3
.LBB100_365:
	v_mov_b32_e32 v5, 0
	ds_load_b64 v[5:6], v5 offset:8
	s_waitcnt lgkmcnt(0)
	v_mul_f64 v[1:2], v[1:2], v[5:6]
	scratch_store_b64 off, v[1:2], off offset:8
.LBB100_366:
	s_or_b32 exec_lo, exec_lo, s1
	scratch_load_b64 v[1:2], off, off offset:16
	v_cndmask_b32_e64 v5, 0, 1, s3
	s_mov_b32 s1, exec_lo
	s_waitcnt vmcnt(0)
	ds_store_b64 v3, v[1:2]
	s_waitcnt lgkmcnt(0)
	s_waitcnt_vscnt null, 0x0
	s_barrier
	buffer_gl0_inv
	v_cmpx_gt_u32_e32 2, v0
	s_cbranch_execz .LBB100_374
; %bb.367:
	s_and_not1_b32 vcc_lo, exec_lo, s3
	s_cbranch_vccnz .LBB100_369
; %bb.368:
	scratch_load_b64 v[1:2], v4, off
	ds_load_b64 v[6:7], v3
	s_waitcnt vmcnt(0) lgkmcnt(0)
	v_mul_f64 v[1:2], v[1:2], v[6:7]
	s_cbranch_execz .LBB100_370
	s_branch .LBB100_371
.LBB100_369:
                                        ; implicit-def: $vgpr1_vgpr2
.LBB100_370:
	ds_load_b64 v[1:2], v3
.LBB100_371:
	s_and_saveexec_b32 s2, s0
	s_cbranch_execz .LBB100_373
; %bb.372:
	scratch_load_b64 v[6:7], v4, off offset:8
	ds_load_b64 v[8:9], v3 offset:8
	s_waitcnt vmcnt(0) lgkmcnt(0)
	v_fma_f64 v[1:2], v[6:7], v[8:9], v[1:2]
.LBB100_373:
	s_or_b32 exec_lo, exec_lo, s2
	v_mov_b32_e32 v6, 0
	ds_load_b64 v[6:7], v6 offset:16
	s_waitcnt lgkmcnt(0)
	v_mul_f64 v[1:2], v[1:2], v[6:7]
	scratch_store_b64 off, v[1:2], off offset:16
.LBB100_374:
	s_or_b32 exec_lo, exec_lo, s1
	scratch_load_b64 v[1:2], off, off offset:24
	s_mov_b32 s1, exec_lo
	s_waitcnt vmcnt(0)
	ds_store_b64 v3, v[1:2]
	s_waitcnt lgkmcnt(0)
	s_waitcnt_vscnt null, 0x0
	s_barrier
	buffer_gl0_inv
	v_cmpx_gt_u32_e32 3, v0
	s_cbranch_execz .LBB100_384
; %bb.375:
	v_cmp_ne_u32_e32 vcc_lo, 1, v5
	s_cbranch_vccnz .LBB100_377
; %bb.376:
	scratch_load_b64 v[1:2], v4, off
	ds_load_b64 v[6:7], v3
	s_waitcnt vmcnt(0) lgkmcnt(0)
	v_mul_f64 v[1:2], v[1:2], v[6:7]
	s_cbranch_execz .LBB100_378
	s_branch .LBB100_379
.LBB100_377:
                                        ; implicit-def: $vgpr1_vgpr2
.LBB100_378:
	ds_load_b64 v[1:2], v3
.LBB100_379:
	s_mov_b32 s2, exec_lo
	v_cmpx_ne_u32_e32 2, v0
	s_cbranch_execz .LBB100_383
; %bb.380:
	scratch_load_b64 v[6:7], v4, off offset:8
	ds_load_b64 v[8:9], v3 offset:8
	s_waitcnt vmcnt(0) lgkmcnt(0)
	v_fma_f64 v[1:2], v[6:7], v[8:9], v[1:2]
	s_and_saveexec_b32 s3, s0
	s_cbranch_execz .LBB100_382
; %bb.381:
	scratch_load_b64 v[6:7], off, off offset:16
	v_mov_b32_e32 v8, 0
	ds_load_b64 v[8:9], v8 offset:320
	s_waitcnt vmcnt(0) lgkmcnt(0)
	v_fma_f64 v[1:2], v[6:7], v[8:9], v[1:2]
.LBB100_382:
	s_or_b32 exec_lo, exec_lo, s3
.LBB100_383:
	s_delay_alu instid0(SALU_CYCLE_1)
	s_or_b32 exec_lo, exec_lo, s2
	v_mov_b32_e32 v6, 0
	ds_load_b64 v[6:7], v6 offset:24
	s_waitcnt lgkmcnt(0)
	v_mul_f64 v[1:2], v[1:2], v[6:7]
	scratch_store_b64 off, v[1:2], off offset:24
.LBB100_384:
	s_or_b32 exec_lo, exec_lo, s1
	scratch_load_b64 v[1:2], off, off offset:32
	s_mov_b32 s0, exec_lo
	s_waitcnt vmcnt(0)
	ds_store_b64 v3, v[1:2]
	s_waitcnt lgkmcnt(0)
	s_waitcnt_vscnt null, 0x0
	s_barrier
	buffer_gl0_inv
	v_cmpx_gt_u32_e32 4, v0
	s_cbranch_execz .LBB100_394
; %bb.385:
	v_cmp_ne_u32_e32 vcc_lo, 1, v5
	s_cbranch_vccnz .LBB100_387
; %bb.386:
	scratch_load_b64 v[1:2], v4, off
	ds_load_b64 v[6:7], v3
	s_waitcnt vmcnt(0) lgkmcnt(0)
	v_mul_f64 v[1:2], v[1:2], v[6:7]
	s_cbranch_execz .LBB100_388
	s_branch .LBB100_389
.LBB100_387:
                                        ; implicit-def: $vgpr1_vgpr2
.LBB100_388:
	ds_load_b64 v[1:2], v3
.LBB100_389:
	s_mov_b32 s1, exec_lo
	v_cmpx_ne_u32_e32 3, v0
	s_cbranch_execz .LBB100_393
; %bb.390:
	v_add_nc_u32_e32 v6, 0x138, v87
	v_add3_u32 v7, 0, v87, 8
	v_mov_b32_e32 v8, v0
	s_mov_b32 s2, 0
.LBB100_391:                            ; =>This Inner Loop Header: Depth=1
	scratch_load_b64 v[9:10], v7, off
	ds_load_b64 v[11:12], v6
	v_add_nc_u32_e32 v8, 1, v8
	v_add_nc_u32_e32 v6, 8, v6
	v_add_nc_u32_e32 v7, 8, v7
	s_delay_alu instid0(VALU_DEP_3)
	v_cmp_lt_u32_e32 vcc_lo, 2, v8
	s_or_b32 s2, vcc_lo, s2
	s_waitcnt vmcnt(0) lgkmcnt(0)
	v_fma_f64 v[1:2], v[9:10], v[11:12], v[1:2]
	s_and_not1_b32 exec_lo, exec_lo, s2
	s_cbranch_execnz .LBB100_391
; %bb.392:
	s_or_b32 exec_lo, exec_lo, s2
.LBB100_393:
	s_delay_alu instid0(SALU_CYCLE_1)
	s_or_b32 exec_lo, exec_lo, s1
	v_mov_b32_e32 v6, 0
	ds_load_b64 v[6:7], v6 offset:32
	s_waitcnt lgkmcnt(0)
	v_mul_f64 v[1:2], v[1:2], v[6:7]
	scratch_store_b64 off, v[1:2], off offset:32
.LBB100_394:
	s_or_b32 exec_lo, exec_lo, s0
	scratch_load_b64 v[1:2], off, off offset:40
	s_mov_b32 s0, exec_lo
	s_waitcnt vmcnt(0)
	ds_store_b64 v3, v[1:2]
	s_waitcnt lgkmcnt(0)
	s_waitcnt_vscnt null, 0x0
	s_barrier
	buffer_gl0_inv
	v_cmpx_gt_u32_e32 5, v0
	s_cbranch_execz .LBB100_404
; %bb.395:
	v_cmp_ne_u32_e32 vcc_lo, 1, v5
	s_cbranch_vccnz .LBB100_397
; %bb.396:
	scratch_load_b64 v[1:2], v4, off
	ds_load_b64 v[6:7], v3
	s_waitcnt vmcnt(0) lgkmcnt(0)
	v_mul_f64 v[1:2], v[1:2], v[6:7]
	s_cbranch_execz .LBB100_398
	s_branch .LBB100_399
.LBB100_397:
                                        ; implicit-def: $vgpr1_vgpr2
.LBB100_398:
	ds_load_b64 v[1:2], v3
.LBB100_399:
	s_mov_b32 s1, exec_lo
	v_cmpx_ne_u32_e32 4, v0
	s_cbranch_execz .LBB100_403
; %bb.400:
	v_add_nc_u32_e32 v6, 0x138, v87
	v_add3_u32 v7, 0, v87, 8
	v_mov_b32_e32 v8, v0
	s_mov_b32 s2, 0
.LBB100_401:                            ; =>This Inner Loop Header: Depth=1
	scratch_load_b64 v[9:10], v7, off
	ds_load_b64 v[11:12], v6
	v_add_nc_u32_e32 v8, 1, v8
	v_add_nc_u32_e32 v6, 8, v6
	v_add_nc_u32_e32 v7, 8, v7
	s_delay_alu instid0(VALU_DEP_3)
	v_cmp_lt_u32_e32 vcc_lo, 3, v8
	s_or_b32 s2, vcc_lo, s2
	s_waitcnt vmcnt(0) lgkmcnt(0)
	v_fma_f64 v[1:2], v[9:10], v[11:12], v[1:2]
	s_and_not1_b32 exec_lo, exec_lo, s2
	s_cbranch_execnz .LBB100_401
; %bb.402:
	s_or_b32 exec_lo, exec_lo, s2
.LBB100_403:
	s_delay_alu instid0(SALU_CYCLE_1)
	s_or_b32 exec_lo, exec_lo, s1
	v_mov_b32_e32 v6, 0
	ds_load_b64 v[6:7], v6 offset:40
	s_waitcnt lgkmcnt(0)
	v_mul_f64 v[1:2], v[1:2], v[6:7]
	scratch_store_b64 off, v[1:2], off offset:40
.LBB100_404:
	;; [unrolled: 58-line block ×31, first 2 shown]
	s_or_b32 exec_lo, exec_lo, s0
	scratch_load_b64 v[1:2], off, off offset:280
	v_cmp_gt_u32_e64 s0, 35, v0
	s_waitcnt vmcnt(0)
	ds_store_b64 v3, v[1:2]
	s_waitcnt lgkmcnt(0)
	s_waitcnt_vscnt null, 0x0
	s_barrier
	buffer_gl0_inv
	s_and_saveexec_b32 s1, s0
	s_cbranch_execz .LBB100_704
; %bb.695:
	v_cmp_ne_u32_e32 vcc_lo, 1, v5
	s_cbranch_vccnz .LBB100_697
; %bb.696:
	scratch_load_b64 v[1:2], v4, off
	ds_load_b64 v[6:7], v3
	s_waitcnt vmcnt(0) lgkmcnt(0)
	v_mul_f64 v[1:2], v[1:2], v[6:7]
	s_cbranch_execz .LBB100_698
	s_branch .LBB100_699
.LBB100_697:
                                        ; implicit-def: $vgpr1_vgpr2
.LBB100_698:
	ds_load_b64 v[1:2], v3
.LBB100_699:
	s_mov_b32 s2, exec_lo
	v_cmpx_ne_u32_e32 34, v0
	s_cbranch_execz .LBB100_703
; %bb.700:
	v_add_nc_u32_e32 v6, 0x138, v87
	v_add3_u32 v7, 0, v87, 8
	v_mov_b32_e32 v8, v0
	s_mov_b32 s3, 0
.LBB100_701:                            ; =>This Inner Loop Header: Depth=1
	scratch_load_b64 v[9:10], v7, off
	ds_load_b64 v[11:12], v6
	v_add_nc_u32_e32 v8, 1, v8
	v_add_nc_u32_e32 v6, 8, v6
	;; [unrolled: 1-line block ×3, first 2 shown]
	s_delay_alu instid0(VALU_DEP_3)
	v_cmp_lt_u32_e32 vcc_lo, 33, v8
	s_or_b32 s3, vcc_lo, s3
	s_waitcnt vmcnt(0) lgkmcnt(0)
	v_fma_f64 v[1:2], v[9:10], v[11:12], v[1:2]
	s_and_not1_b32 exec_lo, exec_lo, s3
	s_cbranch_execnz .LBB100_701
; %bb.702:
	s_or_b32 exec_lo, exec_lo, s3
.LBB100_703:
	s_delay_alu instid0(SALU_CYCLE_1)
	s_or_b32 exec_lo, exec_lo, s2
	v_mov_b32_e32 v6, 0
	ds_load_b64 v[6:7], v6 offset:280
	s_waitcnt lgkmcnt(0)
	v_mul_f64 v[1:2], v[1:2], v[6:7]
	scratch_store_b64 off, v[1:2], off offset:280
.LBB100_704:
	s_or_b32 exec_lo, exec_lo, s1
	scratch_load_b64 v[1:2], off, off offset:288
	s_mov_b32 s1, exec_lo
	s_waitcnt vmcnt(0)
	ds_store_b64 v3, v[1:2]
	s_waitcnt lgkmcnt(0)
	s_waitcnt_vscnt null, 0x0
	s_barrier
	buffer_gl0_inv
	v_cmpx_ne_u32_e32 36, v0
	s_cbranch_execz .LBB100_714
; %bb.705:
	v_cmp_ne_u32_e32 vcc_lo, 1, v5
	s_cbranch_vccnz .LBB100_707
; %bb.706:
	scratch_load_b64 v[1:2], v4, off
	ds_load_b64 v[4:5], v3
	s_waitcnt vmcnt(0) lgkmcnt(0)
	v_mul_f64 v[1:2], v[1:2], v[4:5]
	s_cbranch_execz .LBB100_708
	s_branch .LBB100_709
.LBB100_707:
                                        ; implicit-def: $vgpr1_vgpr2
.LBB100_708:
	ds_load_b64 v[1:2], v3
.LBB100_709:
	s_and_saveexec_b32 s2, s0
	s_cbranch_execz .LBB100_713
; %bb.710:
	v_add_nc_u32_e32 v3, 0x138, v87
	v_add3_u32 v4, 0, v87, 8
	s_mov_b32 s0, 0
.LBB100_711:                            ; =>This Inner Loop Header: Depth=1
	scratch_load_b64 v[5:6], v4, off
	ds_load_b64 v[7:8], v3
	v_add_nc_u32_e32 v0, 1, v0
	v_add_nc_u32_e32 v3, 8, v3
	;; [unrolled: 1-line block ×3, first 2 shown]
	s_delay_alu instid0(VALU_DEP_3)
	v_cmp_lt_u32_e32 vcc_lo, 34, v0
	s_or_b32 s0, vcc_lo, s0
	s_waitcnt vmcnt(0) lgkmcnt(0)
	v_fma_f64 v[1:2], v[5:6], v[7:8], v[1:2]
	s_and_not1_b32 exec_lo, exec_lo, s0
	s_cbranch_execnz .LBB100_711
; %bb.712:
	s_or_b32 exec_lo, exec_lo, s0
.LBB100_713:
	s_delay_alu instid0(SALU_CYCLE_1)
	s_or_b32 exec_lo, exec_lo, s2
	v_mov_b32_e32 v0, 0
	ds_load_b64 v[3:4], v0 offset:288
	s_waitcnt lgkmcnt(0)
	v_mul_f64 v[0:1], v[1:2], v[3:4]
	scratch_store_b64 off, v[0:1], off offset:288
.LBB100_714:
	s_or_b32 exec_lo, exec_lo, s1
.LBB100_715:
	s_clause 0xb
	scratch_load_b128 v[0:3], off, off
	scratch_load_b128 v[4:7], off, off offset:16
	scratch_load_b128 v[8:11], off, off offset:32
	;; [unrolled: 1-line block ×11, first 2 shown]
	s_waitcnt vmcnt(11)
	s_clause 0x1
	global_store_b64 v[29:30], v[0:1], off
	global_store_b64 v[31:32], v[2:3], off
	scratch_load_b128 v[0:3], off, off offset:176
	s_waitcnt vmcnt(11)
	s_clause 0x1
	global_store_b64 v[23:24], v[4:5], off
	global_store_b64 v[17:18], v[6:7], off
	s_waitcnt vmcnt(10)
	s_clause 0x1
	global_store_b64 v[15:16], v[8:9], off
	global_store_b64 v[13:14], v[10:11], off
	;; [unrolled: 4-line block ×3, first 2 shown]
	s_clause 0x5
	scratch_load_b128 v[29:32], off, off offset:192
	scratch_load_b128 v[4:7], off, off offset:208
	;; [unrolled: 1-line block ×5, first 2 shown]
	scratch_load_b64 v[12:13], off, off offset:288
	s_waitcnt vmcnt(14)
	s_clause 0x1
	global_store_b64 v[21:22], v[91:92], off
	global_store_b64 v[27:28], v[93:94], off
	s_waitcnt vmcnt(13)
	s_clause 0x1
	global_store_b64 v[33:34], v[95:96], off
	global_store_b64 v[35:36], v[97:98], off
	;; [unrolled: 4-line block ×12, first 2 shown]
	global_store_b64 v[77:78], v[119:120], off
	global_store_b64 v[79:80], v[121:122], off
	s_waitcnt vmcnt(1)
	s_clause 0x1
	global_store_b64 v[81:82], v[23:24], off
	global_store_b64 v[83:84], v[25:26], off
	s_waitcnt vmcnt(0)
	global_store_b64 v[85:86], v[12:13], off
.LBB100_716:
	s_endpgm
	.section	.rodata,"a",@progbits
	.p2align	6, 0x0
	.amdhsa_kernel _ZN9rocsolver6v33100L18trti2_kernel_smallILi37EdPKPdEEv13rocblas_fill_17rocblas_diagonal_T1_iil
		.amdhsa_group_segment_fixed_size 600
		.amdhsa_private_segment_fixed_size 304
		.amdhsa_kernarg_size 32
		.amdhsa_user_sgpr_count 15
		.amdhsa_user_sgpr_dispatch_ptr 0
		.amdhsa_user_sgpr_queue_ptr 0
		.amdhsa_user_sgpr_kernarg_segment_ptr 1
		.amdhsa_user_sgpr_dispatch_id 0
		.amdhsa_user_sgpr_private_segment_size 0
		.amdhsa_wavefront_size32 1
		.amdhsa_uses_dynamic_stack 0
		.amdhsa_enable_private_segment 1
		.amdhsa_system_sgpr_workgroup_id_x 1
		.amdhsa_system_sgpr_workgroup_id_y 0
		.amdhsa_system_sgpr_workgroup_id_z 0
		.amdhsa_system_sgpr_workgroup_info 0
		.amdhsa_system_vgpr_workitem_id 0
		.amdhsa_next_free_vgpr 123
		.amdhsa_next_free_sgpr 16
		.amdhsa_reserve_vcc 1
		.amdhsa_float_round_mode_32 0
		.amdhsa_float_round_mode_16_64 0
		.amdhsa_float_denorm_mode_32 3
		.amdhsa_float_denorm_mode_16_64 3
		.amdhsa_dx10_clamp 1
		.amdhsa_ieee_mode 1
		.amdhsa_fp16_overflow 0
		.amdhsa_workgroup_processor_mode 1
		.amdhsa_memory_ordered 1
		.amdhsa_forward_progress 0
		.amdhsa_shared_vgpr_count 0
		.amdhsa_exception_fp_ieee_invalid_op 0
		.amdhsa_exception_fp_denorm_src 0
		.amdhsa_exception_fp_ieee_div_zero 0
		.amdhsa_exception_fp_ieee_overflow 0
		.amdhsa_exception_fp_ieee_underflow 0
		.amdhsa_exception_fp_ieee_inexact 0
		.amdhsa_exception_int_div_zero 0
	.end_amdhsa_kernel
	.section	.text._ZN9rocsolver6v33100L18trti2_kernel_smallILi37EdPKPdEEv13rocblas_fill_17rocblas_diagonal_T1_iil,"axG",@progbits,_ZN9rocsolver6v33100L18trti2_kernel_smallILi37EdPKPdEEv13rocblas_fill_17rocblas_diagonal_T1_iil,comdat
.Lfunc_end100:
	.size	_ZN9rocsolver6v33100L18trti2_kernel_smallILi37EdPKPdEEv13rocblas_fill_17rocblas_diagonal_T1_iil, .Lfunc_end100-_ZN9rocsolver6v33100L18trti2_kernel_smallILi37EdPKPdEEv13rocblas_fill_17rocblas_diagonal_T1_iil
                                        ; -- End function
	.section	.AMDGPU.csdata,"",@progbits
; Kernel info:
; codeLenInByte = 20072
; NumSgprs: 18
; NumVgprs: 123
; ScratchSize: 304
; MemoryBound: 0
; FloatMode: 240
; IeeeMode: 1
; LDSByteSize: 600 bytes/workgroup (compile time only)
; SGPRBlocks: 2
; VGPRBlocks: 15
; NumSGPRsForWavesPerEU: 18
; NumVGPRsForWavesPerEU: 123
; Occupancy: 10
; WaveLimiterHint : 1
; COMPUTE_PGM_RSRC2:SCRATCH_EN: 1
; COMPUTE_PGM_RSRC2:USER_SGPR: 15
; COMPUTE_PGM_RSRC2:TRAP_HANDLER: 0
; COMPUTE_PGM_RSRC2:TGID_X_EN: 1
; COMPUTE_PGM_RSRC2:TGID_Y_EN: 0
; COMPUTE_PGM_RSRC2:TGID_Z_EN: 0
; COMPUTE_PGM_RSRC2:TIDIG_COMP_CNT: 0
	.section	.text._ZN9rocsolver6v33100L18trti2_kernel_smallILi38EdPKPdEEv13rocblas_fill_17rocblas_diagonal_T1_iil,"axG",@progbits,_ZN9rocsolver6v33100L18trti2_kernel_smallILi38EdPKPdEEv13rocblas_fill_17rocblas_diagonal_T1_iil,comdat
	.globl	_ZN9rocsolver6v33100L18trti2_kernel_smallILi38EdPKPdEEv13rocblas_fill_17rocblas_diagonal_T1_iil ; -- Begin function _ZN9rocsolver6v33100L18trti2_kernel_smallILi38EdPKPdEEv13rocblas_fill_17rocblas_diagonal_T1_iil
	.p2align	8
	.type	_ZN9rocsolver6v33100L18trti2_kernel_smallILi38EdPKPdEEv13rocblas_fill_17rocblas_diagonal_T1_iil,@function
_ZN9rocsolver6v33100L18trti2_kernel_smallILi38EdPKPdEEv13rocblas_fill_17rocblas_diagonal_T1_iil: ; @_ZN9rocsolver6v33100L18trti2_kernel_smallILi38EdPKPdEEv13rocblas_fill_17rocblas_diagonal_T1_iil
; %bb.0:
	s_mov_b32 s2, exec_lo
	v_cmpx_gt_u32_e32 38, v0
	s_cbranch_execz .LBB101_736
; %bb.1:
	s_clause 0x1
	s_load_b64 s[4:5], s[0:1], 0x10
	s_load_b128 s[0:3], s[0:1], 0x0
	s_mov_b32 s6, s15
	s_ashr_i32 s7, s15, 31
	v_lshlrev_b32_e32 v79, 3, v0
	s_lshl_b64 s[6:7], s[6:7], 3
	s_waitcnt lgkmcnt(0)
	s_ashr_i32 s9, s4, 31
	s_add_u32 s2, s2, s6
	s_addc_u32 s3, s3, s7
	s_mov_b32 s8, s4
	s_load_b64 s[2:3], s[2:3], 0x0
	s_lshl_b64 s[6:7], s[8:9], 3
	v_add3_u32 v5, s5, s5, v0
	s_mov_b32 s8, s5
	s_delay_alu instid0(VALU_DEP_1) | instskip(SKIP_1) | instid1(VALU_DEP_2)
	v_add_nc_u32_e32 v17, s5, v5
	v_ashrrev_i32_e32 v6, 31, v5
	v_ashrrev_i32_e32 v18, 31, v17
	s_delay_alu instid0(VALU_DEP_2) | instskip(NEXT) | instid1(VALU_DEP_2)
	v_lshlrev_b64 v[5:6], 3, v[5:6]
	v_lshlrev_b64 v[7:8], 3, v[17:18]
	v_add_nc_u32_e32 v17, s5, v17
	s_waitcnt lgkmcnt(0)
	s_add_u32 s2, s2, s6
	s_addc_u32 s3, s3, s7
	v_add_co_u32 v9, s4, s2, v79
	s_ashr_i32 s9, s5, 31
	v_add_co_ci_u32_e64 v10, null, s3, 0, s4
	s_lshl_b64 s[6:7], s[8:9], 3
	v_add_nc_u32_e32 v19, s5, v17
	v_add_co_u32 v11, vcc_lo, v9, s6
	s_delay_alu instid0(VALU_DEP_3)
	v_add_co_ci_u32_e32 v12, vcc_lo, s7, v10, vcc_lo
	s_clause 0x1
	global_load_b64 v[1:2], v79, s[2:3]
	global_load_b64 v[3:4], v[11:12], off
	v_add_co_u32 v13, vcc_lo, s2, v5
	v_add_co_ci_u32_e32 v14, vcc_lo, s3, v6, vcc_lo
	v_add_co_u32 v15, vcc_lo, s2, v7
	v_add_co_ci_u32_e32 v16, vcc_lo, s3, v8, vcc_lo
	s_clause 0x1
	global_load_b64 v[5:6], v[13:14], off
	global_load_b64 v[7:8], v[15:16], off
	v_add_nc_u32_e32 v21, s5, v19
	v_ashrrev_i32_e32 v18, 31, v17
	v_ashrrev_i32_e32 v20, 31, v19
	s_cmpk_lg_i32 s1, 0x84
	s_delay_alu instid0(VALU_DEP_3) | instskip(NEXT) | instid1(VALU_DEP_3)
	v_add_nc_u32_e32 v23, s5, v21
	v_lshlrev_b64 v[17:18], 3, v[17:18]
	s_delay_alu instid0(VALU_DEP_3) | instskip(SKIP_1) | instid1(VALU_DEP_4)
	v_lshlrev_b64 v[19:20], 3, v[19:20]
	v_ashrrev_i32_e32 v22, 31, v21
	v_add_nc_u32_e32 v29, s5, v23
	v_ashrrev_i32_e32 v24, 31, v23
	v_add_co_u32 v25, vcc_lo, s2, v17
	v_add_co_ci_u32_e32 v26, vcc_lo, s3, v18, vcc_lo
	s_delay_alu instid0(VALU_DEP_4) | instskip(SKIP_3) | instid1(VALU_DEP_4)
	v_add_nc_u32_e32 v31, s5, v29
	v_lshlrev_b64 v[17:18], 3, v[21:22]
	v_add_co_u32 v27, vcc_lo, s2, v19
	v_add_co_ci_u32_e32 v28, vcc_lo, s3, v20, vcc_lo
	v_add_nc_u32_e32 v33, s5, v31
	v_lshlrev_b64 v[19:20], 3, v[23:24]
	v_ashrrev_i32_e32 v30, 31, v29
	v_add_co_u32 v21, vcc_lo, s2, v17
	s_delay_alu instid0(VALU_DEP_4) | instskip(SKIP_3) | instid1(VALU_DEP_4)
	v_add_nc_u32_e32 v35, s5, v33
	v_ashrrev_i32_e32 v32, 31, v31
	v_add_co_ci_u32_e32 v22, vcc_lo, s3, v18, vcc_lo
	v_lshlrev_b64 v[17:18], 3, v[29:30]
	v_add_nc_u32_e32 v37, s5, v35
	v_add_co_u32 v29, vcc_lo, s2, v19
	v_ashrrev_i32_e32 v34, 31, v33
	v_add_co_ci_u32_e32 v30, vcc_lo, s3, v20, vcc_lo
	s_delay_alu instid0(VALU_DEP_4)
	v_add_nc_u32_e32 v39, s5, v37
	v_lshlrev_b64 v[19:20], 3, v[31:32]
	v_ashrrev_i32_e32 v36, 31, v35
	s_clause 0x1
	global_load_b64 v[49:50], v[27:28], off
	global_load_b64 v[47:48], v[25:26], off
	v_add_nc_u32_e32 v41, s5, v39
	v_add_co_u32 v17, vcc_lo, s2, v17
	v_lshlrev_b64 v[23:24], 3, v[33:34]
	v_ashrrev_i32_e32 v38, 31, v37
	s_delay_alu instid0(VALU_DEP_4) | instskip(SKIP_2) | instid1(VALU_DEP_3)
	v_add_nc_u32_e32 v43, s5, v41
	v_add_co_ci_u32_e32 v18, vcc_lo, s3, v18, vcc_lo
	v_add_co_u32 v19, vcc_lo, s2, v19
	v_add_nc_u32_e32 v45, s5, v43
	v_lshlrev_b64 v[31:32], 3, v[35:36]
	v_ashrrev_i32_e32 v40, 31, v39
	v_add_co_ci_u32_e32 v20, vcc_lo, s3, v20, vcc_lo
	s_delay_alu instid0(VALU_DEP_4) | instskip(SKIP_3) | instid1(VALU_DEP_4)
	v_add_nc_u32_e32 v51, s5, v45
	v_add_co_u32 v23, vcc_lo, s2, v23
	v_lshlrev_b64 v[33:34], 3, v[37:38]
	v_ashrrev_i32_e32 v42, 31, v41
	v_add_nc_u32_e32 v77, s5, v51
	v_add_co_ci_u32_e32 v24, vcc_lo, s3, v24, vcc_lo
	v_ashrrev_i32_e32 v44, 31, v43
	v_add_co_u32 v31, vcc_lo, s2, v31
	s_delay_alu instid0(VALU_DEP_4)
	v_add_nc_u32_e32 v80, s5, v77
	v_lshlrev_b64 v[35:36], 3, v[39:40]
	v_add_co_ci_u32_e32 v32, vcc_lo, s3, v32, vcc_lo
	s_clause 0x2
	global_load_b64 v[53:54], v[21:22], off
	global_load_b64 v[55:56], v[29:30], off
	;; [unrolled: 1-line block ×3, first 2 shown]
	v_add_nc_u32_e32 v88, s5, v80
	v_add_co_u32 v33, vcc_lo, s2, v33
	v_lshlrev_b64 v[37:38], 3, v[41:42]
	global_load_b64 v[59:60], v[19:20], off
	v_add_nc_u32_e32 v90, s5, v88
	v_lshlrev_b64 v[41:42], 3, v[43:44]
	v_add_co_ci_u32_e32 v34, vcc_lo, s3, v34, vcc_lo
	v_add_co_u32 v35, vcc_lo, s2, v35
	s_delay_alu instid0(VALU_DEP_4) | instskip(SKIP_3) | instid1(VALU_DEP_4)
	v_add_nc_u32_e32 v92, s5, v90
	v_ashrrev_i32_e32 v46, 31, v45
	v_add_co_ci_u32_e32 v36, vcc_lo, s3, v36, vcc_lo
	v_add_co_u32 v39, vcc_lo, s2, v37
	v_add_nc_u32_e32 v94, s5, v92
	v_ashrrev_i32_e32 v52, 31, v51
	v_add_co_ci_u32_e32 v40, vcc_lo, s3, v38, vcc_lo
	v_lshlrev_b64 v[37:38], 3, v[45:46]
	s_delay_alu instid0(VALU_DEP_4)
	v_add_nc_u32_e32 v96, s5, v94
	v_add_co_u32 v41, vcc_lo, s2, v41
	v_lshlrev_b64 v[45:46], 3, v[51:52]
	s_clause 0x2
	global_load_b64 v[61:62], v[23:24], off
	global_load_b64 v[63:64], v[31:32], off
	;; [unrolled: 1-line block ×3, first 2 shown]
	v_add_nc_u32_e32 v98, s5, v96
	global_load_b64 v[67:68], v[35:36], off
	v_add_co_ci_u32_e32 v42, vcc_lo, s3, v42, vcc_lo
	v_ashrrev_i32_e32 v78, 31, v77
	v_add_nc_u32_e32 v100, s5, v98
	v_ashrrev_i32_e32 v81, 31, v80
	v_ashrrev_i32_e32 v89, 31, v88
	;; [unrolled: 1-line block ×4, first 2 shown]
	v_add_nc_u32_e32 v102, s5, v100
	v_ashrrev_i32_e32 v95, 31, v94
	v_ashrrev_i32_e32 v97, 31, v96
	;; [unrolled: 1-line block ×4, first 2 shown]
	v_add_nc_u32_e32 v104, s5, v102
	v_ashrrev_i32_e32 v103, 31, v102
	s_delay_alu instid0(VALU_DEP_2) | instskip(SKIP_1) | instid1(VALU_DEP_2)
	v_add_nc_u32_e32 v106, s5, v104
	v_ashrrev_i32_e32 v105, 31, v104
	v_add_nc_u32_e32 v108, s5, v106
	v_ashrrev_i32_e32 v107, 31, v106
	s_delay_alu instid0(VALU_DEP_2) | instskip(SKIP_1) | instid1(VALU_DEP_2)
	v_add_nc_u32_e32 v110, s5, v108
	v_ashrrev_i32_e32 v109, 31, v108
	;; [unrolled: 5-line block ×5, first 2 shown]
	v_ashrrev_i32_e32 v44, 31, v43
	s_delay_alu instid0(VALU_DEP_1) | instskip(SKIP_2) | instid1(VALU_DEP_3)
	v_lshlrev_b64 v[51:52], 3, v[43:44]
	v_add_co_u32 v43, vcc_lo, s2, v37
	v_add_co_ci_u32_e32 v44, vcc_lo, s3, v38, vcc_lo
	v_add_co_u32 v37, vcc_lo, s2, v51
	s_delay_alu instid0(VALU_DEP_4)
	v_add_co_ci_u32_e32 v38, vcc_lo, s3, v52, vcc_lo
	v_add_co_u32 v45, vcc_lo, s2, v45
	v_add_co_ci_u32_e32 v46, vcc_lo, s3, v46, vcc_lo
	global_load_b64 v[82:83], v[37:38], off
	v_lshlrev_b64 v[51:52], 3, v[92:93]
	s_waitcnt vmcnt(13)
	scratch_store_b128 off, v[1:4], off
	v_lshlrev_b64 v[1:2], 3, v[77:78]
	s_clause 0x3
	global_load_b64 v[69:70], v[39:40], off
	global_load_b64 v[71:72], v[41:42], off
	;; [unrolled: 1-line block ×4, first 2 shown]
	v_lshlrev_b64 v[3:4], 3, v[80:81]
	v_lshlrev_b64 v[77:78], 3, v[98:99]
	;; [unrolled: 1-line block ×3, first 2 shown]
	v_add_co_u32 v1, vcc_lo, s2, v1
	v_add_co_ci_u32_e32 v2, vcc_lo, s3, v2, vcc_lo
	v_add_co_u32 v3, vcc_lo, s2, v3
	v_add_co_ci_u32_e32 v4, vcc_lo, s3, v4, vcc_lo
	s_waitcnt vmcnt(15)
	scratch_store_b128 off, v[5:8], off offset:16
	s_clause 0x1
	global_load_b64 v[84:85], v[1:2], off
	global_load_b64 v[86:87], v[3:4], off
	v_lshlrev_b64 v[5:6], 3, v[88:89]
	v_lshlrev_b64 v[7:8], 3, v[90:91]
	s_delay_alu instid0(VALU_DEP_2) | instskip(NEXT) | instid1(VALU_DEP_3)
	v_add_co_u32 v5, vcc_lo, s2, v5
	v_add_co_ci_u32_e32 v6, vcc_lo, s3, v6, vcc_lo
	s_delay_alu instid0(VALU_DEP_3) | instskip(NEXT) | instid1(VALU_DEP_4)
	v_add_co_u32 v7, vcc_lo, s2, v7
	v_add_co_ci_u32_e32 v8, vcc_lo, s3, v8, vcc_lo
	global_load_b64 v[88:89], v[5:6], off
	s_waitcnt vmcnt(16)
	scratch_store_b128 off, v[47:50], off offset:32
	v_lshlrev_b64 v[49:50], 3, v[94:95]
	v_add_co_u32 v47, vcc_lo, s2, v51
	v_add_co_ci_u32_e32 v48, vcc_lo, s3, v52, vcc_lo
	v_lshlrev_b64 v[51:52], 3, v[96:97]
	s_delay_alu instid0(VALU_DEP_4)
	v_add_co_u32 v49, vcc_lo, s2, v49
	v_add_co_ci_u32_e32 v50, vcc_lo, s3, v50, vcc_lo
	s_waitcnt vmcnt(14)
	scratch_store_b128 off, v[53:56], off offset:48
	s_waitcnt vmcnt(12)
	scratch_store_b128 off, v[57:60], off offset:64
	v_add_co_u32 v51, vcc_lo, s2, v51
	v_add_co_ci_u32_e32 v52, vcc_lo, s3, v52, vcc_lo
	v_add_co_u32 v53, vcc_lo, s2, v77
	v_lshlrev_b64 v[57:58], 3, v[102:103]
	v_add_co_ci_u32_e32 v54, vcc_lo, s3, v78, vcc_lo
	v_add_co_u32 v55, vcc_lo, s2, v80
	v_lshlrev_b64 v[59:60], 3, v[104:105]
	;; [unrolled: 3-line block ×4, first 2 shown]
	v_add_co_ci_u32_e32 v60, vcc_lo, s3, v60, vcc_lo
	s_clause 0x3
	global_load_b64 v[90:91], v[7:8], off
	global_load_b64 v[92:93], v[47:48], off
	;; [unrolled: 1-line block ×4, first 2 shown]
	s_waitcnt vmcnt(14)
	scratch_store_b128 off, v[61:64], off offset:80
	s_waitcnt vmcnt(12)
	scratch_store_b128 off, v[65:68], off offset:96
	v_add_co_u32 v61, vcc_lo, s2, v77
	v_lshlrev_b64 v[65:66], 3, v[110:111]
	v_add_co_ci_u32_e32 v62, vcc_lo, s3, v78, vcc_lo
	v_add_co_u32 v63, vcc_lo, s2, v80
	v_lshlrev_b64 v[67:68], 3, v[112:113]
	v_add_co_ci_u32_e32 v64, vcc_lo, s3, v81, vcc_lo
	;; [unrolled: 3-line block ×4, first 2 shown]
	s_clause 0x3
	global_load_b64 v[98:99], v[53:54], off
	global_load_b64 v[100:101], v[55:56], off
	;; [unrolled: 1-line block ×4, first 2 shown]
	s_waitcnt vmcnt(13)
	scratch_store_b128 off, v[69:72], off offset:112
	s_waitcnt vmcnt(11)
	scratch_store_b128 off, v[73:76], off offset:128
	v_add_co_u32 v71, vcc_lo, s2, v77
	v_lshlrev_b64 v[69:70], 3, v[118:119]
	v_add_co_ci_u32_e32 v72, vcc_lo, s3, v78, vcc_lo
	v_add_co_u32 v73, vcc_lo, s2, v80
	v_lshlrev_b64 v[77:78], 3, v[120:121]
	v_add_co_ci_u32_e32 v74, vcc_lo, s3, v81, vcc_lo
	v_add_co_u32 v75, vcc_lo, s2, v69
	v_add_co_ci_u32_e32 v76, vcc_lo, s3, v70, vcc_lo
	s_delay_alu instid0(VALU_DEP_4)
	v_add_co_u32 v69, vcc_lo, s2, v77
	v_add_co_ci_u32_e32 v70, vcc_lo, s3, v78, vcc_lo
	s_clause 0x3
	global_load_b64 v[106:107], v[61:62], off
	global_load_b64 v[108:109], v[63:64], off
	;; [unrolled: 1-line block ×4, first 2 shown]
	s_waitcnt vmcnt(13)
	scratch_store_b128 off, v[84:87], off offset:144
	s_clause 0x3
	global_load_b64 v[114:115], v[71:72], off
	global_load_b64 v[84:85], v[73:74], off
	;; [unrolled: 1-line block ×4, first 2 shown]
	v_mov_b32_e32 v77, 0
	v_mov_b32_e32 v78, 0xbff00000
	s_cselect_b32 s2, -1, 0
	s_cmpk_eq_i32 s1, 0x84
	s_waitcnt vmcnt(15)
	scratch_store_b128 off, v[88:91], off offset:160
	s_waitcnt vmcnt(13)
	scratch_store_b128 off, v[92:95], off offset:176
	;; [unrolled: 2-line block ×9, first 2 shown]
	s_cbranch_scc1 .LBB101_3
; %bb.2:
	scratch_load_b64 v[77:78], v79, off
	s_waitcnt vmcnt(0)
	v_div_scale_f64 v[80:81], null, v[77:78], v[77:78], 1.0
	v_div_scale_f64 v[86:87], vcc_lo, 1.0, v[77:78], 1.0
	s_delay_alu instid0(VALU_DEP_2) | instskip(SKIP_2) | instid1(VALU_DEP_1)
	v_rcp_f64_e32 v[82:83], v[80:81]
	s_waitcnt_depctr 0xfff
	v_fma_f64 v[84:85], -v[80:81], v[82:83], 1.0
	v_fma_f64 v[82:83], v[82:83], v[84:85], v[82:83]
	s_delay_alu instid0(VALU_DEP_1) | instskip(NEXT) | instid1(VALU_DEP_1)
	v_fma_f64 v[84:85], -v[80:81], v[82:83], 1.0
	v_fma_f64 v[82:83], v[82:83], v[84:85], v[82:83]
	s_delay_alu instid0(VALU_DEP_1) | instskip(NEXT) | instid1(VALU_DEP_1)
	v_mul_f64 v[84:85], v[86:87], v[82:83]
	v_fma_f64 v[80:81], -v[80:81], v[84:85], v[86:87]
	s_delay_alu instid0(VALU_DEP_1) | instskip(NEXT) | instid1(VALU_DEP_1)
	v_div_fmas_f64 v[80:81], v[80:81], v[82:83], v[84:85]
	v_div_fixup_f64 v[77:78], v[80:81], v[77:78], 1.0
	scratch_store_b64 v79, v[77:78], off
	v_xor_b32_e32 v78, 0x80000000, v78
.LBB101_3:
	v_add_nc_u32_e32 v80, 0x130, v79
	v_add_nc_u32_e32 v81, 0, v79
	s_cmpk_eq_i32 s0, 0x79
	s_mov_b32 s0, -1
	ds_store_b64 v79, v[77:78]
	s_cbranch_scc1 .LBB101_369
; %bb.4:
	scratch_load_b64 v[77:78], off, off offset:288
	v_cmp_eq_u32_e64 s0, 37, v0
	s_movk_i32 s1, 0x50
	s_movk_i32 s3, 0x60
	;; [unrolled: 1-line block ×13, first 2 shown]
	s_waitcnt vmcnt(0)
	ds_store_b64 v80, v[77:78]
	s_waitcnt lgkmcnt(0)
	s_waitcnt_vscnt null, 0x0
	s_barrier
	buffer_gl0_inv
	s_and_saveexec_b32 s15, s0
	s_cbranch_execz .LBB101_10
; %bb.5:
	s_and_b32 vcc_lo, exec_lo, s2
	s_cbranch_vccz .LBB101_7
; %bb.6:
	scratch_load_b64 v[77:78], v81, off
	ds_load_b64 v[82:83], v80
	s_waitcnt vmcnt(0) lgkmcnt(0)
	v_mul_f64 v[77:78], v[77:78], v[82:83]
	s_cbranch_execz .LBB101_8
	s_branch .LBB101_9
.LBB101_7:
                                        ; implicit-def: $vgpr77_vgpr78
.LBB101_8:
	ds_load_b64 v[77:78], v80
.LBB101_9:
	v_mov_b32_e32 v82, 0
	ds_load_b64 v[82:83], v82 offset:288
	s_waitcnt lgkmcnt(0)
	v_mul_f64 v[77:78], v[77:78], v[82:83]
	scratch_store_b64 off, v[77:78], off offset:288
.LBB101_10:
	s_or_b32 exec_lo, exec_lo, s15
	scratch_load_b64 v[77:78], off, off offset:280
	v_add_nc_u32_e64 v82, 0, 16
	v_add_nc_u32_e64 v83, 0, 32
	;; [unrolled: 1-line block ×17, first 2 shown]
	v_cmp_lt_u32_e64 s1, 35, v0
	s_waitcnt vmcnt(0)
	ds_store_b64 v80, v[77:78]
	s_waitcnt lgkmcnt(0)
	s_waitcnt_vscnt null, 0x0
	s_barrier
	buffer_gl0_inv
	s_and_saveexec_b32 s3, s1
	s_cbranch_execz .LBB101_18
; %bb.11:
	s_and_not1_b32 vcc_lo, exec_lo, s2
	s_cbranch_vccnz .LBB101_13
; %bb.12:
	scratch_load_b64 v[77:78], v81, off
	ds_load_b64 v[99:100], v80
	s_waitcnt vmcnt(0) lgkmcnt(0)
	v_mul_f64 v[77:78], v[77:78], v[99:100]
	s_cbranch_execz .LBB101_14
	s_branch .LBB101_15
.LBB101_13:
                                        ; implicit-def: $vgpr77_vgpr78
.LBB101_14:
	ds_load_b64 v[77:78], v80
.LBB101_15:
	s_and_saveexec_b32 s4, s0
	s_cbranch_execz .LBB101_17
; %bb.16:
	scratch_load_b64 v[99:100], off, off offset:288
	v_mov_b32_e32 v101, 0
	ds_load_b64 v[101:102], v101 offset:592
	s_waitcnt vmcnt(0) lgkmcnt(0)
	v_fma_f64 v[77:78], v[99:100], v[101:102], v[77:78]
.LBB101_17:
	s_or_b32 exec_lo, exec_lo, s4
	v_mov_b32_e32 v99, 0
	ds_load_b64 v[99:100], v99 offset:280
	s_waitcnt lgkmcnt(0)
	v_mul_f64 v[77:78], v[77:78], v[99:100]
	scratch_store_b64 off, v[77:78], off offset:280
.LBB101_18:
	s_or_b32 exec_lo, exec_lo, s3
	scratch_load_b64 v[77:78], off, off offset:272
	v_cmp_lt_u32_e64 s0, 34, v0
	s_waitcnt vmcnt(0)
	ds_store_b64 v80, v[77:78]
	s_waitcnt lgkmcnt(0)
	s_waitcnt_vscnt null, 0x0
	s_barrier
	buffer_gl0_inv
	s_and_saveexec_b32 s3, s0
	s_cbranch_execz .LBB101_28
; %bb.19:
	s_and_not1_b32 vcc_lo, exec_lo, s2
	s_cbranch_vccnz .LBB101_21
; %bb.20:
	scratch_load_b64 v[77:78], v81, off
	ds_load_b64 v[99:100], v80
	s_waitcnt vmcnt(0) lgkmcnt(0)
	v_mul_f64 v[77:78], v[77:78], v[99:100]
	s_cbranch_execz .LBB101_22
	s_branch .LBB101_23
.LBB101_21:
                                        ; implicit-def: $vgpr77_vgpr78
.LBB101_22:
	ds_load_b64 v[77:78], v80
.LBB101_23:
	s_and_saveexec_b32 s4, s1
	s_cbranch_execz .LBB101_27
; %bb.24:
	v_mov_b32_e32 v99, 0
	v_subrev_nc_u32_e32 v100, 35, v0
	s_movk_i32 s5, 0x248
	s_mov_b32 s1, 0
	s_delay_alu instid0(VALU_DEP_2)
	v_add_nc_u32_e32 v99, 0x118, v99
.LBB101_25:                             ; =>This Inner Loop Header: Depth=1
	scratch_load_b64 v[101:102], v99, off
	v_dual_mov_b32 v103, s5 :: v_dual_add_nc_u32 v100, -1, v100
	v_add_nc_u32_e32 v99, 8, v99
	s_add_i32 s5, s5, 8
	ds_load_b64 v[103:104], v103
	v_cmp_eq_u32_e32 vcc_lo, 0, v100
	s_or_b32 s1, vcc_lo, s1
	s_waitcnt vmcnt(0) lgkmcnt(0)
	v_fma_f64 v[77:78], v[101:102], v[103:104], v[77:78]
	s_and_not1_b32 exec_lo, exec_lo, s1
	s_cbranch_execnz .LBB101_25
; %bb.26:
	s_or_b32 exec_lo, exec_lo, s1
.LBB101_27:
	s_delay_alu instid0(SALU_CYCLE_1)
	s_or_b32 exec_lo, exec_lo, s4
	v_mov_b32_e32 v99, 0
	ds_load_b64 v[99:100], v99 offset:272
	s_waitcnt lgkmcnt(0)
	v_mul_f64 v[77:78], v[77:78], v[99:100]
	scratch_store_b64 off, v[77:78], off offset:272
.LBB101_28:
	s_or_b32 exec_lo, exec_lo, s3
	scratch_load_b64 v[77:78], off, off offset:264
	v_cmp_lt_u32_e64 s1, 33, v0
	s_waitcnt vmcnt(0)
	ds_store_b64 v80, v[77:78]
	s_waitcnt lgkmcnt(0)
	s_waitcnt_vscnt null, 0x0
	s_barrier
	buffer_gl0_inv
	s_and_saveexec_b32 s3, s1
	s_cbranch_execz .LBB101_38
; %bb.29:
	s_and_not1_b32 vcc_lo, exec_lo, s2
	s_cbranch_vccnz .LBB101_31
; %bb.30:
	scratch_load_b64 v[77:78], v81, off
	ds_load_b64 v[99:100], v80
	s_waitcnt vmcnt(0) lgkmcnt(0)
	v_mul_f64 v[77:78], v[77:78], v[99:100]
	s_cbranch_execz .LBB101_32
	s_branch .LBB101_33
.LBB101_31:
                                        ; implicit-def: $vgpr77_vgpr78
.LBB101_32:
	ds_load_b64 v[77:78], v80
.LBB101_33:
	s_and_saveexec_b32 s4, s0
	s_cbranch_execz .LBB101_37
; %bb.34:
	v_subrev_nc_u32_e32 v99, 34, v0
	s_movk_i32 s5, 0x240
	s_mov_b32 s0, 0
.LBB101_35:                             ; =>This Inner Loop Header: Depth=1
	scratch_load_b64 v[100:101], v98, off
	v_dual_mov_b32 v102, s5 :: v_dual_add_nc_u32 v99, -1, v99
	v_add_nc_u32_e32 v98, 8, v98
	s_add_i32 s5, s5, 8
	ds_load_b64 v[102:103], v102
	v_cmp_eq_u32_e32 vcc_lo, 0, v99
	s_or_b32 s0, vcc_lo, s0
	s_waitcnt vmcnt(0) lgkmcnt(0)
	v_fma_f64 v[77:78], v[100:101], v[102:103], v[77:78]
	s_and_not1_b32 exec_lo, exec_lo, s0
	s_cbranch_execnz .LBB101_35
; %bb.36:
	s_or_b32 exec_lo, exec_lo, s0
.LBB101_37:
	s_delay_alu instid0(SALU_CYCLE_1)
	s_or_b32 exec_lo, exec_lo, s4
	v_mov_b32_e32 v98, 0
	ds_load_b64 v[98:99], v98 offset:264
	s_waitcnt lgkmcnt(0)
	v_mul_f64 v[77:78], v[77:78], v[98:99]
	scratch_store_b64 off, v[77:78], off offset:264
.LBB101_38:
	s_or_b32 exec_lo, exec_lo, s3
	scratch_load_b64 v[77:78], off, off offset:256
	v_cmp_lt_u32_e64 s0, 32, v0
	s_waitcnt vmcnt(0)
	ds_store_b64 v80, v[77:78]
	s_waitcnt lgkmcnt(0)
	s_waitcnt_vscnt null, 0x0
	s_barrier
	buffer_gl0_inv
	s_and_saveexec_b32 s3, s0
	s_cbranch_execz .LBB101_48
; %bb.39:
	s_and_not1_b32 vcc_lo, exec_lo, s2
	s_cbranch_vccnz .LBB101_41
; %bb.40:
	scratch_load_b64 v[77:78], v81, off
	ds_load_b64 v[98:99], v80
	s_waitcnt vmcnt(0) lgkmcnt(0)
	v_mul_f64 v[77:78], v[77:78], v[98:99]
	s_cbranch_execz .LBB101_42
	s_branch .LBB101_43
.LBB101_41:
                                        ; implicit-def: $vgpr77_vgpr78
.LBB101_42:
	ds_load_b64 v[77:78], v80
.LBB101_43:
	s_and_saveexec_b32 s4, s1
	s_cbranch_execz .LBB101_47
; %bb.44:
	v_mov_b32_e32 v98, 0
	v_subrev_nc_u32_e32 v99, 33, v0
	s_movk_i32 s5, 0x238
	s_mov_b32 s1, 0
	s_delay_alu instid0(VALU_DEP_2)
	v_add_nc_u32_e32 v98, 0x108, v98
.LBB101_45:                             ; =>This Inner Loop Header: Depth=1
	scratch_load_b64 v[100:101], v98, off
	v_dual_mov_b32 v102, s5 :: v_dual_add_nc_u32 v99, -1, v99
	v_add_nc_u32_e32 v98, 8, v98
	s_add_i32 s5, s5, 8
	ds_load_b64 v[102:103], v102
	v_cmp_eq_u32_e32 vcc_lo, 0, v99
	s_or_b32 s1, vcc_lo, s1
	s_waitcnt vmcnt(0) lgkmcnt(0)
	v_fma_f64 v[77:78], v[100:101], v[102:103], v[77:78]
	s_and_not1_b32 exec_lo, exec_lo, s1
	s_cbranch_execnz .LBB101_45
; %bb.46:
	s_or_b32 exec_lo, exec_lo, s1
.LBB101_47:
	s_delay_alu instid0(SALU_CYCLE_1)
	s_or_b32 exec_lo, exec_lo, s4
	v_mov_b32_e32 v98, 0
	ds_load_b64 v[98:99], v98 offset:256
	s_waitcnt lgkmcnt(0)
	v_mul_f64 v[77:78], v[77:78], v[98:99]
	scratch_store_b64 off, v[77:78], off offset:256
.LBB101_48:
	s_or_b32 exec_lo, exec_lo, s3
	scratch_load_b64 v[77:78], off, off offset:248
	v_cmp_lt_u32_e64 s1, 31, v0
	s_waitcnt vmcnt(0)
	ds_store_b64 v80, v[77:78]
	s_waitcnt lgkmcnt(0)
	s_waitcnt_vscnt null, 0x0
	s_barrier
	buffer_gl0_inv
	s_and_saveexec_b32 s3, s1
	s_cbranch_execz .LBB101_58
; %bb.49:
	s_and_not1_b32 vcc_lo, exec_lo, s2
	s_cbranch_vccnz .LBB101_51
; %bb.50:
	scratch_load_b64 v[77:78], v81, off
	ds_load_b64 v[98:99], v80
	s_waitcnt vmcnt(0) lgkmcnt(0)
	v_mul_f64 v[77:78], v[77:78], v[98:99]
	s_cbranch_execz .LBB101_52
	s_branch .LBB101_53
.LBB101_51:
                                        ; implicit-def: $vgpr77_vgpr78
.LBB101_52:
	ds_load_b64 v[77:78], v80
.LBB101_53:
	s_and_saveexec_b32 s4, s0
	s_cbranch_execz .LBB101_57
; %bb.54:
	v_subrev_nc_u32_e32 v98, 32, v0
	s_movk_i32 s5, 0x230
	s_mov_b32 s0, 0
.LBB101_55:                             ; =>This Inner Loop Header: Depth=1
	scratch_load_b64 v[99:100], v97, off
	v_dual_mov_b32 v101, s5 :: v_dual_add_nc_u32 v98, -1, v98
	v_add_nc_u32_e32 v97, 8, v97
	s_add_i32 s5, s5, 8
	ds_load_b64 v[101:102], v101
	v_cmp_eq_u32_e32 vcc_lo, 0, v98
	s_or_b32 s0, vcc_lo, s0
	s_waitcnt vmcnt(0) lgkmcnt(0)
	v_fma_f64 v[77:78], v[99:100], v[101:102], v[77:78]
	s_and_not1_b32 exec_lo, exec_lo, s0
	s_cbranch_execnz .LBB101_55
; %bb.56:
	s_or_b32 exec_lo, exec_lo, s0
.LBB101_57:
	s_delay_alu instid0(SALU_CYCLE_1)
	s_or_b32 exec_lo, exec_lo, s4
	v_mov_b32_e32 v97, 0
	ds_load_b64 v[97:98], v97 offset:248
	s_waitcnt lgkmcnt(0)
	v_mul_f64 v[77:78], v[77:78], v[97:98]
	scratch_store_b64 off, v[77:78], off offset:248
.LBB101_58:
	s_or_b32 exec_lo, exec_lo, s3
	scratch_load_b64 v[77:78], off, off offset:240
	v_cmp_lt_u32_e64 s0, 30, v0
	s_waitcnt vmcnt(0)
	ds_store_b64 v80, v[77:78]
	s_waitcnt lgkmcnt(0)
	s_waitcnt_vscnt null, 0x0
	s_barrier
	buffer_gl0_inv
	s_and_saveexec_b32 s3, s0
	s_cbranch_execz .LBB101_68
; %bb.59:
	s_and_not1_b32 vcc_lo, exec_lo, s2
	s_cbranch_vccnz .LBB101_61
; %bb.60:
	scratch_load_b64 v[77:78], v81, off
	ds_load_b64 v[97:98], v80
	s_waitcnt vmcnt(0) lgkmcnt(0)
	v_mul_f64 v[77:78], v[77:78], v[97:98]
	s_cbranch_execz .LBB101_62
	s_branch .LBB101_63
.LBB101_61:
                                        ; implicit-def: $vgpr77_vgpr78
.LBB101_62:
	ds_load_b64 v[77:78], v80
.LBB101_63:
	s_and_saveexec_b32 s4, s1
	s_cbranch_execz .LBB101_67
; %bb.64:
	v_mov_b32_e32 v97, 0
	v_subrev_nc_u32_e32 v98, 31, v0
	s_movk_i32 s5, 0x228
	s_mov_b32 s1, 0
	s_delay_alu instid0(VALU_DEP_2)
	v_add_nc_u32_e32 v97, 0xf8, v97
.LBB101_65:                             ; =>This Inner Loop Header: Depth=1
	scratch_load_b64 v[99:100], v97, off
	v_dual_mov_b32 v101, s5 :: v_dual_add_nc_u32 v98, -1, v98
	v_add_nc_u32_e32 v97, 8, v97
	s_add_i32 s5, s5, 8
	ds_load_b64 v[101:102], v101
	v_cmp_eq_u32_e32 vcc_lo, 0, v98
	s_or_b32 s1, vcc_lo, s1
	s_waitcnt vmcnt(0) lgkmcnt(0)
	v_fma_f64 v[77:78], v[99:100], v[101:102], v[77:78]
	s_and_not1_b32 exec_lo, exec_lo, s1
	s_cbranch_execnz .LBB101_65
; %bb.66:
	s_or_b32 exec_lo, exec_lo, s1
.LBB101_67:
	s_delay_alu instid0(SALU_CYCLE_1)
	s_or_b32 exec_lo, exec_lo, s4
	v_mov_b32_e32 v97, 0
	ds_load_b64 v[97:98], v97 offset:240
	s_waitcnt lgkmcnt(0)
	v_mul_f64 v[77:78], v[77:78], v[97:98]
	scratch_store_b64 off, v[77:78], off offset:240
.LBB101_68:
	s_or_b32 exec_lo, exec_lo, s3
	scratch_load_b64 v[77:78], off, off offset:232
	v_cmp_lt_u32_e64 s1, 29, v0
	s_waitcnt vmcnt(0)
	ds_store_b64 v80, v[77:78]
	s_waitcnt lgkmcnt(0)
	s_waitcnt_vscnt null, 0x0
	s_barrier
	buffer_gl0_inv
	s_and_saveexec_b32 s3, s1
	s_cbranch_execz .LBB101_78
; %bb.69:
	s_and_not1_b32 vcc_lo, exec_lo, s2
	s_cbranch_vccnz .LBB101_71
; %bb.70:
	scratch_load_b64 v[77:78], v81, off
	ds_load_b64 v[97:98], v80
	s_waitcnt vmcnt(0) lgkmcnt(0)
	v_mul_f64 v[77:78], v[77:78], v[97:98]
	s_cbranch_execz .LBB101_72
	s_branch .LBB101_73
.LBB101_71:
                                        ; implicit-def: $vgpr77_vgpr78
.LBB101_72:
	ds_load_b64 v[77:78], v80
.LBB101_73:
	s_and_saveexec_b32 s4, s0
	s_cbranch_execz .LBB101_77
; %bb.74:
	v_subrev_nc_u32_e32 v97, 30, v0
	s_movk_i32 s5, 0x220
	s_mov_b32 s0, 0
.LBB101_75:                             ; =>This Inner Loop Header: Depth=1
	scratch_load_b64 v[98:99], v96, off
	v_dual_mov_b32 v100, s5 :: v_dual_add_nc_u32 v97, -1, v97
	v_add_nc_u32_e32 v96, 8, v96
	s_add_i32 s5, s5, 8
	ds_load_b64 v[100:101], v100
	v_cmp_eq_u32_e32 vcc_lo, 0, v97
	s_or_b32 s0, vcc_lo, s0
	s_waitcnt vmcnt(0) lgkmcnt(0)
	v_fma_f64 v[77:78], v[98:99], v[100:101], v[77:78]
	s_and_not1_b32 exec_lo, exec_lo, s0
	s_cbranch_execnz .LBB101_75
; %bb.76:
	s_or_b32 exec_lo, exec_lo, s0
.LBB101_77:
	s_delay_alu instid0(SALU_CYCLE_1)
	s_or_b32 exec_lo, exec_lo, s4
	v_mov_b32_e32 v96, 0
	ds_load_b64 v[96:97], v96 offset:232
	s_waitcnt lgkmcnt(0)
	v_mul_f64 v[77:78], v[77:78], v[96:97]
	scratch_store_b64 off, v[77:78], off offset:232
.LBB101_78:
	s_or_b32 exec_lo, exec_lo, s3
	scratch_load_b64 v[77:78], off, off offset:224
	v_cmp_lt_u32_e64 s0, 28, v0
	s_waitcnt vmcnt(0)
	ds_store_b64 v80, v[77:78]
	s_waitcnt lgkmcnt(0)
	s_waitcnt_vscnt null, 0x0
	s_barrier
	buffer_gl0_inv
	s_and_saveexec_b32 s3, s0
	s_cbranch_execz .LBB101_88
; %bb.79:
	s_and_not1_b32 vcc_lo, exec_lo, s2
	s_cbranch_vccnz .LBB101_81
; %bb.80:
	scratch_load_b64 v[77:78], v81, off
	ds_load_b64 v[96:97], v80
	s_waitcnt vmcnt(0) lgkmcnt(0)
	v_mul_f64 v[77:78], v[77:78], v[96:97]
	s_cbranch_execz .LBB101_82
	s_branch .LBB101_83
.LBB101_81:
                                        ; implicit-def: $vgpr77_vgpr78
.LBB101_82:
	ds_load_b64 v[77:78], v80
.LBB101_83:
	s_and_saveexec_b32 s4, s1
	s_cbranch_execz .LBB101_87
; %bb.84:
	v_mov_b32_e32 v96, 0
	v_subrev_nc_u32_e32 v97, 29, v0
	s_movk_i32 s5, 0x218
	s_mov_b32 s1, 0
	s_delay_alu instid0(VALU_DEP_2)
	v_add_nc_u32_e32 v96, 0xe8, v96
.LBB101_85:                             ; =>This Inner Loop Header: Depth=1
	scratch_load_b64 v[98:99], v96, off
	v_dual_mov_b32 v100, s5 :: v_dual_add_nc_u32 v97, -1, v97
	v_add_nc_u32_e32 v96, 8, v96
	s_add_i32 s5, s5, 8
	ds_load_b64 v[100:101], v100
	v_cmp_eq_u32_e32 vcc_lo, 0, v97
	s_or_b32 s1, vcc_lo, s1
	s_waitcnt vmcnt(0) lgkmcnt(0)
	v_fma_f64 v[77:78], v[98:99], v[100:101], v[77:78]
	s_and_not1_b32 exec_lo, exec_lo, s1
	s_cbranch_execnz .LBB101_85
; %bb.86:
	s_or_b32 exec_lo, exec_lo, s1
.LBB101_87:
	s_delay_alu instid0(SALU_CYCLE_1)
	s_or_b32 exec_lo, exec_lo, s4
	v_mov_b32_e32 v96, 0
	ds_load_b64 v[96:97], v96 offset:224
	s_waitcnt lgkmcnt(0)
	v_mul_f64 v[77:78], v[77:78], v[96:97]
	scratch_store_b64 off, v[77:78], off offset:224
.LBB101_88:
	s_or_b32 exec_lo, exec_lo, s3
	scratch_load_b64 v[77:78], off, off offset:216
	v_cmp_lt_u32_e64 s1, 27, v0
	s_waitcnt vmcnt(0)
	ds_store_b64 v80, v[77:78]
	s_waitcnt lgkmcnt(0)
	s_waitcnt_vscnt null, 0x0
	s_barrier
	buffer_gl0_inv
	s_and_saveexec_b32 s3, s1
	s_cbranch_execz .LBB101_98
; %bb.89:
	s_and_not1_b32 vcc_lo, exec_lo, s2
	s_cbranch_vccnz .LBB101_91
; %bb.90:
	scratch_load_b64 v[77:78], v81, off
	ds_load_b64 v[96:97], v80
	s_waitcnt vmcnt(0) lgkmcnt(0)
	v_mul_f64 v[77:78], v[77:78], v[96:97]
	s_cbranch_execz .LBB101_92
	s_branch .LBB101_93
.LBB101_91:
                                        ; implicit-def: $vgpr77_vgpr78
.LBB101_92:
	ds_load_b64 v[77:78], v80
.LBB101_93:
	s_and_saveexec_b32 s4, s0
	s_cbranch_execz .LBB101_97
; %bb.94:
	v_subrev_nc_u32_e32 v96, 28, v0
	s_movk_i32 s5, 0x210
	s_mov_b32 s0, 0
.LBB101_95:                             ; =>This Inner Loop Header: Depth=1
	scratch_load_b64 v[97:98], v95, off
	v_dual_mov_b32 v99, s5 :: v_dual_add_nc_u32 v96, -1, v96
	v_add_nc_u32_e32 v95, 8, v95
	s_add_i32 s5, s5, 8
	ds_load_b64 v[99:100], v99
	v_cmp_eq_u32_e32 vcc_lo, 0, v96
	s_or_b32 s0, vcc_lo, s0
	s_waitcnt vmcnt(0) lgkmcnt(0)
	v_fma_f64 v[77:78], v[97:98], v[99:100], v[77:78]
	s_and_not1_b32 exec_lo, exec_lo, s0
	s_cbranch_execnz .LBB101_95
; %bb.96:
	s_or_b32 exec_lo, exec_lo, s0
.LBB101_97:
	s_delay_alu instid0(SALU_CYCLE_1)
	s_or_b32 exec_lo, exec_lo, s4
	v_mov_b32_e32 v95, 0
	ds_load_b64 v[95:96], v95 offset:216
	s_waitcnt lgkmcnt(0)
	v_mul_f64 v[77:78], v[77:78], v[95:96]
	scratch_store_b64 off, v[77:78], off offset:216
.LBB101_98:
	s_or_b32 exec_lo, exec_lo, s3
	scratch_load_b64 v[77:78], off, off offset:208
	v_cmp_lt_u32_e64 s0, 26, v0
	s_waitcnt vmcnt(0)
	ds_store_b64 v80, v[77:78]
	s_waitcnt lgkmcnt(0)
	s_waitcnt_vscnt null, 0x0
	s_barrier
	buffer_gl0_inv
	s_and_saveexec_b32 s3, s0
	s_cbranch_execz .LBB101_108
; %bb.99:
	s_and_not1_b32 vcc_lo, exec_lo, s2
	s_cbranch_vccnz .LBB101_101
; %bb.100:
	scratch_load_b64 v[77:78], v81, off
	ds_load_b64 v[95:96], v80
	s_waitcnt vmcnt(0) lgkmcnt(0)
	v_mul_f64 v[77:78], v[77:78], v[95:96]
	s_cbranch_execz .LBB101_102
	s_branch .LBB101_103
.LBB101_101:
                                        ; implicit-def: $vgpr77_vgpr78
.LBB101_102:
	ds_load_b64 v[77:78], v80
.LBB101_103:
	s_and_saveexec_b32 s4, s1
	s_cbranch_execz .LBB101_107
; %bb.104:
	v_mov_b32_e32 v95, 0
	v_subrev_nc_u32_e32 v96, 27, v0
	s_movk_i32 s5, 0x208
	s_mov_b32 s1, 0
	s_delay_alu instid0(VALU_DEP_2)
	v_add_nc_u32_e32 v95, 0xd8, v95
.LBB101_105:                            ; =>This Inner Loop Header: Depth=1
	scratch_load_b64 v[97:98], v95, off
	v_dual_mov_b32 v99, s5 :: v_dual_add_nc_u32 v96, -1, v96
	v_add_nc_u32_e32 v95, 8, v95
	s_add_i32 s5, s5, 8
	ds_load_b64 v[99:100], v99
	v_cmp_eq_u32_e32 vcc_lo, 0, v96
	s_or_b32 s1, vcc_lo, s1
	s_waitcnt vmcnt(0) lgkmcnt(0)
	v_fma_f64 v[77:78], v[97:98], v[99:100], v[77:78]
	s_and_not1_b32 exec_lo, exec_lo, s1
	s_cbranch_execnz .LBB101_105
; %bb.106:
	s_or_b32 exec_lo, exec_lo, s1
.LBB101_107:
	s_delay_alu instid0(SALU_CYCLE_1)
	s_or_b32 exec_lo, exec_lo, s4
	v_mov_b32_e32 v95, 0
	ds_load_b64 v[95:96], v95 offset:208
	s_waitcnt lgkmcnt(0)
	v_mul_f64 v[77:78], v[77:78], v[95:96]
	scratch_store_b64 off, v[77:78], off offset:208
.LBB101_108:
	s_or_b32 exec_lo, exec_lo, s3
	scratch_load_b64 v[77:78], off, off offset:200
	v_cmp_lt_u32_e64 s1, 25, v0
	s_waitcnt vmcnt(0)
	ds_store_b64 v80, v[77:78]
	s_waitcnt lgkmcnt(0)
	s_waitcnt_vscnt null, 0x0
	s_barrier
	buffer_gl0_inv
	s_and_saveexec_b32 s3, s1
	s_cbranch_execz .LBB101_118
; %bb.109:
	s_and_not1_b32 vcc_lo, exec_lo, s2
	s_cbranch_vccnz .LBB101_111
; %bb.110:
	scratch_load_b64 v[77:78], v81, off
	ds_load_b64 v[95:96], v80
	s_waitcnt vmcnt(0) lgkmcnt(0)
	v_mul_f64 v[77:78], v[77:78], v[95:96]
	s_cbranch_execz .LBB101_112
	s_branch .LBB101_113
.LBB101_111:
                                        ; implicit-def: $vgpr77_vgpr78
.LBB101_112:
	ds_load_b64 v[77:78], v80
.LBB101_113:
	s_and_saveexec_b32 s4, s0
	s_cbranch_execz .LBB101_117
; %bb.114:
	v_subrev_nc_u32_e32 v95, 26, v0
	s_movk_i32 s5, 0x200
	s_mov_b32 s0, 0
.LBB101_115:                            ; =>This Inner Loop Header: Depth=1
	scratch_load_b64 v[96:97], v94, off
	v_dual_mov_b32 v98, s5 :: v_dual_add_nc_u32 v95, -1, v95
	v_add_nc_u32_e32 v94, 8, v94
	s_add_i32 s5, s5, 8
	ds_load_b64 v[98:99], v98
	v_cmp_eq_u32_e32 vcc_lo, 0, v95
	s_or_b32 s0, vcc_lo, s0
	s_waitcnt vmcnt(0) lgkmcnt(0)
	v_fma_f64 v[77:78], v[96:97], v[98:99], v[77:78]
	s_and_not1_b32 exec_lo, exec_lo, s0
	s_cbranch_execnz .LBB101_115
; %bb.116:
	s_or_b32 exec_lo, exec_lo, s0
.LBB101_117:
	s_delay_alu instid0(SALU_CYCLE_1)
	s_or_b32 exec_lo, exec_lo, s4
	v_mov_b32_e32 v94, 0
	ds_load_b64 v[94:95], v94 offset:200
	s_waitcnt lgkmcnt(0)
	v_mul_f64 v[77:78], v[77:78], v[94:95]
	scratch_store_b64 off, v[77:78], off offset:200
.LBB101_118:
	s_or_b32 exec_lo, exec_lo, s3
	scratch_load_b64 v[77:78], off, off offset:192
	v_cmp_lt_u32_e64 s0, 24, v0
	s_waitcnt vmcnt(0)
	ds_store_b64 v80, v[77:78]
	s_waitcnt lgkmcnt(0)
	s_waitcnt_vscnt null, 0x0
	s_barrier
	buffer_gl0_inv
	s_and_saveexec_b32 s3, s0
	s_cbranch_execz .LBB101_128
; %bb.119:
	s_and_not1_b32 vcc_lo, exec_lo, s2
	s_cbranch_vccnz .LBB101_121
; %bb.120:
	scratch_load_b64 v[77:78], v81, off
	ds_load_b64 v[94:95], v80
	s_waitcnt vmcnt(0) lgkmcnt(0)
	v_mul_f64 v[77:78], v[77:78], v[94:95]
	s_cbranch_execz .LBB101_122
	s_branch .LBB101_123
.LBB101_121:
                                        ; implicit-def: $vgpr77_vgpr78
.LBB101_122:
	ds_load_b64 v[77:78], v80
.LBB101_123:
	s_and_saveexec_b32 s4, s1
	s_cbranch_execz .LBB101_127
; %bb.124:
	v_mov_b32_e32 v94, 0
	v_subrev_nc_u32_e32 v95, 25, v0
	s_movk_i32 s5, 0x1f8
	s_mov_b32 s1, 0
	s_delay_alu instid0(VALU_DEP_2)
	v_add_nc_u32_e32 v94, 0xc8, v94
.LBB101_125:                            ; =>This Inner Loop Header: Depth=1
	scratch_load_b64 v[96:97], v94, off
	v_dual_mov_b32 v98, s5 :: v_dual_add_nc_u32 v95, -1, v95
	v_add_nc_u32_e32 v94, 8, v94
	s_add_i32 s5, s5, 8
	ds_load_b64 v[98:99], v98
	v_cmp_eq_u32_e32 vcc_lo, 0, v95
	s_or_b32 s1, vcc_lo, s1
	s_waitcnt vmcnt(0) lgkmcnt(0)
	v_fma_f64 v[77:78], v[96:97], v[98:99], v[77:78]
	s_and_not1_b32 exec_lo, exec_lo, s1
	s_cbranch_execnz .LBB101_125
; %bb.126:
	s_or_b32 exec_lo, exec_lo, s1
.LBB101_127:
	s_delay_alu instid0(SALU_CYCLE_1)
	s_or_b32 exec_lo, exec_lo, s4
	v_mov_b32_e32 v94, 0
	ds_load_b64 v[94:95], v94 offset:192
	s_waitcnt lgkmcnt(0)
	v_mul_f64 v[77:78], v[77:78], v[94:95]
	scratch_store_b64 off, v[77:78], off offset:192
.LBB101_128:
	s_or_b32 exec_lo, exec_lo, s3
	scratch_load_b64 v[77:78], off, off offset:184
	v_cmp_lt_u32_e64 s1, 23, v0
	s_waitcnt vmcnt(0)
	ds_store_b64 v80, v[77:78]
	s_waitcnt lgkmcnt(0)
	s_waitcnt_vscnt null, 0x0
	s_barrier
	buffer_gl0_inv
	s_and_saveexec_b32 s3, s1
	s_cbranch_execz .LBB101_138
; %bb.129:
	s_and_not1_b32 vcc_lo, exec_lo, s2
	s_cbranch_vccnz .LBB101_131
; %bb.130:
	scratch_load_b64 v[77:78], v81, off
	ds_load_b64 v[94:95], v80
	s_waitcnt vmcnt(0) lgkmcnt(0)
	v_mul_f64 v[77:78], v[77:78], v[94:95]
	s_cbranch_execz .LBB101_132
	s_branch .LBB101_133
.LBB101_131:
                                        ; implicit-def: $vgpr77_vgpr78
.LBB101_132:
	ds_load_b64 v[77:78], v80
.LBB101_133:
	s_and_saveexec_b32 s4, s0
	s_cbranch_execz .LBB101_137
; %bb.134:
	v_subrev_nc_u32_e32 v94, 24, v0
	s_movk_i32 s5, 0x1f0
	s_mov_b32 s0, 0
.LBB101_135:                            ; =>This Inner Loop Header: Depth=1
	scratch_load_b64 v[95:96], v93, off
	v_dual_mov_b32 v97, s5 :: v_dual_add_nc_u32 v94, -1, v94
	v_add_nc_u32_e32 v93, 8, v93
	s_add_i32 s5, s5, 8
	ds_load_b64 v[97:98], v97
	v_cmp_eq_u32_e32 vcc_lo, 0, v94
	s_or_b32 s0, vcc_lo, s0
	s_waitcnt vmcnt(0) lgkmcnt(0)
	v_fma_f64 v[77:78], v[95:96], v[97:98], v[77:78]
	s_and_not1_b32 exec_lo, exec_lo, s0
	s_cbranch_execnz .LBB101_135
; %bb.136:
	s_or_b32 exec_lo, exec_lo, s0
.LBB101_137:
	s_delay_alu instid0(SALU_CYCLE_1)
	s_or_b32 exec_lo, exec_lo, s4
	v_mov_b32_e32 v93, 0
	ds_load_b64 v[93:94], v93 offset:184
	s_waitcnt lgkmcnt(0)
	v_mul_f64 v[77:78], v[77:78], v[93:94]
	scratch_store_b64 off, v[77:78], off offset:184
.LBB101_138:
	s_or_b32 exec_lo, exec_lo, s3
	scratch_load_b64 v[77:78], off, off offset:176
	v_cmp_lt_u32_e64 s0, 22, v0
	s_waitcnt vmcnt(0)
	ds_store_b64 v80, v[77:78]
	s_waitcnt lgkmcnt(0)
	s_waitcnt_vscnt null, 0x0
	s_barrier
	buffer_gl0_inv
	s_and_saveexec_b32 s3, s0
	s_cbranch_execz .LBB101_148
; %bb.139:
	s_and_not1_b32 vcc_lo, exec_lo, s2
	s_cbranch_vccnz .LBB101_141
; %bb.140:
	scratch_load_b64 v[77:78], v81, off
	ds_load_b64 v[93:94], v80
	s_waitcnt vmcnt(0) lgkmcnt(0)
	v_mul_f64 v[77:78], v[77:78], v[93:94]
	s_cbranch_execz .LBB101_142
	s_branch .LBB101_143
.LBB101_141:
                                        ; implicit-def: $vgpr77_vgpr78
.LBB101_142:
	ds_load_b64 v[77:78], v80
.LBB101_143:
	s_and_saveexec_b32 s4, s1
	s_cbranch_execz .LBB101_147
; %bb.144:
	v_mov_b32_e32 v93, 0
	v_subrev_nc_u32_e32 v94, 23, v0
	s_movk_i32 s5, 0x1e8
	s_mov_b32 s1, 0
	s_delay_alu instid0(VALU_DEP_2)
	v_add_nc_u32_e32 v93, 0xb8, v93
.LBB101_145:                            ; =>This Inner Loop Header: Depth=1
	scratch_load_b64 v[95:96], v93, off
	v_dual_mov_b32 v97, s5 :: v_dual_add_nc_u32 v94, -1, v94
	v_add_nc_u32_e32 v93, 8, v93
	s_add_i32 s5, s5, 8
	ds_load_b64 v[97:98], v97
	v_cmp_eq_u32_e32 vcc_lo, 0, v94
	s_or_b32 s1, vcc_lo, s1
	s_waitcnt vmcnt(0) lgkmcnt(0)
	v_fma_f64 v[77:78], v[95:96], v[97:98], v[77:78]
	s_and_not1_b32 exec_lo, exec_lo, s1
	s_cbranch_execnz .LBB101_145
; %bb.146:
	s_or_b32 exec_lo, exec_lo, s1
.LBB101_147:
	s_delay_alu instid0(SALU_CYCLE_1)
	s_or_b32 exec_lo, exec_lo, s4
	v_mov_b32_e32 v93, 0
	ds_load_b64 v[93:94], v93 offset:176
	s_waitcnt lgkmcnt(0)
	v_mul_f64 v[77:78], v[77:78], v[93:94]
	scratch_store_b64 off, v[77:78], off offset:176
.LBB101_148:
	s_or_b32 exec_lo, exec_lo, s3
	scratch_load_b64 v[77:78], off, off offset:168
	v_cmp_lt_u32_e64 s1, 21, v0
	s_waitcnt vmcnt(0)
	ds_store_b64 v80, v[77:78]
	s_waitcnt lgkmcnt(0)
	s_waitcnt_vscnt null, 0x0
	s_barrier
	buffer_gl0_inv
	s_and_saveexec_b32 s3, s1
	s_cbranch_execz .LBB101_158
; %bb.149:
	s_and_not1_b32 vcc_lo, exec_lo, s2
	s_cbranch_vccnz .LBB101_151
; %bb.150:
	scratch_load_b64 v[77:78], v81, off
	ds_load_b64 v[93:94], v80
	s_waitcnt vmcnt(0) lgkmcnt(0)
	v_mul_f64 v[77:78], v[77:78], v[93:94]
	s_cbranch_execz .LBB101_152
	s_branch .LBB101_153
.LBB101_151:
                                        ; implicit-def: $vgpr77_vgpr78
.LBB101_152:
	ds_load_b64 v[77:78], v80
.LBB101_153:
	s_and_saveexec_b32 s4, s0
	s_cbranch_execz .LBB101_157
; %bb.154:
	v_subrev_nc_u32_e32 v93, 22, v0
	s_movk_i32 s5, 0x1e0
	s_mov_b32 s0, 0
.LBB101_155:                            ; =>This Inner Loop Header: Depth=1
	scratch_load_b64 v[94:95], v92, off
	v_dual_mov_b32 v96, s5 :: v_dual_add_nc_u32 v93, -1, v93
	v_add_nc_u32_e32 v92, 8, v92
	s_add_i32 s5, s5, 8
	ds_load_b64 v[96:97], v96
	v_cmp_eq_u32_e32 vcc_lo, 0, v93
	s_or_b32 s0, vcc_lo, s0
	s_waitcnt vmcnt(0) lgkmcnt(0)
	v_fma_f64 v[77:78], v[94:95], v[96:97], v[77:78]
	s_and_not1_b32 exec_lo, exec_lo, s0
	s_cbranch_execnz .LBB101_155
; %bb.156:
	s_or_b32 exec_lo, exec_lo, s0
.LBB101_157:
	s_delay_alu instid0(SALU_CYCLE_1)
	s_or_b32 exec_lo, exec_lo, s4
	v_mov_b32_e32 v92, 0
	ds_load_b64 v[92:93], v92 offset:168
	s_waitcnt lgkmcnt(0)
	v_mul_f64 v[77:78], v[77:78], v[92:93]
	scratch_store_b64 off, v[77:78], off offset:168
.LBB101_158:
	s_or_b32 exec_lo, exec_lo, s3
	scratch_load_b64 v[77:78], off, off offset:160
	v_cmp_lt_u32_e64 s0, 20, v0
	s_waitcnt vmcnt(0)
	ds_store_b64 v80, v[77:78]
	s_waitcnt lgkmcnt(0)
	s_waitcnt_vscnt null, 0x0
	s_barrier
	buffer_gl0_inv
	s_and_saveexec_b32 s3, s0
	s_cbranch_execz .LBB101_168
; %bb.159:
	s_and_not1_b32 vcc_lo, exec_lo, s2
	s_cbranch_vccnz .LBB101_161
; %bb.160:
	scratch_load_b64 v[77:78], v81, off
	ds_load_b64 v[92:93], v80
	s_waitcnt vmcnt(0) lgkmcnt(0)
	v_mul_f64 v[77:78], v[77:78], v[92:93]
	s_cbranch_execz .LBB101_162
	s_branch .LBB101_163
.LBB101_161:
                                        ; implicit-def: $vgpr77_vgpr78
.LBB101_162:
	ds_load_b64 v[77:78], v80
.LBB101_163:
	s_and_saveexec_b32 s4, s1
	s_cbranch_execz .LBB101_167
; %bb.164:
	v_mov_b32_e32 v92, 0
	v_subrev_nc_u32_e32 v93, 21, v0
	s_movk_i32 s5, 0x1d8
	s_mov_b32 s1, 0
	s_delay_alu instid0(VALU_DEP_2)
	v_add_nc_u32_e32 v92, 0xa8, v92
.LBB101_165:                            ; =>This Inner Loop Header: Depth=1
	scratch_load_b64 v[94:95], v92, off
	v_dual_mov_b32 v96, s5 :: v_dual_add_nc_u32 v93, -1, v93
	v_add_nc_u32_e32 v92, 8, v92
	s_add_i32 s5, s5, 8
	ds_load_b64 v[96:97], v96
	v_cmp_eq_u32_e32 vcc_lo, 0, v93
	s_or_b32 s1, vcc_lo, s1
	s_waitcnt vmcnt(0) lgkmcnt(0)
	v_fma_f64 v[77:78], v[94:95], v[96:97], v[77:78]
	s_and_not1_b32 exec_lo, exec_lo, s1
	s_cbranch_execnz .LBB101_165
; %bb.166:
	s_or_b32 exec_lo, exec_lo, s1
.LBB101_167:
	s_delay_alu instid0(SALU_CYCLE_1)
	s_or_b32 exec_lo, exec_lo, s4
	v_mov_b32_e32 v92, 0
	ds_load_b64 v[92:93], v92 offset:160
	s_waitcnt lgkmcnt(0)
	v_mul_f64 v[77:78], v[77:78], v[92:93]
	scratch_store_b64 off, v[77:78], off offset:160
.LBB101_168:
	s_or_b32 exec_lo, exec_lo, s3
	scratch_load_b64 v[77:78], off, off offset:152
	v_cmp_lt_u32_e64 s1, 19, v0
	s_waitcnt vmcnt(0)
	ds_store_b64 v80, v[77:78]
	s_waitcnt lgkmcnt(0)
	s_waitcnt_vscnt null, 0x0
	s_barrier
	buffer_gl0_inv
	s_and_saveexec_b32 s3, s1
	s_cbranch_execz .LBB101_178
; %bb.169:
	s_and_not1_b32 vcc_lo, exec_lo, s2
	s_cbranch_vccnz .LBB101_171
; %bb.170:
	scratch_load_b64 v[77:78], v81, off
	ds_load_b64 v[92:93], v80
	s_waitcnt vmcnt(0) lgkmcnt(0)
	v_mul_f64 v[77:78], v[77:78], v[92:93]
	s_cbranch_execz .LBB101_172
	s_branch .LBB101_173
.LBB101_171:
                                        ; implicit-def: $vgpr77_vgpr78
.LBB101_172:
	ds_load_b64 v[77:78], v80
.LBB101_173:
	s_and_saveexec_b32 s4, s0
	s_cbranch_execz .LBB101_177
; %bb.174:
	v_subrev_nc_u32_e32 v92, 20, v0
	s_movk_i32 s5, 0x1d0
	s_mov_b32 s0, 0
.LBB101_175:                            ; =>This Inner Loop Header: Depth=1
	scratch_load_b64 v[93:94], v91, off
	v_dual_mov_b32 v95, s5 :: v_dual_add_nc_u32 v92, -1, v92
	v_add_nc_u32_e32 v91, 8, v91
	s_add_i32 s5, s5, 8
	ds_load_b64 v[95:96], v95
	v_cmp_eq_u32_e32 vcc_lo, 0, v92
	s_or_b32 s0, vcc_lo, s0
	s_waitcnt vmcnt(0) lgkmcnt(0)
	v_fma_f64 v[77:78], v[93:94], v[95:96], v[77:78]
	s_and_not1_b32 exec_lo, exec_lo, s0
	s_cbranch_execnz .LBB101_175
; %bb.176:
	s_or_b32 exec_lo, exec_lo, s0
.LBB101_177:
	s_delay_alu instid0(SALU_CYCLE_1)
	s_or_b32 exec_lo, exec_lo, s4
	v_mov_b32_e32 v91, 0
	ds_load_b64 v[91:92], v91 offset:152
	s_waitcnt lgkmcnt(0)
	v_mul_f64 v[77:78], v[77:78], v[91:92]
	scratch_store_b64 off, v[77:78], off offset:152
.LBB101_178:
	s_or_b32 exec_lo, exec_lo, s3
	scratch_load_b64 v[77:78], off, off offset:144
	v_cmp_lt_u32_e64 s0, 18, v0
	s_waitcnt vmcnt(0)
	ds_store_b64 v80, v[77:78]
	s_waitcnt lgkmcnt(0)
	s_waitcnt_vscnt null, 0x0
	s_barrier
	buffer_gl0_inv
	s_and_saveexec_b32 s3, s0
	s_cbranch_execz .LBB101_188
; %bb.179:
	s_and_not1_b32 vcc_lo, exec_lo, s2
	s_cbranch_vccnz .LBB101_181
; %bb.180:
	scratch_load_b64 v[77:78], v81, off
	ds_load_b64 v[91:92], v80
	s_waitcnt vmcnt(0) lgkmcnt(0)
	v_mul_f64 v[77:78], v[77:78], v[91:92]
	s_cbranch_execz .LBB101_182
	s_branch .LBB101_183
.LBB101_181:
                                        ; implicit-def: $vgpr77_vgpr78
.LBB101_182:
	ds_load_b64 v[77:78], v80
.LBB101_183:
	s_and_saveexec_b32 s4, s1
	s_cbranch_execz .LBB101_187
; %bb.184:
	v_mov_b32_e32 v91, 0
	v_subrev_nc_u32_e32 v92, 19, v0
	s_movk_i32 s5, 0x1c8
	s_mov_b32 s1, 0
	s_delay_alu instid0(VALU_DEP_2)
	v_add_nc_u32_e32 v91, 0x98, v91
.LBB101_185:                            ; =>This Inner Loop Header: Depth=1
	scratch_load_b64 v[93:94], v91, off
	v_dual_mov_b32 v95, s5 :: v_dual_add_nc_u32 v92, -1, v92
	v_add_nc_u32_e32 v91, 8, v91
	s_add_i32 s5, s5, 8
	ds_load_b64 v[95:96], v95
	v_cmp_eq_u32_e32 vcc_lo, 0, v92
	s_or_b32 s1, vcc_lo, s1
	s_waitcnt vmcnt(0) lgkmcnt(0)
	v_fma_f64 v[77:78], v[93:94], v[95:96], v[77:78]
	s_and_not1_b32 exec_lo, exec_lo, s1
	s_cbranch_execnz .LBB101_185
; %bb.186:
	s_or_b32 exec_lo, exec_lo, s1
.LBB101_187:
	s_delay_alu instid0(SALU_CYCLE_1)
	s_or_b32 exec_lo, exec_lo, s4
	v_mov_b32_e32 v91, 0
	ds_load_b64 v[91:92], v91 offset:144
	s_waitcnt lgkmcnt(0)
	v_mul_f64 v[77:78], v[77:78], v[91:92]
	scratch_store_b64 off, v[77:78], off offset:144
.LBB101_188:
	s_or_b32 exec_lo, exec_lo, s3
	scratch_load_b64 v[77:78], off, off offset:136
	v_cmp_lt_u32_e64 s1, 17, v0
	s_waitcnt vmcnt(0)
	ds_store_b64 v80, v[77:78]
	s_waitcnt lgkmcnt(0)
	s_waitcnt_vscnt null, 0x0
	s_barrier
	buffer_gl0_inv
	s_and_saveexec_b32 s3, s1
	s_cbranch_execz .LBB101_198
; %bb.189:
	s_and_not1_b32 vcc_lo, exec_lo, s2
	s_cbranch_vccnz .LBB101_191
; %bb.190:
	scratch_load_b64 v[77:78], v81, off
	ds_load_b64 v[91:92], v80
	s_waitcnt vmcnt(0) lgkmcnt(0)
	v_mul_f64 v[77:78], v[77:78], v[91:92]
	s_cbranch_execz .LBB101_192
	s_branch .LBB101_193
.LBB101_191:
                                        ; implicit-def: $vgpr77_vgpr78
.LBB101_192:
	ds_load_b64 v[77:78], v80
.LBB101_193:
	s_and_saveexec_b32 s4, s0
	s_cbranch_execz .LBB101_197
; %bb.194:
	v_subrev_nc_u32_e32 v91, 18, v0
	s_movk_i32 s5, 0x1c0
	s_mov_b32 s0, 0
.LBB101_195:                            ; =>This Inner Loop Header: Depth=1
	scratch_load_b64 v[92:93], v90, off
	v_dual_mov_b32 v94, s5 :: v_dual_add_nc_u32 v91, -1, v91
	v_add_nc_u32_e32 v90, 8, v90
	s_add_i32 s5, s5, 8
	ds_load_b64 v[94:95], v94
	v_cmp_eq_u32_e32 vcc_lo, 0, v91
	s_or_b32 s0, vcc_lo, s0
	s_waitcnt vmcnt(0) lgkmcnt(0)
	v_fma_f64 v[77:78], v[92:93], v[94:95], v[77:78]
	s_and_not1_b32 exec_lo, exec_lo, s0
	s_cbranch_execnz .LBB101_195
; %bb.196:
	s_or_b32 exec_lo, exec_lo, s0
.LBB101_197:
	s_delay_alu instid0(SALU_CYCLE_1)
	s_or_b32 exec_lo, exec_lo, s4
	v_mov_b32_e32 v90, 0
	ds_load_b64 v[90:91], v90 offset:136
	s_waitcnt lgkmcnt(0)
	v_mul_f64 v[77:78], v[77:78], v[90:91]
	scratch_store_b64 off, v[77:78], off offset:136
.LBB101_198:
	s_or_b32 exec_lo, exec_lo, s3
	scratch_load_b64 v[77:78], off, off offset:128
	v_cmp_lt_u32_e64 s0, 16, v0
	s_waitcnt vmcnt(0)
	ds_store_b64 v80, v[77:78]
	s_waitcnt lgkmcnt(0)
	s_waitcnt_vscnt null, 0x0
	s_barrier
	buffer_gl0_inv
	s_and_saveexec_b32 s3, s0
	s_cbranch_execz .LBB101_208
; %bb.199:
	s_and_not1_b32 vcc_lo, exec_lo, s2
	s_cbranch_vccnz .LBB101_201
; %bb.200:
	scratch_load_b64 v[77:78], v81, off
	ds_load_b64 v[90:91], v80
	s_waitcnt vmcnt(0) lgkmcnt(0)
	v_mul_f64 v[77:78], v[77:78], v[90:91]
	s_cbranch_execz .LBB101_202
	s_branch .LBB101_203
.LBB101_201:
                                        ; implicit-def: $vgpr77_vgpr78
.LBB101_202:
	ds_load_b64 v[77:78], v80
.LBB101_203:
	s_and_saveexec_b32 s4, s1
	s_cbranch_execz .LBB101_207
; %bb.204:
	v_mov_b32_e32 v90, 0
	v_subrev_nc_u32_e32 v91, 17, v0
	s_movk_i32 s5, 0x1b8
	s_mov_b32 s1, 0
	s_delay_alu instid0(VALU_DEP_2)
	v_add_nc_u32_e32 v90, 0x88, v90
.LBB101_205:                            ; =>This Inner Loop Header: Depth=1
	scratch_load_b64 v[92:93], v90, off
	v_dual_mov_b32 v94, s5 :: v_dual_add_nc_u32 v91, -1, v91
	v_add_nc_u32_e32 v90, 8, v90
	s_add_i32 s5, s5, 8
	ds_load_b64 v[94:95], v94
	v_cmp_eq_u32_e32 vcc_lo, 0, v91
	s_or_b32 s1, vcc_lo, s1
	s_waitcnt vmcnt(0) lgkmcnt(0)
	v_fma_f64 v[77:78], v[92:93], v[94:95], v[77:78]
	s_and_not1_b32 exec_lo, exec_lo, s1
	s_cbranch_execnz .LBB101_205
; %bb.206:
	s_or_b32 exec_lo, exec_lo, s1
.LBB101_207:
	s_delay_alu instid0(SALU_CYCLE_1)
	s_or_b32 exec_lo, exec_lo, s4
	v_mov_b32_e32 v90, 0
	ds_load_b64 v[90:91], v90 offset:128
	s_waitcnt lgkmcnt(0)
	v_mul_f64 v[77:78], v[77:78], v[90:91]
	scratch_store_b64 off, v[77:78], off offset:128
.LBB101_208:
	s_or_b32 exec_lo, exec_lo, s3
	scratch_load_b64 v[77:78], off, off offset:120
	v_cmp_lt_u32_e64 s1, 15, v0
	s_waitcnt vmcnt(0)
	ds_store_b64 v80, v[77:78]
	s_waitcnt lgkmcnt(0)
	s_waitcnt_vscnt null, 0x0
	s_barrier
	buffer_gl0_inv
	s_and_saveexec_b32 s3, s1
	s_cbranch_execz .LBB101_218
; %bb.209:
	s_and_not1_b32 vcc_lo, exec_lo, s2
	s_cbranch_vccnz .LBB101_211
; %bb.210:
	scratch_load_b64 v[77:78], v81, off
	ds_load_b64 v[90:91], v80
	s_waitcnt vmcnt(0) lgkmcnt(0)
	v_mul_f64 v[77:78], v[77:78], v[90:91]
	s_cbranch_execz .LBB101_212
	s_branch .LBB101_213
.LBB101_211:
                                        ; implicit-def: $vgpr77_vgpr78
.LBB101_212:
	ds_load_b64 v[77:78], v80
.LBB101_213:
	s_and_saveexec_b32 s4, s0
	s_cbranch_execz .LBB101_217
; %bb.214:
	v_add_nc_u32_e32 v90, -16, v0
	s_movk_i32 s5, 0x1b0
	s_mov_b32 s0, 0
.LBB101_215:                            ; =>This Inner Loop Header: Depth=1
	scratch_load_b64 v[91:92], v89, off
	v_dual_mov_b32 v93, s5 :: v_dual_add_nc_u32 v90, -1, v90
	v_add_nc_u32_e32 v89, 8, v89
	s_add_i32 s5, s5, 8
	ds_load_b64 v[93:94], v93
	v_cmp_eq_u32_e32 vcc_lo, 0, v90
	s_or_b32 s0, vcc_lo, s0
	s_waitcnt vmcnt(0) lgkmcnt(0)
	v_fma_f64 v[77:78], v[91:92], v[93:94], v[77:78]
	s_and_not1_b32 exec_lo, exec_lo, s0
	s_cbranch_execnz .LBB101_215
; %bb.216:
	s_or_b32 exec_lo, exec_lo, s0
.LBB101_217:
	s_delay_alu instid0(SALU_CYCLE_1)
	s_or_b32 exec_lo, exec_lo, s4
	v_mov_b32_e32 v89, 0
	ds_load_b64 v[89:90], v89 offset:120
	s_waitcnt lgkmcnt(0)
	v_mul_f64 v[77:78], v[77:78], v[89:90]
	scratch_store_b64 off, v[77:78], off offset:120
.LBB101_218:
	s_or_b32 exec_lo, exec_lo, s3
	scratch_load_b64 v[77:78], off, off offset:112
	v_cmp_lt_u32_e64 s0, 14, v0
	s_waitcnt vmcnt(0)
	ds_store_b64 v80, v[77:78]
	s_waitcnt lgkmcnt(0)
	s_waitcnt_vscnt null, 0x0
	s_barrier
	buffer_gl0_inv
	s_and_saveexec_b32 s3, s0
	s_cbranch_execz .LBB101_228
; %bb.219:
	s_and_not1_b32 vcc_lo, exec_lo, s2
	s_cbranch_vccnz .LBB101_221
; %bb.220:
	scratch_load_b64 v[77:78], v81, off
	ds_load_b64 v[89:90], v80
	s_waitcnt vmcnt(0) lgkmcnt(0)
	v_mul_f64 v[77:78], v[77:78], v[89:90]
	s_cbranch_execz .LBB101_222
	s_branch .LBB101_223
.LBB101_221:
                                        ; implicit-def: $vgpr77_vgpr78
.LBB101_222:
	ds_load_b64 v[77:78], v80
.LBB101_223:
	s_and_saveexec_b32 s4, s1
	s_cbranch_execz .LBB101_227
; %bb.224:
	v_dual_mov_b32 v89, 0 :: v_dual_add_nc_u32 v90, -15, v0
	s_movk_i32 s5, 0x1a8
	s_mov_b32 s1, 0
	s_delay_alu instid0(VALU_DEP_1)
	v_add_nc_u32_e32 v89, 0x78, v89
.LBB101_225:                            ; =>This Inner Loop Header: Depth=1
	scratch_load_b64 v[91:92], v89, off
	v_dual_mov_b32 v93, s5 :: v_dual_add_nc_u32 v90, -1, v90
	v_add_nc_u32_e32 v89, 8, v89
	s_add_i32 s5, s5, 8
	ds_load_b64 v[93:94], v93
	v_cmp_eq_u32_e32 vcc_lo, 0, v90
	s_or_b32 s1, vcc_lo, s1
	s_waitcnt vmcnt(0) lgkmcnt(0)
	v_fma_f64 v[77:78], v[91:92], v[93:94], v[77:78]
	s_and_not1_b32 exec_lo, exec_lo, s1
	s_cbranch_execnz .LBB101_225
; %bb.226:
	s_or_b32 exec_lo, exec_lo, s1
.LBB101_227:
	s_delay_alu instid0(SALU_CYCLE_1)
	s_or_b32 exec_lo, exec_lo, s4
	v_mov_b32_e32 v89, 0
	ds_load_b64 v[89:90], v89 offset:112
	s_waitcnt lgkmcnt(0)
	v_mul_f64 v[77:78], v[77:78], v[89:90]
	scratch_store_b64 off, v[77:78], off offset:112
.LBB101_228:
	s_or_b32 exec_lo, exec_lo, s3
	scratch_load_b64 v[77:78], off, off offset:104
	v_cmp_lt_u32_e64 s1, 13, v0
	s_waitcnt vmcnt(0)
	ds_store_b64 v80, v[77:78]
	s_waitcnt lgkmcnt(0)
	s_waitcnt_vscnt null, 0x0
	s_barrier
	buffer_gl0_inv
	s_and_saveexec_b32 s3, s1
	s_cbranch_execz .LBB101_238
; %bb.229:
	s_and_not1_b32 vcc_lo, exec_lo, s2
	s_cbranch_vccnz .LBB101_231
; %bb.230:
	scratch_load_b64 v[77:78], v81, off
	ds_load_b64 v[89:90], v80
	s_waitcnt vmcnt(0) lgkmcnt(0)
	v_mul_f64 v[77:78], v[77:78], v[89:90]
	s_cbranch_execz .LBB101_232
	s_branch .LBB101_233
.LBB101_231:
                                        ; implicit-def: $vgpr77_vgpr78
.LBB101_232:
	ds_load_b64 v[77:78], v80
.LBB101_233:
	s_and_saveexec_b32 s4, s0
	s_cbranch_execz .LBB101_237
; %bb.234:
	v_add_nc_u32_e32 v89, -14, v0
	s_movk_i32 s5, 0x1a0
	s_mov_b32 s0, 0
.LBB101_235:                            ; =>This Inner Loop Header: Depth=1
	scratch_load_b64 v[90:91], v88, off
	v_dual_mov_b32 v92, s5 :: v_dual_add_nc_u32 v89, -1, v89
	v_add_nc_u32_e32 v88, 8, v88
	s_add_i32 s5, s5, 8
	ds_load_b64 v[92:93], v92
	v_cmp_eq_u32_e32 vcc_lo, 0, v89
	s_or_b32 s0, vcc_lo, s0
	s_waitcnt vmcnt(0) lgkmcnt(0)
	v_fma_f64 v[77:78], v[90:91], v[92:93], v[77:78]
	s_and_not1_b32 exec_lo, exec_lo, s0
	s_cbranch_execnz .LBB101_235
; %bb.236:
	s_or_b32 exec_lo, exec_lo, s0
.LBB101_237:
	s_delay_alu instid0(SALU_CYCLE_1)
	s_or_b32 exec_lo, exec_lo, s4
	v_mov_b32_e32 v88, 0
	ds_load_b64 v[88:89], v88 offset:104
	s_waitcnt lgkmcnt(0)
	v_mul_f64 v[77:78], v[77:78], v[88:89]
	scratch_store_b64 off, v[77:78], off offset:104
.LBB101_238:
	s_or_b32 exec_lo, exec_lo, s3
	scratch_load_b64 v[77:78], off, off offset:96
	v_cmp_lt_u32_e64 s0, 12, v0
	s_waitcnt vmcnt(0)
	ds_store_b64 v80, v[77:78]
	s_waitcnt lgkmcnt(0)
	s_waitcnt_vscnt null, 0x0
	s_barrier
	buffer_gl0_inv
	s_and_saveexec_b32 s3, s0
	s_cbranch_execz .LBB101_248
; %bb.239:
	s_and_not1_b32 vcc_lo, exec_lo, s2
	s_cbranch_vccnz .LBB101_241
; %bb.240:
	scratch_load_b64 v[77:78], v81, off
	ds_load_b64 v[88:89], v80
	s_waitcnt vmcnt(0) lgkmcnt(0)
	v_mul_f64 v[77:78], v[77:78], v[88:89]
	s_cbranch_execz .LBB101_242
	s_branch .LBB101_243
.LBB101_241:
                                        ; implicit-def: $vgpr77_vgpr78
.LBB101_242:
	ds_load_b64 v[77:78], v80
.LBB101_243:
	s_and_saveexec_b32 s4, s1
	s_cbranch_execz .LBB101_247
; %bb.244:
	v_dual_mov_b32 v88, 0 :: v_dual_add_nc_u32 v89, -13, v0
	s_movk_i32 s5, 0x198
	s_mov_b32 s1, 0
	s_delay_alu instid0(VALU_DEP_1)
	v_add_nc_u32_e32 v88, 0x68, v88
.LBB101_245:                            ; =>This Inner Loop Header: Depth=1
	scratch_load_b64 v[90:91], v88, off
	v_dual_mov_b32 v92, s5 :: v_dual_add_nc_u32 v89, -1, v89
	v_add_nc_u32_e32 v88, 8, v88
	s_add_i32 s5, s5, 8
	ds_load_b64 v[92:93], v92
	v_cmp_eq_u32_e32 vcc_lo, 0, v89
	s_or_b32 s1, vcc_lo, s1
	s_waitcnt vmcnt(0) lgkmcnt(0)
	v_fma_f64 v[77:78], v[90:91], v[92:93], v[77:78]
	s_and_not1_b32 exec_lo, exec_lo, s1
	s_cbranch_execnz .LBB101_245
; %bb.246:
	s_or_b32 exec_lo, exec_lo, s1
.LBB101_247:
	s_delay_alu instid0(SALU_CYCLE_1)
	s_or_b32 exec_lo, exec_lo, s4
	v_mov_b32_e32 v88, 0
	ds_load_b64 v[88:89], v88 offset:96
	s_waitcnt lgkmcnt(0)
	v_mul_f64 v[77:78], v[77:78], v[88:89]
	scratch_store_b64 off, v[77:78], off offset:96
.LBB101_248:
	s_or_b32 exec_lo, exec_lo, s3
	scratch_load_b64 v[77:78], off, off offset:88
	v_cmp_lt_u32_e64 s1, 11, v0
	s_waitcnt vmcnt(0)
	ds_store_b64 v80, v[77:78]
	s_waitcnt lgkmcnt(0)
	s_waitcnt_vscnt null, 0x0
	s_barrier
	buffer_gl0_inv
	s_and_saveexec_b32 s3, s1
	s_cbranch_execz .LBB101_258
; %bb.249:
	s_and_not1_b32 vcc_lo, exec_lo, s2
	s_cbranch_vccnz .LBB101_251
; %bb.250:
	scratch_load_b64 v[77:78], v81, off
	ds_load_b64 v[88:89], v80
	s_waitcnt vmcnt(0) lgkmcnt(0)
	v_mul_f64 v[77:78], v[77:78], v[88:89]
	s_cbranch_execz .LBB101_252
	s_branch .LBB101_253
.LBB101_251:
                                        ; implicit-def: $vgpr77_vgpr78
.LBB101_252:
	ds_load_b64 v[77:78], v80
.LBB101_253:
	s_and_saveexec_b32 s4, s0
	s_cbranch_execz .LBB101_257
; %bb.254:
	v_add_nc_u32_e32 v88, -12, v0
	s_movk_i32 s5, 0x190
	s_mov_b32 s0, 0
.LBB101_255:                            ; =>This Inner Loop Header: Depth=1
	scratch_load_b64 v[89:90], v87, off
	v_dual_mov_b32 v91, s5 :: v_dual_add_nc_u32 v88, -1, v88
	v_add_nc_u32_e32 v87, 8, v87
	s_add_i32 s5, s5, 8
	ds_load_b64 v[91:92], v91
	v_cmp_eq_u32_e32 vcc_lo, 0, v88
	s_or_b32 s0, vcc_lo, s0
	s_waitcnt vmcnt(0) lgkmcnt(0)
	v_fma_f64 v[77:78], v[89:90], v[91:92], v[77:78]
	s_and_not1_b32 exec_lo, exec_lo, s0
	s_cbranch_execnz .LBB101_255
; %bb.256:
	s_or_b32 exec_lo, exec_lo, s0
.LBB101_257:
	s_delay_alu instid0(SALU_CYCLE_1)
	s_or_b32 exec_lo, exec_lo, s4
	v_mov_b32_e32 v87, 0
	ds_load_b64 v[87:88], v87 offset:88
	s_waitcnt lgkmcnt(0)
	v_mul_f64 v[77:78], v[77:78], v[87:88]
	scratch_store_b64 off, v[77:78], off offset:88
.LBB101_258:
	s_or_b32 exec_lo, exec_lo, s3
	scratch_load_b64 v[77:78], off, off offset:80
	v_cmp_lt_u32_e64 s0, 10, v0
	s_waitcnt vmcnt(0)
	ds_store_b64 v80, v[77:78]
	s_waitcnt lgkmcnt(0)
	s_waitcnt_vscnt null, 0x0
	s_barrier
	buffer_gl0_inv
	s_and_saveexec_b32 s3, s0
	s_cbranch_execz .LBB101_268
; %bb.259:
	s_and_not1_b32 vcc_lo, exec_lo, s2
	s_cbranch_vccnz .LBB101_261
; %bb.260:
	scratch_load_b64 v[77:78], v81, off
	ds_load_b64 v[87:88], v80
	s_waitcnt vmcnt(0) lgkmcnt(0)
	v_mul_f64 v[77:78], v[77:78], v[87:88]
	s_cbranch_execz .LBB101_262
	s_branch .LBB101_263
.LBB101_261:
                                        ; implicit-def: $vgpr77_vgpr78
.LBB101_262:
	ds_load_b64 v[77:78], v80
.LBB101_263:
	s_and_saveexec_b32 s4, s1
	s_cbranch_execz .LBB101_267
; %bb.264:
	v_dual_mov_b32 v87, 0 :: v_dual_add_nc_u32 v88, -11, v0
	s_movk_i32 s5, 0x188
	s_mov_b32 s1, 0
	s_delay_alu instid0(VALU_DEP_1)
	v_add_nc_u32_e32 v87, 0x58, v87
.LBB101_265:                            ; =>This Inner Loop Header: Depth=1
	scratch_load_b64 v[89:90], v87, off
	v_dual_mov_b32 v91, s5 :: v_dual_add_nc_u32 v88, -1, v88
	v_add_nc_u32_e32 v87, 8, v87
	s_add_i32 s5, s5, 8
	ds_load_b64 v[91:92], v91
	v_cmp_eq_u32_e32 vcc_lo, 0, v88
	s_or_b32 s1, vcc_lo, s1
	s_waitcnt vmcnt(0) lgkmcnt(0)
	v_fma_f64 v[77:78], v[89:90], v[91:92], v[77:78]
	s_and_not1_b32 exec_lo, exec_lo, s1
	s_cbranch_execnz .LBB101_265
; %bb.266:
	s_or_b32 exec_lo, exec_lo, s1
.LBB101_267:
	s_delay_alu instid0(SALU_CYCLE_1)
	s_or_b32 exec_lo, exec_lo, s4
	v_mov_b32_e32 v87, 0
	ds_load_b64 v[87:88], v87 offset:80
	s_waitcnt lgkmcnt(0)
	v_mul_f64 v[77:78], v[77:78], v[87:88]
	scratch_store_b64 off, v[77:78], off offset:80
.LBB101_268:
	s_or_b32 exec_lo, exec_lo, s3
	scratch_load_b64 v[77:78], off, off offset:72
	v_cmp_lt_u32_e64 s1, 9, v0
	s_waitcnt vmcnt(0)
	ds_store_b64 v80, v[77:78]
	s_waitcnt lgkmcnt(0)
	s_waitcnt_vscnt null, 0x0
	s_barrier
	buffer_gl0_inv
	s_and_saveexec_b32 s3, s1
	s_cbranch_execz .LBB101_278
; %bb.269:
	s_and_not1_b32 vcc_lo, exec_lo, s2
	s_cbranch_vccnz .LBB101_271
; %bb.270:
	scratch_load_b64 v[77:78], v81, off
	ds_load_b64 v[87:88], v80
	s_waitcnt vmcnt(0) lgkmcnt(0)
	v_mul_f64 v[77:78], v[77:78], v[87:88]
	s_cbranch_execz .LBB101_272
	s_branch .LBB101_273
.LBB101_271:
                                        ; implicit-def: $vgpr77_vgpr78
.LBB101_272:
	ds_load_b64 v[77:78], v80
.LBB101_273:
	s_and_saveexec_b32 s4, s0
	s_cbranch_execz .LBB101_277
; %bb.274:
	v_add_nc_u32_e32 v87, -10, v0
	s_movk_i32 s5, 0x180
	s_mov_b32 s0, 0
.LBB101_275:                            ; =>This Inner Loop Header: Depth=1
	scratch_load_b64 v[88:89], v86, off
	v_dual_mov_b32 v90, s5 :: v_dual_add_nc_u32 v87, -1, v87
	v_add_nc_u32_e32 v86, 8, v86
	s_add_i32 s5, s5, 8
	ds_load_b64 v[90:91], v90
	v_cmp_eq_u32_e32 vcc_lo, 0, v87
	s_or_b32 s0, vcc_lo, s0
	s_waitcnt vmcnt(0) lgkmcnt(0)
	v_fma_f64 v[77:78], v[88:89], v[90:91], v[77:78]
	s_and_not1_b32 exec_lo, exec_lo, s0
	s_cbranch_execnz .LBB101_275
; %bb.276:
	s_or_b32 exec_lo, exec_lo, s0
.LBB101_277:
	s_delay_alu instid0(SALU_CYCLE_1)
	s_or_b32 exec_lo, exec_lo, s4
	v_mov_b32_e32 v86, 0
	ds_load_b64 v[86:87], v86 offset:72
	s_waitcnt lgkmcnt(0)
	v_mul_f64 v[77:78], v[77:78], v[86:87]
	scratch_store_b64 off, v[77:78], off offset:72
.LBB101_278:
	s_or_b32 exec_lo, exec_lo, s3
	scratch_load_b64 v[77:78], off, off offset:64
	v_cmp_lt_u32_e64 s0, 8, v0
	s_waitcnt vmcnt(0)
	ds_store_b64 v80, v[77:78]
	s_waitcnt lgkmcnt(0)
	s_waitcnt_vscnt null, 0x0
	s_barrier
	buffer_gl0_inv
	s_and_saveexec_b32 s3, s0
	s_cbranch_execz .LBB101_288
; %bb.279:
	s_and_not1_b32 vcc_lo, exec_lo, s2
	s_cbranch_vccnz .LBB101_281
; %bb.280:
	scratch_load_b64 v[77:78], v81, off
	ds_load_b64 v[86:87], v80
	s_waitcnt vmcnt(0) lgkmcnt(0)
	v_mul_f64 v[77:78], v[77:78], v[86:87]
	s_cbranch_execz .LBB101_282
	s_branch .LBB101_283
.LBB101_281:
                                        ; implicit-def: $vgpr77_vgpr78
.LBB101_282:
	ds_load_b64 v[77:78], v80
.LBB101_283:
	s_and_saveexec_b32 s4, s1
	s_cbranch_execz .LBB101_287
; %bb.284:
	v_dual_mov_b32 v86, 0 :: v_dual_add_nc_u32 v87, -9, v0
	s_movk_i32 s5, 0x178
	s_mov_b32 s1, 0
	s_delay_alu instid0(VALU_DEP_1)
	v_add_nc_u32_e32 v86, 0x48, v86
.LBB101_285:                            ; =>This Inner Loop Header: Depth=1
	scratch_load_b64 v[88:89], v86, off
	v_dual_mov_b32 v90, s5 :: v_dual_add_nc_u32 v87, -1, v87
	v_add_nc_u32_e32 v86, 8, v86
	s_add_i32 s5, s5, 8
	ds_load_b64 v[90:91], v90
	v_cmp_eq_u32_e32 vcc_lo, 0, v87
	s_or_b32 s1, vcc_lo, s1
	s_waitcnt vmcnt(0) lgkmcnt(0)
	v_fma_f64 v[77:78], v[88:89], v[90:91], v[77:78]
	s_and_not1_b32 exec_lo, exec_lo, s1
	s_cbranch_execnz .LBB101_285
; %bb.286:
	s_or_b32 exec_lo, exec_lo, s1
.LBB101_287:
	s_delay_alu instid0(SALU_CYCLE_1)
	s_or_b32 exec_lo, exec_lo, s4
	v_mov_b32_e32 v86, 0
	ds_load_b64 v[86:87], v86 offset:64
	s_waitcnt lgkmcnt(0)
	v_mul_f64 v[77:78], v[77:78], v[86:87]
	scratch_store_b64 off, v[77:78], off offset:64
.LBB101_288:
	s_or_b32 exec_lo, exec_lo, s3
	scratch_load_b64 v[77:78], off, off offset:56
	v_cmp_lt_u32_e64 s1, 7, v0
	s_waitcnt vmcnt(0)
	ds_store_b64 v80, v[77:78]
	s_waitcnt lgkmcnt(0)
	s_waitcnt_vscnt null, 0x0
	s_barrier
	buffer_gl0_inv
	s_and_saveexec_b32 s3, s1
	s_cbranch_execz .LBB101_298
; %bb.289:
	s_and_not1_b32 vcc_lo, exec_lo, s2
	s_cbranch_vccnz .LBB101_291
; %bb.290:
	scratch_load_b64 v[77:78], v81, off
	ds_load_b64 v[86:87], v80
	s_waitcnt vmcnt(0) lgkmcnt(0)
	v_mul_f64 v[77:78], v[77:78], v[86:87]
	s_cbranch_execz .LBB101_292
	s_branch .LBB101_293
.LBB101_291:
                                        ; implicit-def: $vgpr77_vgpr78
.LBB101_292:
	ds_load_b64 v[77:78], v80
.LBB101_293:
	s_and_saveexec_b32 s4, s0
	s_cbranch_execz .LBB101_297
; %bb.294:
	v_add_nc_u32_e32 v86, -8, v0
	s_movk_i32 s5, 0x170
	s_mov_b32 s0, 0
.LBB101_295:                            ; =>This Inner Loop Header: Depth=1
	scratch_load_b64 v[87:88], v85, off
	v_dual_mov_b32 v89, s5 :: v_dual_add_nc_u32 v86, -1, v86
	v_add_nc_u32_e32 v85, 8, v85
	s_add_i32 s5, s5, 8
	ds_load_b64 v[89:90], v89
	v_cmp_eq_u32_e32 vcc_lo, 0, v86
	s_or_b32 s0, vcc_lo, s0
	s_waitcnt vmcnt(0) lgkmcnt(0)
	v_fma_f64 v[77:78], v[87:88], v[89:90], v[77:78]
	s_and_not1_b32 exec_lo, exec_lo, s0
	s_cbranch_execnz .LBB101_295
; %bb.296:
	s_or_b32 exec_lo, exec_lo, s0
.LBB101_297:
	s_delay_alu instid0(SALU_CYCLE_1)
	s_or_b32 exec_lo, exec_lo, s4
	v_mov_b32_e32 v85, 0
	ds_load_b64 v[85:86], v85 offset:56
	s_waitcnt lgkmcnt(0)
	v_mul_f64 v[77:78], v[77:78], v[85:86]
	scratch_store_b64 off, v[77:78], off offset:56
.LBB101_298:
	s_or_b32 exec_lo, exec_lo, s3
	scratch_load_b64 v[77:78], off, off offset:48
	v_cmp_lt_u32_e64 s0, 6, v0
	s_waitcnt vmcnt(0)
	ds_store_b64 v80, v[77:78]
	s_waitcnt lgkmcnt(0)
	s_waitcnt_vscnt null, 0x0
	s_barrier
	buffer_gl0_inv
	s_and_saveexec_b32 s3, s0
	s_cbranch_execz .LBB101_308
; %bb.299:
	s_and_not1_b32 vcc_lo, exec_lo, s2
	s_cbranch_vccnz .LBB101_301
; %bb.300:
	scratch_load_b64 v[77:78], v81, off
	ds_load_b64 v[85:86], v80
	s_waitcnt vmcnt(0) lgkmcnt(0)
	v_mul_f64 v[77:78], v[77:78], v[85:86]
	s_cbranch_execz .LBB101_302
	s_branch .LBB101_303
.LBB101_301:
                                        ; implicit-def: $vgpr77_vgpr78
.LBB101_302:
	ds_load_b64 v[77:78], v80
.LBB101_303:
	s_and_saveexec_b32 s4, s1
	s_cbranch_execz .LBB101_307
; %bb.304:
	v_add_nc_u32_e64 v85, 0, 56
	v_add_nc_u32_e32 v86, -7, v0
	s_movk_i32 s5, 0x168
	s_mov_b32 s1, 0
.LBB101_305:                            ; =>This Inner Loop Header: Depth=1
	scratch_load_b64 v[87:88], v85, off
	v_dual_mov_b32 v89, s5 :: v_dual_add_nc_u32 v86, -1, v86
	v_add_nc_u32_e32 v85, 8, v85
	s_add_i32 s5, s5, 8
	ds_load_b64 v[89:90], v89
	v_cmp_eq_u32_e32 vcc_lo, 0, v86
	s_or_b32 s1, vcc_lo, s1
	s_waitcnt vmcnt(0) lgkmcnt(0)
	v_fma_f64 v[77:78], v[87:88], v[89:90], v[77:78]
	s_and_not1_b32 exec_lo, exec_lo, s1
	s_cbranch_execnz .LBB101_305
; %bb.306:
	s_or_b32 exec_lo, exec_lo, s1
.LBB101_307:
	s_delay_alu instid0(SALU_CYCLE_1)
	s_or_b32 exec_lo, exec_lo, s4
	v_mov_b32_e32 v85, 0
	ds_load_b64 v[85:86], v85 offset:48
	s_waitcnt lgkmcnt(0)
	v_mul_f64 v[77:78], v[77:78], v[85:86]
	scratch_store_b64 off, v[77:78], off offset:48
.LBB101_308:
	s_or_b32 exec_lo, exec_lo, s3
	scratch_load_b64 v[77:78], off, off offset:40
	v_cmp_lt_u32_e64 s1, 5, v0
	s_waitcnt vmcnt(0)
	ds_store_b64 v80, v[77:78]
	s_waitcnt lgkmcnt(0)
	s_waitcnt_vscnt null, 0x0
	s_barrier
	buffer_gl0_inv
	s_and_saveexec_b32 s3, s1
	s_cbranch_execz .LBB101_318
; %bb.309:
	s_and_not1_b32 vcc_lo, exec_lo, s2
	s_cbranch_vccnz .LBB101_311
; %bb.310:
	scratch_load_b64 v[77:78], v81, off
	ds_load_b64 v[85:86], v80
	s_waitcnt vmcnt(0) lgkmcnt(0)
	v_mul_f64 v[77:78], v[77:78], v[85:86]
	s_cbranch_execz .LBB101_312
	s_branch .LBB101_313
.LBB101_311:
                                        ; implicit-def: $vgpr77_vgpr78
.LBB101_312:
	ds_load_b64 v[77:78], v80
.LBB101_313:
	s_and_saveexec_b32 s4, s0
	s_cbranch_execz .LBB101_317
; %bb.314:
	v_add_nc_u32_e32 v85, -6, v0
	s_movk_i32 s5, 0x160
	s_mov_b32 s0, 0
.LBB101_315:                            ; =>This Inner Loop Header: Depth=1
	scratch_load_b64 v[86:87], v84, off
	v_dual_mov_b32 v88, s5 :: v_dual_add_nc_u32 v85, -1, v85
	v_add_nc_u32_e32 v84, 8, v84
	s_add_i32 s5, s5, 8
	ds_load_b64 v[88:89], v88
	v_cmp_eq_u32_e32 vcc_lo, 0, v85
	s_or_b32 s0, vcc_lo, s0
	s_waitcnt vmcnt(0) lgkmcnt(0)
	v_fma_f64 v[77:78], v[86:87], v[88:89], v[77:78]
	s_and_not1_b32 exec_lo, exec_lo, s0
	s_cbranch_execnz .LBB101_315
; %bb.316:
	s_or_b32 exec_lo, exec_lo, s0
.LBB101_317:
	s_delay_alu instid0(SALU_CYCLE_1)
	s_or_b32 exec_lo, exec_lo, s4
	v_mov_b32_e32 v84, 0
	ds_load_b64 v[84:85], v84 offset:40
	s_waitcnt lgkmcnt(0)
	v_mul_f64 v[77:78], v[77:78], v[84:85]
	scratch_store_b64 off, v[77:78], off offset:40
.LBB101_318:
	s_or_b32 exec_lo, exec_lo, s3
	scratch_load_b64 v[77:78], off, off offset:32
	v_cmp_lt_u32_e64 s0, 4, v0
	s_waitcnt vmcnt(0)
	ds_store_b64 v80, v[77:78]
	s_waitcnt lgkmcnt(0)
	s_waitcnt_vscnt null, 0x0
	s_barrier
	buffer_gl0_inv
	s_and_saveexec_b32 s3, s0
	s_cbranch_execz .LBB101_328
; %bb.319:
	s_and_not1_b32 vcc_lo, exec_lo, s2
	s_cbranch_vccnz .LBB101_321
; %bb.320:
	scratch_load_b64 v[77:78], v81, off
	ds_load_b64 v[84:85], v80
	s_waitcnt vmcnt(0) lgkmcnt(0)
	v_mul_f64 v[77:78], v[77:78], v[84:85]
	s_cbranch_execz .LBB101_322
	s_branch .LBB101_323
.LBB101_321:
                                        ; implicit-def: $vgpr77_vgpr78
.LBB101_322:
	ds_load_b64 v[77:78], v80
.LBB101_323:
	s_and_saveexec_b32 s4, s1
	s_cbranch_execz .LBB101_327
; %bb.324:
	v_add_nc_u32_e64 v84, 0, 40
	v_add_nc_u32_e32 v85, -5, v0
	s_movk_i32 s5, 0x158
	s_mov_b32 s1, 0
.LBB101_325:                            ; =>This Inner Loop Header: Depth=1
	scratch_load_b64 v[86:87], v84, off
	v_dual_mov_b32 v88, s5 :: v_dual_add_nc_u32 v85, -1, v85
	v_add_nc_u32_e32 v84, 8, v84
	s_add_i32 s5, s5, 8
	ds_load_b64 v[88:89], v88
	v_cmp_eq_u32_e32 vcc_lo, 0, v85
	s_or_b32 s1, vcc_lo, s1
	s_waitcnt vmcnt(0) lgkmcnt(0)
	v_fma_f64 v[77:78], v[86:87], v[88:89], v[77:78]
	s_and_not1_b32 exec_lo, exec_lo, s1
	s_cbranch_execnz .LBB101_325
; %bb.326:
	s_or_b32 exec_lo, exec_lo, s1
.LBB101_327:
	s_delay_alu instid0(SALU_CYCLE_1)
	s_or_b32 exec_lo, exec_lo, s4
	v_mov_b32_e32 v84, 0
	ds_load_b64 v[84:85], v84 offset:32
	s_waitcnt lgkmcnt(0)
	v_mul_f64 v[77:78], v[77:78], v[84:85]
	scratch_store_b64 off, v[77:78], off offset:32
.LBB101_328:
	s_or_b32 exec_lo, exec_lo, s3
	scratch_load_b64 v[77:78], off, off offset:24
	v_cmp_lt_u32_e64 s1, 3, v0
	s_waitcnt vmcnt(0)
	ds_store_b64 v80, v[77:78]
	s_waitcnt lgkmcnt(0)
	s_waitcnt_vscnt null, 0x0
	s_barrier
	buffer_gl0_inv
	s_and_saveexec_b32 s3, s1
	s_cbranch_execz .LBB101_338
; %bb.329:
	s_and_not1_b32 vcc_lo, exec_lo, s2
	s_cbranch_vccnz .LBB101_331
; %bb.330:
	scratch_load_b64 v[77:78], v81, off
	ds_load_b64 v[84:85], v80
	s_waitcnt vmcnt(0) lgkmcnt(0)
	v_mul_f64 v[77:78], v[77:78], v[84:85]
	s_cbranch_execz .LBB101_332
	s_branch .LBB101_333
.LBB101_331:
                                        ; implicit-def: $vgpr77_vgpr78
.LBB101_332:
	ds_load_b64 v[77:78], v80
.LBB101_333:
	s_and_saveexec_b32 s4, s0
	s_cbranch_execz .LBB101_337
; %bb.334:
	v_add_nc_u32_e32 v84, -4, v0
	s_movk_i32 s5, 0x150
	s_mov_b32 s0, 0
.LBB101_335:                            ; =>This Inner Loop Header: Depth=1
	scratch_load_b64 v[85:86], v83, off
	v_dual_mov_b32 v87, s5 :: v_dual_add_nc_u32 v84, -1, v84
	v_add_nc_u32_e32 v83, 8, v83
	s_add_i32 s5, s5, 8
	ds_load_b64 v[87:88], v87
	v_cmp_eq_u32_e32 vcc_lo, 0, v84
	s_or_b32 s0, vcc_lo, s0
	s_waitcnt vmcnt(0) lgkmcnt(0)
	v_fma_f64 v[77:78], v[85:86], v[87:88], v[77:78]
	s_and_not1_b32 exec_lo, exec_lo, s0
	s_cbranch_execnz .LBB101_335
; %bb.336:
	s_or_b32 exec_lo, exec_lo, s0
.LBB101_337:
	s_delay_alu instid0(SALU_CYCLE_1)
	s_or_b32 exec_lo, exec_lo, s4
	v_mov_b32_e32 v83, 0
	ds_load_b64 v[83:84], v83 offset:24
	s_waitcnt lgkmcnt(0)
	v_mul_f64 v[77:78], v[77:78], v[83:84]
	scratch_store_b64 off, v[77:78], off offset:24
.LBB101_338:
	s_or_b32 exec_lo, exec_lo, s3
	scratch_load_b64 v[77:78], off, off offset:16
	v_cmp_lt_u32_e64 s0, 2, v0
	s_waitcnt vmcnt(0)
	ds_store_b64 v80, v[77:78]
	s_waitcnt lgkmcnt(0)
	s_waitcnt_vscnt null, 0x0
	s_barrier
	buffer_gl0_inv
	s_and_saveexec_b32 s3, s0
	s_cbranch_execz .LBB101_348
; %bb.339:
	s_and_not1_b32 vcc_lo, exec_lo, s2
	s_cbranch_vccnz .LBB101_341
; %bb.340:
	scratch_load_b64 v[77:78], v81, off
	ds_load_b64 v[83:84], v80
	s_waitcnt vmcnt(0) lgkmcnt(0)
	v_mul_f64 v[77:78], v[77:78], v[83:84]
	s_cbranch_execz .LBB101_342
	s_branch .LBB101_343
.LBB101_341:
                                        ; implicit-def: $vgpr77_vgpr78
.LBB101_342:
	ds_load_b64 v[77:78], v80
.LBB101_343:
	s_and_saveexec_b32 s4, s1
	s_cbranch_execz .LBB101_347
; %bb.344:
	v_add_nc_u32_e64 v83, 0, 24
	v_add_nc_u32_e32 v84, -3, v0
	s_movk_i32 s5, 0x148
	s_mov_b32 s1, 0
.LBB101_345:                            ; =>This Inner Loop Header: Depth=1
	scratch_load_b64 v[85:86], v83, off
	v_dual_mov_b32 v87, s5 :: v_dual_add_nc_u32 v84, -1, v84
	v_add_nc_u32_e32 v83, 8, v83
	s_add_i32 s5, s5, 8
	ds_load_b64 v[87:88], v87
	v_cmp_eq_u32_e32 vcc_lo, 0, v84
	s_or_b32 s1, vcc_lo, s1
	s_waitcnt vmcnt(0) lgkmcnt(0)
	v_fma_f64 v[77:78], v[85:86], v[87:88], v[77:78]
	s_and_not1_b32 exec_lo, exec_lo, s1
	s_cbranch_execnz .LBB101_345
; %bb.346:
	s_or_b32 exec_lo, exec_lo, s1
.LBB101_347:
	s_delay_alu instid0(SALU_CYCLE_1)
	s_or_b32 exec_lo, exec_lo, s4
	v_mov_b32_e32 v83, 0
	ds_load_b64 v[83:84], v83 offset:16
	s_waitcnt lgkmcnt(0)
	v_mul_f64 v[77:78], v[77:78], v[83:84]
	scratch_store_b64 off, v[77:78], off offset:16
.LBB101_348:
	s_or_b32 exec_lo, exec_lo, s3
	scratch_load_b64 v[77:78], off, off offset:8
	v_cmp_lt_u32_e64 s1, 1, v0
	s_waitcnt vmcnt(0)
	ds_store_b64 v80, v[77:78]
	s_waitcnt lgkmcnt(0)
	s_waitcnt_vscnt null, 0x0
	s_barrier
	buffer_gl0_inv
	s_and_saveexec_b32 s3, s1
	s_cbranch_execz .LBB101_358
; %bb.349:
	s_and_not1_b32 vcc_lo, exec_lo, s2
	s_cbranch_vccnz .LBB101_351
; %bb.350:
	scratch_load_b64 v[77:78], v81, off
	ds_load_b64 v[83:84], v80
	s_waitcnt vmcnt(0) lgkmcnt(0)
	v_mul_f64 v[77:78], v[77:78], v[83:84]
	s_cbranch_execz .LBB101_352
	s_branch .LBB101_353
.LBB101_351:
                                        ; implicit-def: $vgpr77_vgpr78
.LBB101_352:
	ds_load_b64 v[77:78], v80
.LBB101_353:
	s_and_saveexec_b32 s4, s0
	s_cbranch_execz .LBB101_357
; %bb.354:
	v_add_nc_u32_e32 v83, -2, v0
	s_movk_i32 s5, 0x140
	s_mov_b32 s0, 0
.LBB101_355:                            ; =>This Inner Loop Header: Depth=1
	scratch_load_b64 v[84:85], v82, off
	v_dual_mov_b32 v86, s5 :: v_dual_add_nc_u32 v83, -1, v83
	v_add_nc_u32_e32 v82, 8, v82
	s_add_i32 s5, s5, 8
	ds_load_b64 v[86:87], v86
	v_cmp_eq_u32_e32 vcc_lo, 0, v83
	s_or_b32 s0, vcc_lo, s0
	s_waitcnt vmcnt(0) lgkmcnt(0)
	v_fma_f64 v[77:78], v[84:85], v[86:87], v[77:78]
	s_and_not1_b32 exec_lo, exec_lo, s0
	s_cbranch_execnz .LBB101_355
; %bb.356:
	s_or_b32 exec_lo, exec_lo, s0
.LBB101_357:
	s_delay_alu instid0(SALU_CYCLE_1)
	s_or_b32 exec_lo, exec_lo, s4
	v_mov_b32_e32 v82, 0
	ds_load_b64 v[82:83], v82 offset:8
	s_waitcnt lgkmcnt(0)
	v_mul_f64 v[77:78], v[77:78], v[82:83]
	scratch_store_b64 off, v[77:78], off offset:8
.LBB101_358:
	s_or_b32 exec_lo, exec_lo, s3
	scratch_load_b64 v[77:78], off, off
	s_mov_b32 s0, 0
	s_mov_b32 s3, exec_lo
	s_waitcnt vmcnt(0)
	ds_store_b64 v80, v[77:78]
	s_waitcnt lgkmcnt(0)
	s_waitcnt_vscnt null, 0x0
	s_barrier
	buffer_gl0_inv
	v_cmpx_ne_u32_e32 0, v0
	s_cbranch_execz .LBB101_368
; %bb.359:
	s_and_not1_b32 vcc_lo, exec_lo, s2
	s_cbranch_vccnz .LBB101_361
; %bb.360:
	scratch_load_b64 v[77:78], v81, off
	ds_load_b64 v[82:83], v80
	s_waitcnt vmcnt(0) lgkmcnt(0)
	v_mul_f64 v[77:78], v[77:78], v[82:83]
	s_cbranch_execz .LBB101_362
	s_branch .LBB101_363
.LBB101_361:
                                        ; implicit-def: $vgpr77_vgpr78
.LBB101_362:
	ds_load_b64 v[77:78], v80
.LBB101_363:
	s_and_saveexec_b32 s4, s1
	s_cbranch_execz .LBB101_367
; %bb.364:
	v_or_b32_e64 v82, 0, 8
	v_add_nc_u32_e32 v83, -1, v0
	s_movk_i32 s5, 0x138
	s_mov_b32 s1, 0
.LBB101_365:                            ; =>This Inner Loop Header: Depth=1
	scratch_load_b64 v[84:85], v82, off
	v_dual_mov_b32 v86, s5 :: v_dual_add_nc_u32 v83, -1, v83
	v_add_nc_u32_e32 v82, 8, v82
	s_add_i32 s5, s5, 8
	ds_load_b64 v[86:87], v86
	v_cmp_eq_u32_e32 vcc_lo, 0, v83
	s_or_b32 s1, vcc_lo, s1
	s_waitcnt vmcnt(0) lgkmcnt(0)
	v_fma_f64 v[77:78], v[84:85], v[86:87], v[77:78]
	s_and_not1_b32 exec_lo, exec_lo, s1
	s_cbranch_execnz .LBB101_365
; %bb.366:
	s_or_b32 exec_lo, exec_lo, s1
.LBB101_367:
	s_delay_alu instid0(SALU_CYCLE_1)
	s_or_b32 exec_lo, exec_lo, s4
	v_mov_b32_e32 v82, 0
	ds_load_b64 v[82:83], v82
	s_waitcnt lgkmcnt(0)
	v_mul_f64 v[77:78], v[77:78], v[82:83]
	scratch_store_b64 off, v[77:78], off
.LBB101_368:
	s_or_b32 exec_lo, exec_lo, s3
.LBB101_369:
	s_delay_alu instid0(SALU_CYCLE_1)
	s_and_b32 vcc_lo, exec_lo, s0
	s_cbranch_vccz .LBB101_735
; %bb.370:
	scratch_load_b64 v[77:78], off, off offset:8
	v_cmp_eq_u32_e64 s0, 0, v0
	s_waitcnt vmcnt(0)
	ds_store_b64 v80, v[77:78]
	s_waitcnt lgkmcnt(0)
	s_waitcnt_vscnt null, 0x0
	s_barrier
	buffer_gl0_inv
	s_and_saveexec_b32 s1, s0
	s_cbranch_execz .LBB101_376
; %bb.371:
	s_and_b32 vcc_lo, exec_lo, s2
	s_cbranch_vccz .LBB101_373
; %bb.372:
	scratch_load_b64 v[77:78], v81, off
	ds_load_b64 v[82:83], v80
	s_waitcnt vmcnt(0) lgkmcnt(0)
	v_mul_f64 v[77:78], v[77:78], v[82:83]
	s_cbranch_execz .LBB101_374
	s_branch .LBB101_375
.LBB101_373:
                                        ; implicit-def: $vgpr77_vgpr78
.LBB101_374:
	ds_load_b64 v[77:78], v80
.LBB101_375:
	v_mov_b32_e32 v82, 0
	ds_load_b64 v[82:83], v82 offset:8
	s_waitcnt lgkmcnt(0)
	v_mul_f64 v[77:78], v[77:78], v[82:83]
	scratch_store_b64 off, v[77:78], off offset:8
.LBB101_376:
	s_or_b32 exec_lo, exec_lo, s1
	scratch_load_b64 v[77:78], off, off offset:16
	v_cndmask_b32_e64 v82, 0, 1, s2
	s_mov_b32 s1, exec_lo
	s_waitcnt vmcnt(0)
	ds_store_b64 v80, v[77:78]
	s_waitcnt lgkmcnt(0)
	s_waitcnt_vscnt null, 0x0
	s_barrier
	buffer_gl0_inv
	v_cmpx_gt_u32_e32 2, v0
	s_cbranch_execz .LBB101_384
; %bb.377:
	s_and_not1_b32 vcc_lo, exec_lo, s2
	s_cbranch_vccnz .LBB101_379
; %bb.378:
	scratch_load_b64 v[77:78], v81, off
	ds_load_b64 v[83:84], v80
	s_waitcnt vmcnt(0) lgkmcnt(0)
	v_mul_f64 v[77:78], v[77:78], v[83:84]
	s_cbranch_execz .LBB101_380
	s_branch .LBB101_381
.LBB101_379:
                                        ; implicit-def: $vgpr77_vgpr78
.LBB101_380:
	ds_load_b64 v[77:78], v80
.LBB101_381:
	s_and_saveexec_b32 s2, s0
	s_cbranch_execz .LBB101_383
; %bb.382:
	scratch_load_b64 v[83:84], v81, off offset:8
	ds_load_b64 v[85:86], v80 offset:8
	s_waitcnt vmcnt(0) lgkmcnt(0)
	v_fma_f64 v[77:78], v[83:84], v[85:86], v[77:78]
.LBB101_383:
	s_or_b32 exec_lo, exec_lo, s2
	v_mov_b32_e32 v83, 0
	ds_load_b64 v[83:84], v83 offset:16
	s_waitcnt lgkmcnt(0)
	v_mul_f64 v[77:78], v[77:78], v[83:84]
	scratch_store_b64 off, v[77:78], off offset:16
.LBB101_384:
	s_or_b32 exec_lo, exec_lo, s1
	scratch_load_b64 v[77:78], off, off offset:24
	s_mov_b32 s1, exec_lo
	s_waitcnt vmcnt(0)
	ds_store_b64 v80, v[77:78]
	s_waitcnt lgkmcnt(0)
	s_waitcnt_vscnt null, 0x0
	s_barrier
	buffer_gl0_inv
	v_cmpx_gt_u32_e32 3, v0
	s_cbranch_execz .LBB101_394
; %bb.385:
	v_cmp_ne_u32_e32 vcc_lo, 1, v82
	s_cbranch_vccnz .LBB101_387
; %bb.386:
	scratch_load_b64 v[77:78], v81, off
	ds_load_b64 v[83:84], v80
	s_waitcnt vmcnt(0) lgkmcnt(0)
	v_mul_f64 v[77:78], v[77:78], v[83:84]
	s_cbranch_execz .LBB101_388
	s_branch .LBB101_389
.LBB101_387:
                                        ; implicit-def: $vgpr77_vgpr78
.LBB101_388:
	ds_load_b64 v[77:78], v80
.LBB101_389:
	s_mov_b32 s2, exec_lo
	v_cmpx_ne_u32_e32 2, v0
	s_cbranch_execz .LBB101_393
; %bb.390:
	scratch_load_b64 v[83:84], v81, off offset:8
	ds_load_b64 v[85:86], v80 offset:8
	s_waitcnt vmcnt(0) lgkmcnt(0)
	v_fma_f64 v[77:78], v[83:84], v[85:86], v[77:78]
	s_and_saveexec_b32 s3, s0
	s_cbranch_execz .LBB101_392
; %bb.391:
	scratch_load_b64 v[83:84], off, off offset:16
	v_mov_b32_e32 v85, 0
	ds_load_b64 v[85:86], v85 offset:320
	s_waitcnt vmcnt(0) lgkmcnt(0)
	v_fma_f64 v[77:78], v[83:84], v[85:86], v[77:78]
.LBB101_392:
	s_or_b32 exec_lo, exec_lo, s3
.LBB101_393:
	s_delay_alu instid0(SALU_CYCLE_1)
	s_or_b32 exec_lo, exec_lo, s2
	v_mov_b32_e32 v83, 0
	ds_load_b64 v[83:84], v83 offset:24
	s_waitcnt lgkmcnt(0)
	v_mul_f64 v[77:78], v[77:78], v[83:84]
	scratch_store_b64 off, v[77:78], off offset:24
.LBB101_394:
	s_or_b32 exec_lo, exec_lo, s1
	scratch_load_b64 v[77:78], off, off offset:32
	s_mov_b32 s0, exec_lo
	s_waitcnt vmcnt(0)
	ds_store_b64 v80, v[77:78]
	s_waitcnt lgkmcnt(0)
	s_waitcnt_vscnt null, 0x0
	s_barrier
	buffer_gl0_inv
	v_cmpx_gt_u32_e32 4, v0
	s_cbranch_execz .LBB101_404
; %bb.395:
	v_cmp_ne_u32_e32 vcc_lo, 1, v82
	s_cbranch_vccnz .LBB101_397
; %bb.396:
	scratch_load_b64 v[77:78], v81, off
	ds_load_b64 v[83:84], v80
	s_waitcnt vmcnt(0) lgkmcnt(0)
	v_mul_f64 v[77:78], v[77:78], v[83:84]
	s_cbranch_execz .LBB101_398
	s_branch .LBB101_399
.LBB101_397:
                                        ; implicit-def: $vgpr77_vgpr78
.LBB101_398:
	ds_load_b64 v[77:78], v80
.LBB101_399:
	s_mov_b32 s1, exec_lo
	v_cmpx_ne_u32_e32 3, v0
	s_cbranch_execz .LBB101_403
; %bb.400:
	v_add_nc_u32_e32 v83, 0x138, v79
	v_add3_u32 v84, 0, v79, 8
	v_mov_b32_e32 v85, v0
	s_mov_b32 s2, 0
.LBB101_401:                            ; =>This Inner Loop Header: Depth=1
	scratch_load_b64 v[86:87], v84, off
	ds_load_b64 v[88:89], v83
	v_add_nc_u32_e32 v85, 1, v85
	v_add_nc_u32_e32 v83, 8, v83
	v_add_nc_u32_e32 v84, 8, v84
	s_delay_alu instid0(VALU_DEP_3)
	v_cmp_lt_u32_e32 vcc_lo, 2, v85
	s_or_b32 s2, vcc_lo, s2
	s_waitcnt vmcnt(0) lgkmcnt(0)
	v_fma_f64 v[77:78], v[86:87], v[88:89], v[77:78]
	s_and_not1_b32 exec_lo, exec_lo, s2
	s_cbranch_execnz .LBB101_401
; %bb.402:
	s_or_b32 exec_lo, exec_lo, s2
.LBB101_403:
	s_delay_alu instid0(SALU_CYCLE_1)
	s_or_b32 exec_lo, exec_lo, s1
	v_mov_b32_e32 v83, 0
	ds_load_b64 v[83:84], v83 offset:32
	s_waitcnt lgkmcnt(0)
	v_mul_f64 v[77:78], v[77:78], v[83:84]
	scratch_store_b64 off, v[77:78], off offset:32
.LBB101_404:
	s_or_b32 exec_lo, exec_lo, s0
	scratch_load_b64 v[77:78], off, off offset:40
	s_mov_b32 s0, exec_lo
	s_waitcnt vmcnt(0)
	ds_store_b64 v80, v[77:78]
	s_waitcnt lgkmcnt(0)
	s_waitcnt_vscnt null, 0x0
	s_barrier
	buffer_gl0_inv
	v_cmpx_gt_u32_e32 5, v0
	s_cbranch_execz .LBB101_414
; %bb.405:
	v_cmp_ne_u32_e32 vcc_lo, 1, v82
	s_cbranch_vccnz .LBB101_407
; %bb.406:
	scratch_load_b64 v[77:78], v81, off
	ds_load_b64 v[83:84], v80
	s_waitcnt vmcnt(0) lgkmcnt(0)
	v_mul_f64 v[77:78], v[77:78], v[83:84]
	s_cbranch_execz .LBB101_408
	s_branch .LBB101_409
.LBB101_407:
                                        ; implicit-def: $vgpr77_vgpr78
.LBB101_408:
	ds_load_b64 v[77:78], v80
.LBB101_409:
	s_mov_b32 s1, exec_lo
	v_cmpx_ne_u32_e32 4, v0
	s_cbranch_execz .LBB101_413
; %bb.410:
	v_add_nc_u32_e32 v83, 0x138, v79
	v_add3_u32 v84, 0, v79, 8
	v_mov_b32_e32 v85, v0
	s_mov_b32 s2, 0
.LBB101_411:                            ; =>This Inner Loop Header: Depth=1
	scratch_load_b64 v[86:87], v84, off
	ds_load_b64 v[88:89], v83
	v_add_nc_u32_e32 v85, 1, v85
	v_add_nc_u32_e32 v83, 8, v83
	v_add_nc_u32_e32 v84, 8, v84
	s_delay_alu instid0(VALU_DEP_3)
	v_cmp_lt_u32_e32 vcc_lo, 3, v85
	s_or_b32 s2, vcc_lo, s2
	s_waitcnt vmcnt(0) lgkmcnt(0)
	v_fma_f64 v[77:78], v[86:87], v[88:89], v[77:78]
	s_and_not1_b32 exec_lo, exec_lo, s2
	s_cbranch_execnz .LBB101_411
; %bb.412:
	s_or_b32 exec_lo, exec_lo, s2
.LBB101_413:
	s_delay_alu instid0(SALU_CYCLE_1)
	s_or_b32 exec_lo, exec_lo, s1
	v_mov_b32_e32 v83, 0
	ds_load_b64 v[83:84], v83 offset:40
	s_waitcnt lgkmcnt(0)
	v_mul_f64 v[77:78], v[77:78], v[83:84]
	scratch_store_b64 off, v[77:78], off offset:40
.LBB101_414:
	;; [unrolled: 58-line block ×32, first 2 shown]
	s_or_b32 exec_lo, exec_lo, s0
	scratch_load_b64 v[77:78], off, off offset:288
	v_cmp_gt_u32_e64 s0, 36, v0
	s_waitcnt vmcnt(0)
	ds_store_b64 v80, v[77:78]
	s_waitcnt lgkmcnt(0)
	s_waitcnt_vscnt null, 0x0
	s_barrier
	buffer_gl0_inv
	s_and_saveexec_b32 s1, s0
	s_cbranch_execz .LBB101_724
; %bb.715:
	v_cmp_ne_u32_e32 vcc_lo, 1, v82
	s_cbranch_vccnz .LBB101_717
; %bb.716:
	scratch_load_b64 v[77:78], v81, off
	ds_load_b64 v[83:84], v80
	s_waitcnt vmcnt(0) lgkmcnt(0)
	v_mul_f64 v[77:78], v[77:78], v[83:84]
	s_cbranch_execz .LBB101_718
	s_branch .LBB101_719
.LBB101_717:
                                        ; implicit-def: $vgpr77_vgpr78
.LBB101_718:
	ds_load_b64 v[77:78], v80
.LBB101_719:
	s_mov_b32 s2, exec_lo
	v_cmpx_ne_u32_e32 35, v0
	s_cbranch_execz .LBB101_723
; %bb.720:
	v_add_nc_u32_e32 v83, 0x138, v79
	v_add3_u32 v84, 0, v79, 8
	v_mov_b32_e32 v85, v0
	s_mov_b32 s3, 0
.LBB101_721:                            ; =>This Inner Loop Header: Depth=1
	scratch_load_b64 v[86:87], v84, off
	ds_load_b64 v[88:89], v83
	v_add_nc_u32_e32 v85, 1, v85
	v_add_nc_u32_e32 v83, 8, v83
	;; [unrolled: 1-line block ×3, first 2 shown]
	s_delay_alu instid0(VALU_DEP_3)
	v_cmp_lt_u32_e32 vcc_lo, 34, v85
	s_or_b32 s3, vcc_lo, s3
	s_waitcnt vmcnt(0) lgkmcnt(0)
	v_fma_f64 v[77:78], v[86:87], v[88:89], v[77:78]
	s_and_not1_b32 exec_lo, exec_lo, s3
	s_cbranch_execnz .LBB101_721
; %bb.722:
	s_or_b32 exec_lo, exec_lo, s3
.LBB101_723:
	s_delay_alu instid0(SALU_CYCLE_1)
	s_or_b32 exec_lo, exec_lo, s2
	v_mov_b32_e32 v83, 0
	ds_load_b64 v[83:84], v83 offset:288
	s_waitcnt lgkmcnt(0)
	v_mul_f64 v[77:78], v[77:78], v[83:84]
	scratch_store_b64 off, v[77:78], off offset:288
.LBB101_724:
	s_or_b32 exec_lo, exec_lo, s1
	scratch_load_b64 v[77:78], off, off offset:296
	s_mov_b32 s1, exec_lo
	s_waitcnt vmcnt(0)
	ds_store_b64 v80, v[77:78]
	s_waitcnt lgkmcnt(0)
	s_waitcnt_vscnt null, 0x0
	s_barrier
	buffer_gl0_inv
	v_cmpx_ne_u32_e32 37, v0
	s_cbranch_execz .LBB101_734
; %bb.725:
	v_cmp_ne_u32_e32 vcc_lo, 1, v82
	s_cbranch_vccnz .LBB101_727
; %bb.726:
	scratch_load_b64 v[77:78], v81, off
	ds_load_b64 v[81:82], v80
	s_waitcnt vmcnt(0) lgkmcnt(0)
	v_mul_f64 v[77:78], v[77:78], v[81:82]
	s_cbranch_execz .LBB101_728
	s_branch .LBB101_729
.LBB101_727:
                                        ; implicit-def: $vgpr77_vgpr78
.LBB101_728:
	ds_load_b64 v[77:78], v80
.LBB101_729:
	s_and_saveexec_b32 s2, s0
	s_cbranch_execz .LBB101_733
; %bb.730:
	v_add_nc_u32_e32 v80, 0x138, v79
	v_add3_u32 v79, 0, v79, 8
	s_mov_b32 s0, 0
.LBB101_731:                            ; =>This Inner Loop Header: Depth=1
	scratch_load_b64 v[81:82], v79, off
	ds_load_b64 v[83:84], v80
	v_add_nc_u32_e32 v0, 1, v0
	v_add_nc_u32_e32 v80, 8, v80
	;; [unrolled: 1-line block ×3, first 2 shown]
	s_delay_alu instid0(VALU_DEP_3)
	v_cmp_lt_u32_e32 vcc_lo, 35, v0
	s_or_b32 s0, vcc_lo, s0
	s_waitcnt vmcnt(0) lgkmcnt(0)
	v_fma_f64 v[77:78], v[81:82], v[83:84], v[77:78]
	s_and_not1_b32 exec_lo, exec_lo, s0
	s_cbranch_execnz .LBB101_731
; %bb.732:
	s_or_b32 exec_lo, exec_lo, s0
.LBB101_733:
	s_delay_alu instid0(SALU_CYCLE_1)
	s_or_b32 exec_lo, exec_lo, s2
	v_mov_b32_e32 v0, 0
	ds_load_b64 v[79:80], v0 offset:296
	s_waitcnt lgkmcnt(0)
	v_mul_f64 v[77:78], v[77:78], v[79:80]
	scratch_store_b64 off, v[77:78], off offset:296
.LBB101_734:
	s_or_b32 exec_lo, exec_lo, s1
.LBB101_735:
	s_clause 0x9
	scratch_load_b128 v[77:80], off, off
	scratch_load_b128 v[81:84], off, off offset:16
	scratch_load_b128 v[85:88], off, off offset:32
	scratch_load_b128 v[89:92], off, off offset:48
	scratch_load_b128 v[93:96], off, off offset:64
	scratch_load_b128 v[97:100], off, off offset:80
	scratch_load_b128 v[101:104], off, off offset:96
	scratch_load_b128 v[105:108], off, off offset:112
	scratch_load_b128 v[109:112], off, off offset:128
	scratch_load_b128 v[113:116], off, off offset:144
	s_waitcnt vmcnt(9)
	s_clause 0x1
	global_store_b64 v[9:10], v[77:78], off
	global_store_b64 v[11:12], v[79:80], off
	s_clause 0x1
	scratch_load_b128 v[9:12], off, off offset:160
	scratch_load_b128 v[77:80], off, off offset:176
	s_waitcnt vmcnt(10)
	s_clause 0x1
	global_store_b64 v[13:14], v[81:82], off
	global_store_b64 v[15:16], v[83:84], off
	s_clause 0x1
	scratch_load_b128 v[13:16], off, off offset:192
	scratch_load_b128 v[81:84], off, off offset:208
	;; [unrolled: 7-line block ×4, first 2 shown]
	s_waitcnt vmcnt(13)
	s_clause 0x1
	global_store_b64 v[17:18], v[93:94], off
	global_store_b64 v[19:20], v[95:96], off
	scratch_load_b128 v[17:20], off, off offset:288
	s_waitcnt vmcnt(13)
	s_clause 0x1
	global_store_b64 v[23:24], v[97:98], off
	global_store_b64 v[31:32], v[99:100], off
	s_waitcnt vmcnt(12)
	s_clause 0x1
	global_store_b64 v[33:34], v[101:102], off
	global_store_b64 v[35:36], v[103:104], off
	;; [unrolled: 4-line block ×14, first 2 shown]
.LBB101_736:
	s_endpgm
	.section	.rodata,"a",@progbits
	.p2align	6, 0x0
	.amdhsa_kernel _ZN9rocsolver6v33100L18trti2_kernel_smallILi38EdPKPdEEv13rocblas_fill_17rocblas_diagonal_T1_iil
		.amdhsa_group_segment_fixed_size 608
		.amdhsa_private_segment_fixed_size 320
		.amdhsa_kernarg_size 32
		.amdhsa_user_sgpr_count 15
		.amdhsa_user_sgpr_dispatch_ptr 0
		.amdhsa_user_sgpr_queue_ptr 0
		.amdhsa_user_sgpr_kernarg_segment_ptr 1
		.amdhsa_user_sgpr_dispatch_id 0
		.amdhsa_user_sgpr_private_segment_size 0
		.amdhsa_wavefront_size32 1
		.amdhsa_uses_dynamic_stack 0
		.amdhsa_enable_private_segment 1
		.amdhsa_system_sgpr_workgroup_id_x 1
		.amdhsa_system_sgpr_workgroup_id_y 0
		.amdhsa_system_sgpr_workgroup_id_z 0
		.amdhsa_system_sgpr_workgroup_info 0
		.amdhsa_system_vgpr_workitem_id 0
		.amdhsa_next_free_vgpr 122
		.amdhsa_next_free_sgpr 16
		.amdhsa_reserve_vcc 1
		.amdhsa_float_round_mode_32 0
		.amdhsa_float_round_mode_16_64 0
		.amdhsa_float_denorm_mode_32 3
		.amdhsa_float_denorm_mode_16_64 3
		.amdhsa_dx10_clamp 1
		.amdhsa_ieee_mode 1
		.amdhsa_fp16_overflow 0
		.amdhsa_workgroup_processor_mode 1
		.amdhsa_memory_ordered 1
		.amdhsa_forward_progress 0
		.amdhsa_shared_vgpr_count 0
		.amdhsa_exception_fp_ieee_invalid_op 0
		.amdhsa_exception_fp_denorm_src 0
		.amdhsa_exception_fp_ieee_div_zero 0
		.amdhsa_exception_fp_ieee_overflow 0
		.amdhsa_exception_fp_ieee_underflow 0
		.amdhsa_exception_fp_ieee_inexact 0
		.amdhsa_exception_int_div_zero 0
	.end_amdhsa_kernel
	.section	.text._ZN9rocsolver6v33100L18trti2_kernel_smallILi38EdPKPdEEv13rocblas_fill_17rocblas_diagonal_T1_iil,"axG",@progbits,_ZN9rocsolver6v33100L18trti2_kernel_smallILi38EdPKPdEEv13rocblas_fill_17rocblas_diagonal_T1_iil,comdat
.Lfunc_end101:
	.size	_ZN9rocsolver6v33100L18trti2_kernel_smallILi38EdPKPdEEv13rocblas_fill_17rocblas_diagonal_T1_iil, .Lfunc_end101-_ZN9rocsolver6v33100L18trti2_kernel_smallILi38EdPKPdEEv13rocblas_fill_17rocblas_diagonal_T1_iil
                                        ; -- End function
	.section	.AMDGPU.csdata,"",@progbits
; Kernel info:
; codeLenInByte = 20680
; NumSgprs: 18
; NumVgprs: 122
; ScratchSize: 320
; MemoryBound: 0
; FloatMode: 240
; IeeeMode: 1
; LDSByteSize: 608 bytes/workgroup (compile time only)
; SGPRBlocks: 2
; VGPRBlocks: 15
; NumSGPRsForWavesPerEU: 18
; NumVGPRsForWavesPerEU: 122
; Occupancy: 10
; WaveLimiterHint : 1
; COMPUTE_PGM_RSRC2:SCRATCH_EN: 1
; COMPUTE_PGM_RSRC2:USER_SGPR: 15
; COMPUTE_PGM_RSRC2:TRAP_HANDLER: 0
; COMPUTE_PGM_RSRC2:TGID_X_EN: 1
; COMPUTE_PGM_RSRC2:TGID_Y_EN: 0
; COMPUTE_PGM_RSRC2:TGID_Z_EN: 0
; COMPUTE_PGM_RSRC2:TIDIG_COMP_CNT: 0
	.section	.text._ZN9rocsolver6v33100L18trti2_kernel_smallILi39EdPKPdEEv13rocblas_fill_17rocblas_diagonal_T1_iil,"axG",@progbits,_ZN9rocsolver6v33100L18trti2_kernel_smallILi39EdPKPdEEv13rocblas_fill_17rocblas_diagonal_T1_iil,comdat
	.globl	_ZN9rocsolver6v33100L18trti2_kernel_smallILi39EdPKPdEEv13rocblas_fill_17rocblas_diagonal_T1_iil ; -- Begin function _ZN9rocsolver6v33100L18trti2_kernel_smallILi39EdPKPdEEv13rocblas_fill_17rocblas_diagonal_T1_iil
	.p2align	8
	.type	_ZN9rocsolver6v33100L18trti2_kernel_smallILi39EdPKPdEEv13rocblas_fill_17rocblas_diagonal_T1_iil,@function
_ZN9rocsolver6v33100L18trti2_kernel_smallILi39EdPKPdEEv13rocblas_fill_17rocblas_diagonal_T1_iil: ; @_ZN9rocsolver6v33100L18trti2_kernel_smallILi39EdPKPdEEv13rocblas_fill_17rocblas_diagonal_T1_iil
; %bb.0:
	s_mov_b32 s2, exec_lo
	v_cmpx_gt_u32_e32 39, v0
	s_cbranch_execz .LBB102_756
; %bb.1:
	s_clause 0x1
	s_load_b64 s[4:5], s[0:1], 0x10
	s_load_b128 s[0:3], s[0:1], 0x0
	s_mov_b32 s6, s15
	s_ashr_i32 s7, s15, 31
	v_lshlrev_b32_e32 v81, 3, v0
	s_lshl_b64 s[6:7], s[6:7], 3
	s_waitcnt lgkmcnt(0)
	s_ashr_i32 s9, s4, 31
	s_add_u32 s2, s2, s6
	s_addc_u32 s3, s3, s7
	v_add3_u32 v9, s5, s5, v0
	s_load_b64 s[2:3], s[2:3], 0x0
	s_mov_b32 s8, s4
	s_mov_b32 s6, s5
	s_lshl_b64 s[8:9], s[8:9], 3
	v_add_nc_u32_e32 v11, s5, v9
	v_ashrrev_i32_e32 v10, 31, v9
	s_delay_alu instid0(VALU_DEP_2) | instskip(SKIP_1) | instid1(VALU_DEP_3)
	v_add_nc_u32_e32 v13, s5, v11
	v_ashrrev_i32_e32 v12, 31, v11
	v_lshlrev_b64 v[9:10], 3, v[9:10]
	s_delay_alu instid0(VALU_DEP_3) | instskip(NEXT) | instid1(VALU_DEP_3)
	v_add_nc_u32_e32 v15, s5, v13
	v_lshlrev_b64 v[11:12], 3, v[11:12]
	v_ashrrev_i32_e32 v14, 31, v13
	s_delay_alu instid0(VALU_DEP_3)
	v_ashrrev_i32_e32 v16, 31, v15
	s_waitcnt lgkmcnt(0)
	s_add_u32 s2, s2, s8
	s_addc_u32 s3, s3, s9
	v_add_co_u32 v7, s4, s2, v81
	s_ashr_i32 s7, s5, 31
	v_add_co_ci_u32_e64 v8, null, s3, 0, s4
	s_lshl_b64 s[6:7], s[6:7], 3
	v_lshlrev_b64 v[16:17], 3, v[15:16]
	v_add_co_u32 v5, vcc_lo, v7, s6
	s_delay_alu instid0(VALU_DEP_3)
	v_add_co_ci_u32_e32 v6, vcc_lo, s7, v8, vcc_lo
	s_clause 0x1
	global_load_b64 v[1:2], v81, s[2:3]
	global_load_b64 v[3:4], v[5:6], off
	v_add_co_u32 v31, vcc_lo, s2, v9
	v_add_co_ci_u32_e32 v32, vcc_lo, s3, v10, vcc_lo
	v_lshlrev_b64 v[13:14], 3, v[13:14]
	v_add_co_u32 v19, vcc_lo, s2, v11
	v_add_co_ci_u32_e32 v20, vcc_lo, s3, v12, vcc_lo
	v_add_co_u32 v9, vcc_lo, s2, v16
	v_add_co_ci_u32_e32 v10, vcc_lo, s3, v17, vcc_lo
	;; [unrolled: 2-line block ×3, first 2 shown]
	s_clause 0x3
	global_load_b64 v[49:50], v[9:10], off
	global_load_b64 v[51:52], v[31:32], off
	;; [unrolled: 1-line block ×4, first 2 shown]
	v_add_nc_u32_e32 v11, s5, v15
	s_cmpk_lg_i32 s1, 0x84
	s_delay_alu instid0(VALU_DEP_1) | instskip(SKIP_1) | instid1(VALU_DEP_2)
	v_add_nc_u32_e32 v15, s5, v11
	v_ashrrev_i32_e32 v12, 31, v11
	v_add_nc_u32_e32 v17, s5, v15
	v_ashrrev_i32_e32 v16, 31, v15
	s_delay_alu instid0(VALU_DEP_3) | instskip(NEXT) | instid1(VALU_DEP_3)
	v_lshlrev_b64 v[11:12], 3, v[11:12]
	v_add_nc_u32_e32 v21, s5, v17
	v_ashrrev_i32_e32 v18, 31, v17
	s_delay_alu instid0(VALU_DEP_4) | instskip(NEXT) | instid1(VALU_DEP_4)
	v_lshlrev_b64 v[15:16], 3, v[15:16]
	v_add_co_u32 v25, vcc_lo, s2, v11
	s_delay_alu instid0(VALU_DEP_4) | instskip(SKIP_3) | instid1(VALU_DEP_4)
	v_add_nc_u32_e32 v23, s5, v21
	v_add_co_ci_u32_e32 v26, vcc_lo, s3, v12, vcc_lo
	v_lshlrev_b64 v[11:12], 3, v[17:18]
	v_ashrrev_i32_e32 v22, 31, v21
	v_add_nc_u32_e32 v29, s5, v23
	v_add_co_u32 v27, vcc_lo, s2, v15
	v_ashrrev_i32_e32 v24, 31, v23
	v_add_co_ci_u32_e32 v28, vcc_lo, s3, v16, vcc_lo
	s_delay_alu instid0(VALU_DEP_4) | instskip(SKIP_3) | instid1(VALU_DEP_4)
	v_add_nc_u32_e32 v33, s5, v29
	v_lshlrev_b64 v[15:16], 3, v[21:22]
	v_add_co_u32 v21, vcc_lo, s2, v11
	v_ashrrev_i32_e32 v30, 31, v29
	v_add_nc_u32_e32 v35, s5, v33
	v_add_co_ci_u32_e32 v22, vcc_lo, s3, v12, vcc_lo
	v_lshlrev_b64 v[11:12], 3, v[23:24]
	v_ashrrev_i32_e32 v34, 31, v33
	s_delay_alu instid0(VALU_DEP_4) | instskip(SKIP_3) | instid1(VALU_DEP_4)
	v_add_nc_u32_e32 v37, s5, v35
	v_add_co_u32 v15, vcc_lo, s2, v15
	v_lshlrev_b64 v[17:18], 3, v[29:30]
	v_ashrrev_i32_e32 v36, 31, v35
	v_add_nc_u32_e32 v39, s5, v37
	v_add_co_ci_u32_e32 v16, vcc_lo, s3, v16, vcc_lo
	v_add_co_u32 v11, vcc_lo, s2, v11
	s_delay_alu instid0(VALU_DEP_3) | instskip(SKIP_3) | instid1(VALU_DEP_4)
	v_add_nc_u32_e32 v41, s5, v39
	v_lshlrev_b64 v[23:24], 3, v[33:34]
	v_ashrrev_i32_e32 v38, 31, v37
	v_add_co_ci_u32_e32 v12, vcc_lo, s3, v12, vcc_lo
	v_add_nc_u32_e32 v43, s5, v41
	v_ashrrev_i32_e32 v40, 31, v39
	v_add_co_u32 v17, vcc_lo, s2, v17
	v_lshlrev_b64 v[29:30], 3, v[35:36]
	s_delay_alu instid0(VALU_DEP_4)
	v_add_nc_u32_e32 v45, s5, v43
	v_add_co_ci_u32_e32 v18, vcc_lo, s3, v18, vcc_lo
	s_clause 0x2
	global_load_b64 v[55:56], v[25:26], off
	global_load_b64 v[57:58], v[27:28], off
	global_load_b64 v[59:60], v[21:22], off
	v_add_co_u32 v23, vcc_lo, s2, v23
	v_add_nc_u32_e32 v79, s5, v45
	v_lshlrev_b64 v[33:34], 3, v[37:38]
	global_load_b64 v[61:62], v[15:16], off
	v_lshlrev_b64 v[35:36], 3, v[39:40]
	v_add_co_ci_u32_e32 v24, vcc_lo, s3, v24, vcc_lo
	v_add_nc_u32_e32 v82, s5, v79
	v_add_co_u32 v29, vcc_lo, s2, v29
	v_ashrrev_i32_e32 v42, 31, v41
	v_add_co_ci_u32_e32 v30, vcc_lo, s3, v30, vcc_lo
	s_delay_alu instid0(VALU_DEP_4) | instskip(SKIP_2) | instid1(VALU_DEP_3)
	v_add_nc_u32_e32 v84, s5, v82
	v_add_co_u32 v33, vcc_lo, s2, v33
	v_add_co_ci_u32_e32 v34, vcc_lo, s3, v34, vcc_lo
	v_add_nc_u32_e32 v90, s5, v84
	v_lshlrev_b64 v[41:42], 3, v[41:42]
	v_ashrrev_i32_e32 v44, 31, v43
	v_add_co_u32 v37, vcc_lo, s2, v35
	s_delay_alu instid0(VALU_DEP_4)
	v_add_nc_u32_e32 v92, s5, v90
	v_add_co_ci_u32_e32 v38, vcc_lo, s3, v36, vcc_lo
	s_clause 0x3
	global_load_b64 v[63:64], v[11:12], off
	global_load_b64 v[65:66], v[17:18], off
	;; [unrolled: 1-line block ×4, first 2 shown]
	v_add_nc_u32_e32 v94, s5, v92
	v_lshlrev_b64 v[43:44], 3, v[43:44]
	v_ashrrev_i32_e32 v46, 31, v45
	v_ashrrev_i32_e32 v80, 31, v79
	;; [unrolled: 1-line block ×3, first 2 shown]
	v_add_nc_u32_e32 v96, s5, v94
	v_ashrrev_i32_e32 v85, 31, v84
	v_ashrrev_i32_e32 v91, 31, v90
	;; [unrolled: 1-line block ×4, first 2 shown]
	v_add_nc_u32_e32 v98, s5, v96
	v_ashrrev_i32_e32 v97, 31, v96
	s_delay_alu instid0(VALU_DEP_2) | instskip(SKIP_1) | instid1(VALU_DEP_2)
	v_add_nc_u32_e32 v100, s5, v98
	v_ashrrev_i32_e32 v99, 31, v98
	v_add_nc_u32_e32 v102, s5, v100
	v_ashrrev_i32_e32 v101, 31, v100
	s_delay_alu instid0(VALU_DEP_2) | instskip(SKIP_1) | instid1(VALU_DEP_2)
	v_add_nc_u32_e32 v104, s5, v102
	v_ashrrev_i32_e32 v103, 31, v102
	;; [unrolled: 5-line block ×6, first 2 shown]
	v_add_nc_u32_e32 v39, s5, v120
	v_ashrrev_i32_e32 v121, 31, v120
	s_delay_alu instid0(VALU_DEP_2) | instskip(NEXT) | instid1(VALU_DEP_1)
	v_ashrrev_i32_e32 v40, 31, v39
	v_lshlrev_b64 v[35:36], 3, v[39:40]
	v_add_co_u32 v39, vcc_lo, s2, v41
	v_add_co_ci_u32_e32 v40, vcc_lo, s3, v42, vcc_lo
	s_delay_alu instid0(VALU_DEP_3) | instskip(NEXT) | instid1(VALU_DEP_4)
	v_add_co_u32 v35, vcc_lo, s2, v35
	v_add_co_ci_u32_e32 v36, vcc_lo, s3, v36, vcc_lo
	v_add_co_u32 v41, vcc_lo, s2, v43
	v_add_co_ci_u32_e32 v42, vcc_lo, s3, v44, vcc_lo
	global_load_b64 v[122:123], v[35:36], off
	v_lshlrev_b64 v[43:44], 3, v[82:83]
	s_waitcnt vmcnt(13)
	scratch_store_b128 off, v[1:4], off
	v_lshlrev_b64 v[1:2], 3, v[45:46]
	v_lshlrev_b64 v[3:4], 3, v[79:80]
	s_clause 0x3
	global_load_b64 v[71:72], v[33:34], off
	global_load_b64 v[73:74], v[37:38], off
	;; [unrolled: 1-line block ×4, first 2 shown]
	v_lshlrev_b64 v[45:46], 3, v[84:85]
	v_lshlrev_b64 v[79:80], 3, v[98:99]
	s_waitcnt vmcnt(14)
	scratch_store_b128 off, v[51:54], off offset:16
	s_waitcnt vmcnt(13)
	scratch_store_b128 off, v[47:50], off offset:32
	v_add_co_u32 v1, vcc_lo, s2, v1
	v_add_co_ci_u32_e32 v2, vcc_lo, s3, v2, vcc_lo
	v_add_co_u32 v3, vcc_lo, s2, v3
	v_add_co_ci_u32_e32 v4, vcc_lo, s3, v4, vcc_lo
	;; [unrolled: 2-line block ×4, first 2 shown]
	s_clause 0x3
	global_load_b64 v[82:83], v[1:2], off
	global_load_b64 v[84:85], v[3:4], off
	;; [unrolled: 1-line block ×4, first 2 shown]
	v_lshlrev_b64 v[47:48], 3, v[90:91]
	v_lshlrev_b64 v[49:50], 3, v[92:93]
	;; [unrolled: 1-line block ×4, first 2 shown]
	s_waitcnt vmcnt(15)
	scratch_store_b128 off, v[55:58], off offset:48
	s_waitcnt vmcnt(13)
	scratch_store_b128 off, v[59:62], off offset:64
	v_add_co_u32 v47, vcc_lo, s2, v47
	v_add_co_ci_u32_e32 v48, vcc_lo, s3, v48, vcc_lo
	v_add_co_u32 v49, vcc_lo, s2, v49
	v_add_co_ci_u32_e32 v50, vcc_lo, s3, v50, vcc_lo
	;; [unrolled: 2-line block ×3, first 2 shown]
	v_add_co_u32 v53, vcc_lo, s2, v53
	v_lshlrev_b64 v[57:58], 3, v[100:101]
	v_add_co_ci_u32_e32 v54, vcc_lo, s3, v54, vcc_lo
	v_add_co_u32 v55, vcc_lo, s2, v79
	v_lshlrev_b64 v[59:60], 3, v[102:103]
	v_add_co_ci_u32_e32 v56, vcc_lo, s3, v80, vcc_lo
	;; [unrolled: 3-line block ×4, first 2 shown]
	s_clause 0x2
	global_load_b64 v[90:91], v[47:48], off
	global_load_b64 v[92:93], v[49:50], off
	;; [unrolled: 1-line block ×3, first 2 shown]
	s_waitcnt vmcnt(14)
	scratch_store_b128 off, v[63:66], off offset:80
	s_waitcnt vmcnt(12)
	scratch_store_b128 off, v[67:70], off offset:96
	v_add_co_u32 v61, vcc_lo, s2, v61
	v_lshlrev_b64 v[65:66], 3, v[108:109]
	v_add_co_ci_u32_e32 v62, vcc_lo, s3, v62, vcc_lo
	v_add_co_u32 v63, vcc_lo, s2, v79
	v_lshlrev_b64 v[67:68], 3, v[110:111]
	v_add_co_ci_u32_e32 v64, vcc_lo, s3, v80, vcc_lo
	;; [unrolled: 3-line block ×4, first 2 shown]
	s_clause 0x3
	global_load_b64 v[96:97], v[53:54], off
	global_load_b64 v[98:99], v[55:56], off
	;; [unrolled: 1-line block ×4, first 2 shown]
	v_add_co_u32 v69, vcc_lo, s2, v69
	v_add_co_ci_u32_e32 v70, vcc_lo, s3, v70, vcc_lo
	s_waitcnt vmcnt(13)
	scratch_store_b128 off, v[71:74], off offset:112
	s_waitcnt vmcnt(11)
	scratch_store_b128 off, v[75:78], off offset:128
	v_lshlrev_b64 v[73:74], 3, v[116:117]
	v_add_co_u32 v71, vcc_lo, s2, v79
	v_lshlrev_b64 v[75:76], 3, v[118:119]
	v_add_co_ci_u32_e32 v72, vcc_lo, s3, v80, vcc_lo
	s_delay_alu instid0(VALU_DEP_4) | instskip(SKIP_4) | instid1(VALU_DEP_4)
	v_add_co_u32 v73, vcc_lo, s2, v73
	v_lshlrev_b64 v[77:78], 3, v[120:121]
	v_add_co_ci_u32_e32 v74, vcc_lo, s3, v74, vcc_lo
	v_add_co_u32 v75, vcc_lo, s2, v75
	v_add_co_ci_u32_e32 v76, vcc_lo, s3, v76, vcc_lo
	v_add_co_u32 v77, vcc_lo, s2, v77
	s_clause 0x3
	global_load_b64 v[104:105], v[61:62], off
	global_load_b64 v[106:107], v[63:64], off
	;; [unrolled: 1-line block ×4, first 2 shown]
	v_add_co_ci_u32_e32 v78, vcc_lo, s3, v78, vcc_lo
	s_waitcnt vmcnt(13)
	scratch_store_b128 off, v[82:85], off offset:144
	s_waitcnt vmcnt(11)
	scratch_store_b128 off, v[86:89], off offset:160
	s_clause 0x4
	global_load_b64 v[112:113], v[69:70], off
	global_load_b64 v[82:83], v[71:72], off
	;; [unrolled: 1-line block ×5, first 2 shown]
	v_mov_b32_e32 v79, 0
	v_mov_b32_e32 v80, 0xbff00000
	s_cselect_b32 s3, -1, 0
	s_cmpk_eq_i32 s1, 0x84
	s_waitcnt vmcnt(14)
	scratch_store_b128 off, v[90:93], off offset:176
	s_waitcnt vmcnt(12)
	scratch_store_b128 off, v[94:97], off offset:192
	;; [unrolled: 2-line block ×7, first 2 shown]
	s_waitcnt vmcnt(0)
	s_clause 0x1
	scratch_store_b128 off, v[86:89], off offset:288
	scratch_store_b64 off, v[122:123], off offset:304
	s_cbranch_scc1 .LBB102_3
; %bb.2:
	scratch_load_b64 v[79:80], v81, off
	s_waitcnt vmcnt(0)
	v_div_scale_f64 v[82:83], null, v[79:80], v[79:80], 1.0
	v_div_scale_f64 v[88:89], vcc_lo, 1.0, v[79:80], 1.0
	s_delay_alu instid0(VALU_DEP_2) | instskip(SKIP_2) | instid1(VALU_DEP_1)
	v_rcp_f64_e32 v[84:85], v[82:83]
	s_waitcnt_depctr 0xfff
	v_fma_f64 v[86:87], -v[82:83], v[84:85], 1.0
	v_fma_f64 v[84:85], v[84:85], v[86:87], v[84:85]
	s_delay_alu instid0(VALU_DEP_1) | instskip(NEXT) | instid1(VALU_DEP_1)
	v_fma_f64 v[86:87], -v[82:83], v[84:85], 1.0
	v_fma_f64 v[84:85], v[84:85], v[86:87], v[84:85]
	s_delay_alu instid0(VALU_DEP_1) | instskip(NEXT) | instid1(VALU_DEP_1)
	v_mul_f64 v[86:87], v[88:89], v[84:85]
	v_fma_f64 v[82:83], -v[82:83], v[86:87], v[88:89]
	s_delay_alu instid0(VALU_DEP_1) | instskip(NEXT) | instid1(VALU_DEP_1)
	v_div_fmas_f64 v[82:83], v[82:83], v[84:85], v[86:87]
	v_div_fixup_f64 v[79:80], v[82:83], v[79:80], 1.0
	scratch_store_b64 v81, v[79:80], off
	v_xor_b32_e32 v80, 0x80000000, v80
.LBB102_3:
	v_add_nc_u32_e32 v82, 0x140, v81
	v_add_nc_u32_e32 v83, 0, v81
	s_cmpk_eq_i32 s0, 0x79
	s_mov_b32 s0, -1
	ds_store_b64 v81, v[79:80]
	s_cbranch_scc1 .LBB102_379
; %bb.4:
	scratch_load_b64 v[79:80], off, off offset:296
	v_cmp_eq_u32_e64 s0, 38, v0
	s_movk_i32 s1, 0x50
	s_movk_i32 s2, 0x60
	s_movk_i32 s4, 0x70
	s_movk_i32 s5, 0x80
	s_movk_i32 s6, 0x90
	s_movk_i32 s7, 0xa0
	s_movk_i32 s8, 0xb0
	s_movk_i32 s9, 0xc0
	s_movk_i32 s10, 0xd0
	s_movk_i32 s11, 0xe0
	s_movk_i32 s12, 0xf0
	s_movk_i32 s13, 0x100
	s_movk_i32 s14, 0x110
	s_movk_i32 s15, 0x120
	s_waitcnt vmcnt(0)
	ds_store_b64 v82, v[79:80]
	s_waitcnt lgkmcnt(0)
	s_waitcnt_vscnt null, 0x0
	s_barrier
	buffer_gl0_inv
	s_and_saveexec_b32 s16, s0
	s_cbranch_execz .LBB102_10
; %bb.5:
	s_and_b32 vcc_lo, exec_lo, s3
	s_cbranch_vccz .LBB102_7
; %bb.6:
	scratch_load_b64 v[79:80], v83, off
	ds_load_b64 v[84:85], v82
	s_waitcnt vmcnt(0) lgkmcnt(0)
	v_mul_f64 v[79:80], v[79:80], v[84:85]
	s_cbranch_execz .LBB102_8
	s_branch .LBB102_9
.LBB102_7:
                                        ; implicit-def: $vgpr79_vgpr80
.LBB102_8:
	ds_load_b64 v[79:80], v82
.LBB102_9:
	v_mov_b32_e32 v84, 0
	ds_load_b64 v[84:85], v84 offset:296
	s_waitcnt lgkmcnt(0)
	v_mul_f64 v[79:80], v[79:80], v[84:85]
	scratch_store_b64 off, v[79:80], off offset:296
.LBB102_10:
	s_or_b32 exec_lo, exec_lo, s16
	scratch_load_b64 v[79:80], off, off offset:288
	v_add_nc_u32_e64 v84, 0, 16
	v_add_nc_u32_e64 v85, 0, 32
	v_add_nc_u32_e64 v86, 0, 48
	v_add_nc_u32_e64 v87, 0, 64
	v_add_nc_u32_e64 v88, s1, 0
	v_add_nc_u32_e64 v89, s2, 0
	v_add_nc_u32_e64 v90, s4, 0
	v_add_nc_u32_e64 v91, s5, 0
	v_add_nc_u32_e64 v92, s6, 0
	v_add_nc_u32_e64 v93, s7, 0
	v_add_nc_u32_e64 v94, s8, 0
	v_add_nc_u32_e64 v95, s9, 0
	v_add_nc_u32_e64 v96, s10, 0
	v_add_nc_u32_e64 v97, s11, 0
	v_add_nc_u32_e64 v98, s12, 0
	v_add_nc_u32_e64 v99, s13, 0
	v_add_nc_u32_e64 v100, s14, 0
	v_add_nc_u32_e64 v101, s15, 0
	v_cmp_lt_u32_e64 s2, 36, v0
	s_waitcnt vmcnt(0)
	ds_store_b64 v82, v[79:80]
	s_waitcnt lgkmcnt(0)
	s_waitcnt_vscnt null, 0x0
	s_barrier
	buffer_gl0_inv
	s_and_saveexec_b32 s1, s2
	s_cbranch_execz .LBB102_18
; %bb.11:
	s_and_not1_b32 vcc_lo, exec_lo, s3
	s_cbranch_vccnz .LBB102_13
; %bb.12:
	scratch_load_b64 v[79:80], v83, off
	ds_load_b64 v[102:103], v82
	s_waitcnt vmcnt(0) lgkmcnt(0)
	v_mul_f64 v[79:80], v[79:80], v[102:103]
	s_cbranch_execz .LBB102_14
	s_branch .LBB102_15
.LBB102_13:
                                        ; implicit-def: $vgpr79_vgpr80
.LBB102_14:
	ds_load_b64 v[79:80], v82
.LBB102_15:
	s_and_saveexec_b32 s4, s0
	s_cbranch_execz .LBB102_17
; %bb.16:
	scratch_load_b64 v[102:103], off, off offset:296
	v_mov_b32_e32 v104, 0
	ds_load_b64 v[104:105], v104 offset:616
	s_waitcnt vmcnt(0) lgkmcnt(0)
	v_fma_f64 v[79:80], v[102:103], v[104:105], v[79:80]
.LBB102_17:
	s_or_b32 exec_lo, exec_lo, s4
	v_mov_b32_e32 v102, 0
	ds_load_b64 v[102:103], v102 offset:288
	s_waitcnt lgkmcnt(0)
	v_mul_f64 v[79:80], v[79:80], v[102:103]
	scratch_store_b64 off, v[79:80], off offset:288
.LBB102_18:
	s_or_b32 exec_lo, exec_lo, s1
	scratch_load_b64 v[79:80], off, off offset:280
	v_cmp_lt_u32_e64 s1, 35, v0
	s_waitcnt vmcnt(0)
	ds_store_b64 v82, v[79:80]
	s_waitcnt lgkmcnt(0)
	s_waitcnt_vscnt null, 0x0
	s_barrier
	buffer_gl0_inv
	s_and_saveexec_b32 s0, s1
	s_cbranch_execz .LBB102_28
; %bb.19:
	s_and_not1_b32 vcc_lo, exec_lo, s3
	s_cbranch_vccnz .LBB102_21
; %bb.20:
	scratch_load_b64 v[79:80], v83, off
	ds_load_b64 v[102:103], v82
	s_waitcnt vmcnt(0) lgkmcnt(0)
	v_mul_f64 v[79:80], v[79:80], v[102:103]
	s_cbranch_execz .LBB102_22
	s_branch .LBB102_23
.LBB102_21:
                                        ; implicit-def: $vgpr79_vgpr80
.LBB102_22:
	ds_load_b64 v[79:80], v82
.LBB102_23:
	s_and_saveexec_b32 s4, s2
	s_cbranch_execz .LBB102_27
; %bb.24:
	v_subrev_nc_u32_e32 v102, 36, v0
	s_movk_i32 s5, 0x260
	s_mov_b32 s2, 0
.LBB102_25:                             ; =>This Inner Loop Header: Depth=1
	scratch_load_b64 v[103:104], v101, off
	v_dual_mov_b32 v105, s5 :: v_dual_add_nc_u32 v102, -1, v102
	v_add_nc_u32_e32 v101, 8, v101
	s_add_i32 s5, s5, 8
	ds_load_b64 v[105:106], v105
	v_cmp_eq_u32_e32 vcc_lo, 0, v102
	s_or_b32 s2, vcc_lo, s2
	s_waitcnt vmcnt(0) lgkmcnt(0)
	v_fma_f64 v[79:80], v[103:104], v[105:106], v[79:80]
	s_and_not1_b32 exec_lo, exec_lo, s2
	s_cbranch_execnz .LBB102_25
; %bb.26:
	s_or_b32 exec_lo, exec_lo, s2
.LBB102_27:
	s_delay_alu instid0(SALU_CYCLE_1)
	s_or_b32 exec_lo, exec_lo, s4
	v_mov_b32_e32 v101, 0
	ds_load_b64 v[101:102], v101 offset:280
	s_waitcnt lgkmcnt(0)
	v_mul_f64 v[79:80], v[79:80], v[101:102]
	scratch_store_b64 off, v[79:80], off offset:280
.LBB102_28:
	s_or_b32 exec_lo, exec_lo, s0
	scratch_load_b64 v[79:80], off, off offset:272
	v_cmp_lt_u32_e64 s0, 34, v0
	s_waitcnt vmcnt(0)
	ds_store_b64 v82, v[79:80]
	s_waitcnt lgkmcnt(0)
	s_waitcnt_vscnt null, 0x0
	s_barrier
	buffer_gl0_inv
	s_and_saveexec_b32 s2, s0
	s_cbranch_execz .LBB102_38
; %bb.29:
	s_and_not1_b32 vcc_lo, exec_lo, s3
	s_cbranch_vccnz .LBB102_31
; %bb.30:
	scratch_load_b64 v[79:80], v83, off
	ds_load_b64 v[101:102], v82
	s_waitcnt vmcnt(0) lgkmcnt(0)
	v_mul_f64 v[79:80], v[79:80], v[101:102]
	s_cbranch_execz .LBB102_32
	s_branch .LBB102_33
.LBB102_31:
                                        ; implicit-def: $vgpr79_vgpr80
.LBB102_32:
	ds_load_b64 v[79:80], v82
.LBB102_33:
	s_and_saveexec_b32 s4, s1
	s_cbranch_execz .LBB102_37
; %bb.34:
	v_mov_b32_e32 v101, 0
	v_subrev_nc_u32_e32 v102, 35, v0
	s_movk_i32 s5, 0x258
	s_mov_b32 s1, 0
	s_delay_alu instid0(VALU_DEP_2)
	v_add_nc_u32_e32 v101, 0x118, v101
.LBB102_35:                             ; =>This Inner Loop Header: Depth=1
	scratch_load_b64 v[103:104], v101, off
	v_dual_mov_b32 v105, s5 :: v_dual_add_nc_u32 v102, -1, v102
	v_add_nc_u32_e32 v101, 8, v101
	s_add_i32 s5, s5, 8
	ds_load_b64 v[105:106], v105
	v_cmp_eq_u32_e32 vcc_lo, 0, v102
	s_or_b32 s1, vcc_lo, s1
	s_waitcnt vmcnt(0) lgkmcnt(0)
	v_fma_f64 v[79:80], v[103:104], v[105:106], v[79:80]
	s_and_not1_b32 exec_lo, exec_lo, s1
	s_cbranch_execnz .LBB102_35
; %bb.36:
	s_or_b32 exec_lo, exec_lo, s1
.LBB102_37:
	s_delay_alu instid0(SALU_CYCLE_1)
	s_or_b32 exec_lo, exec_lo, s4
	v_mov_b32_e32 v101, 0
	ds_load_b64 v[101:102], v101 offset:272
	s_waitcnt lgkmcnt(0)
	v_mul_f64 v[79:80], v[79:80], v[101:102]
	scratch_store_b64 off, v[79:80], off offset:272
.LBB102_38:
	s_or_b32 exec_lo, exec_lo, s2
	scratch_load_b64 v[79:80], off, off offset:264
	v_cmp_lt_u32_e64 s1, 33, v0
	s_waitcnt vmcnt(0)
	ds_store_b64 v82, v[79:80]
	s_waitcnt lgkmcnt(0)
	s_waitcnt_vscnt null, 0x0
	s_barrier
	buffer_gl0_inv
	s_and_saveexec_b32 s2, s1
	s_cbranch_execz .LBB102_48
; %bb.39:
	s_and_not1_b32 vcc_lo, exec_lo, s3
	s_cbranch_vccnz .LBB102_41
; %bb.40:
	scratch_load_b64 v[79:80], v83, off
	ds_load_b64 v[101:102], v82
	s_waitcnt vmcnt(0) lgkmcnt(0)
	v_mul_f64 v[79:80], v[79:80], v[101:102]
	s_cbranch_execz .LBB102_42
	s_branch .LBB102_43
.LBB102_41:
                                        ; implicit-def: $vgpr79_vgpr80
.LBB102_42:
	ds_load_b64 v[79:80], v82
.LBB102_43:
	s_and_saveexec_b32 s4, s0
	s_cbranch_execz .LBB102_47
; %bb.44:
	v_subrev_nc_u32_e32 v101, 34, v0
	s_movk_i32 s5, 0x250
	s_mov_b32 s0, 0
.LBB102_45:                             ; =>This Inner Loop Header: Depth=1
	scratch_load_b64 v[102:103], v100, off
	v_dual_mov_b32 v104, s5 :: v_dual_add_nc_u32 v101, -1, v101
	v_add_nc_u32_e32 v100, 8, v100
	s_add_i32 s5, s5, 8
	ds_load_b64 v[104:105], v104
	v_cmp_eq_u32_e32 vcc_lo, 0, v101
	s_or_b32 s0, vcc_lo, s0
	s_waitcnt vmcnt(0) lgkmcnt(0)
	v_fma_f64 v[79:80], v[102:103], v[104:105], v[79:80]
	s_and_not1_b32 exec_lo, exec_lo, s0
	s_cbranch_execnz .LBB102_45
; %bb.46:
	s_or_b32 exec_lo, exec_lo, s0
.LBB102_47:
	s_delay_alu instid0(SALU_CYCLE_1)
	s_or_b32 exec_lo, exec_lo, s4
	v_mov_b32_e32 v100, 0
	ds_load_b64 v[100:101], v100 offset:264
	s_waitcnt lgkmcnt(0)
	v_mul_f64 v[79:80], v[79:80], v[100:101]
	scratch_store_b64 off, v[79:80], off offset:264
.LBB102_48:
	s_or_b32 exec_lo, exec_lo, s2
	scratch_load_b64 v[79:80], off, off offset:256
	v_cmp_lt_u32_e64 s0, 32, v0
	s_waitcnt vmcnt(0)
	ds_store_b64 v82, v[79:80]
	s_waitcnt lgkmcnt(0)
	s_waitcnt_vscnt null, 0x0
	s_barrier
	buffer_gl0_inv
	s_and_saveexec_b32 s2, s0
	s_cbranch_execz .LBB102_58
; %bb.49:
	s_and_not1_b32 vcc_lo, exec_lo, s3
	s_cbranch_vccnz .LBB102_51
; %bb.50:
	scratch_load_b64 v[79:80], v83, off
	ds_load_b64 v[100:101], v82
	s_waitcnt vmcnt(0) lgkmcnt(0)
	v_mul_f64 v[79:80], v[79:80], v[100:101]
	s_cbranch_execz .LBB102_52
	s_branch .LBB102_53
.LBB102_51:
                                        ; implicit-def: $vgpr79_vgpr80
.LBB102_52:
	ds_load_b64 v[79:80], v82
.LBB102_53:
	s_and_saveexec_b32 s4, s1
	s_cbranch_execz .LBB102_57
; %bb.54:
	v_mov_b32_e32 v100, 0
	v_subrev_nc_u32_e32 v101, 33, v0
	s_movk_i32 s5, 0x248
	s_mov_b32 s1, 0
	s_delay_alu instid0(VALU_DEP_2)
	v_add_nc_u32_e32 v100, 0x108, v100
.LBB102_55:                             ; =>This Inner Loop Header: Depth=1
	scratch_load_b64 v[102:103], v100, off
	v_dual_mov_b32 v104, s5 :: v_dual_add_nc_u32 v101, -1, v101
	v_add_nc_u32_e32 v100, 8, v100
	s_add_i32 s5, s5, 8
	ds_load_b64 v[104:105], v104
	v_cmp_eq_u32_e32 vcc_lo, 0, v101
	s_or_b32 s1, vcc_lo, s1
	s_waitcnt vmcnt(0) lgkmcnt(0)
	v_fma_f64 v[79:80], v[102:103], v[104:105], v[79:80]
	s_and_not1_b32 exec_lo, exec_lo, s1
	s_cbranch_execnz .LBB102_55
; %bb.56:
	s_or_b32 exec_lo, exec_lo, s1
.LBB102_57:
	s_delay_alu instid0(SALU_CYCLE_1)
	s_or_b32 exec_lo, exec_lo, s4
	v_mov_b32_e32 v100, 0
	ds_load_b64 v[100:101], v100 offset:256
	s_waitcnt lgkmcnt(0)
	v_mul_f64 v[79:80], v[79:80], v[100:101]
	scratch_store_b64 off, v[79:80], off offset:256
.LBB102_58:
	s_or_b32 exec_lo, exec_lo, s2
	scratch_load_b64 v[79:80], off, off offset:248
	v_cmp_lt_u32_e64 s1, 31, v0
	s_waitcnt vmcnt(0)
	ds_store_b64 v82, v[79:80]
	s_waitcnt lgkmcnt(0)
	s_waitcnt_vscnt null, 0x0
	s_barrier
	buffer_gl0_inv
	s_and_saveexec_b32 s2, s1
	s_cbranch_execz .LBB102_68
; %bb.59:
	s_and_not1_b32 vcc_lo, exec_lo, s3
	s_cbranch_vccnz .LBB102_61
; %bb.60:
	scratch_load_b64 v[79:80], v83, off
	ds_load_b64 v[100:101], v82
	s_waitcnt vmcnt(0) lgkmcnt(0)
	v_mul_f64 v[79:80], v[79:80], v[100:101]
	s_cbranch_execz .LBB102_62
	s_branch .LBB102_63
.LBB102_61:
                                        ; implicit-def: $vgpr79_vgpr80
.LBB102_62:
	ds_load_b64 v[79:80], v82
.LBB102_63:
	s_and_saveexec_b32 s4, s0
	s_cbranch_execz .LBB102_67
; %bb.64:
	v_subrev_nc_u32_e32 v100, 32, v0
	s_movk_i32 s5, 0x240
	s_mov_b32 s0, 0
.LBB102_65:                             ; =>This Inner Loop Header: Depth=1
	scratch_load_b64 v[101:102], v99, off
	v_dual_mov_b32 v103, s5 :: v_dual_add_nc_u32 v100, -1, v100
	v_add_nc_u32_e32 v99, 8, v99
	s_add_i32 s5, s5, 8
	ds_load_b64 v[103:104], v103
	v_cmp_eq_u32_e32 vcc_lo, 0, v100
	s_or_b32 s0, vcc_lo, s0
	s_waitcnt vmcnt(0) lgkmcnt(0)
	v_fma_f64 v[79:80], v[101:102], v[103:104], v[79:80]
	s_and_not1_b32 exec_lo, exec_lo, s0
	s_cbranch_execnz .LBB102_65
; %bb.66:
	s_or_b32 exec_lo, exec_lo, s0
.LBB102_67:
	s_delay_alu instid0(SALU_CYCLE_1)
	s_or_b32 exec_lo, exec_lo, s4
	v_mov_b32_e32 v99, 0
	ds_load_b64 v[99:100], v99 offset:248
	s_waitcnt lgkmcnt(0)
	v_mul_f64 v[79:80], v[79:80], v[99:100]
	scratch_store_b64 off, v[79:80], off offset:248
.LBB102_68:
	s_or_b32 exec_lo, exec_lo, s2
	scratch_load_b64 v[79:80], off, off offset:240
	v_cmp_lt_u32_e64 s0, 30, v0
	s_waitcnt vmcnt(0)
	ds_store_b64 v82, v[79:80]
	s_waitcnt lgkmcnt(0)
	s_waitcnt_vscnt null, 0x0
	s_barrier
	buffer_gl0_inv
	s_and_saveexec_b32 s2, s0
	s_cbranch_execz .LBB102_78
; %bb.69:
	s_and_not1_b32 vcc_lo, exec_lo, s3
	s_cbranch_vccnz .LBB102_71
; %bb.70:
	scratch_load_b64 v[79:80], v83, off
	ds_load_b64 v[99:100], v82
	s_waitcnt vmcnt(0) lgkmcnt(0)
	v_mul_f64 v[79:80], v[79:80], v[99:100]
	s_cbranch_execz .LBB102_72
	s_branch .LBB102_73
.LBB102_71:
                                        ; implicit-def: $vgpr79_vgpr80
.LBB102_72:
	ds_load_b64 v[79:80], v82
.LBB102_73:
	s_and_saveexec_b32 s4, s1
	s_cbranch_execz .LBB102_77
; %bb.74:
	v_mov_b32_e32 v99, 0
	v_subrev_nc_u32_e32 v100, 31, v0
	s_movk_i32 s5, 0x238
	s_mov_b32 s1, 0
	s_delay_alu instid0(VALU_DEP_2)
	v_add_nc_u32_e32 v99, 0xf8, v99
.LBB102_75:                             ; =>This Inner Loop Header: Depth=1
	scratch_load_b64 v[101:102], v99, off
	v_dual_mov_b32 v103, s5 :: v_dual_add_nc_u32 v100, -1, v100
	v_add_nc_u32_e32 v99, 8, v99
	s_add_i32 s5, s5, 8
	ds_load_b64 v[103:104], v103
	v_cmp_eq_u32_e32 vcc_lo, 0, v100
	s_or_b32 s1, vcc_lo, s1
	s_waitcnt vmcnt(0) lgkmcnt(0)
	v_fma_f64 v[79:80], v[101:102], v[103:104], v[79:80]
	s_and_not1_b32 exec_lo, exec_lo, s1
	s_cbranch_execnz .LBB102_75
; %bb.76:
	s_or_b32 exec_lo, exec_lo, s1
.LBB102_77:
	s_delay_alu instid0(SALU_CYCLE_1)
	s_or_b32 exec_lo, exec_lo, s4
	v_mov_b32_e32 v99, 0
	ds_load_b64 v[99:100], v99 offset:240
	s_waitcnt lgkmcnt(0)
	v_mul_f64 v[79:80], v[79:80], v[99:100]
	scratch_store_b64 off, v[79:80], off offset:240
.LBB102_78:
	s_or_b32 exec_lo, exec_lo, s2
	scratch_load_b64 v[79:80], off, off offset:232
	v_cmp_lt_u32_e64 s1, 29, v0
	s_waitcnt vmcnt(0)
	ds_store_b64 v82, v[79:80]
	s_waitcnt lgkmcnt(0)
	s_waitcnt_vscnt null, 0x0
	s_barrier
	buffer_gl0_inv
	s_and_saveexec_b32 s2, s1
	s_cbranch_execz .LBB102_88
; %bb.79:
	s_and_not1_b32 vcc_lo, exec_lo, s3
	s_cbranch_vccnz .LBB102_81
; %bb.80:
	scratch_load_b64 v[79:80], v83, off
	ds_load_b64 v[99:100], v82
	s_waitcnt vmcnt(0) lgkmcnt(0)
	v_mul_f64 v[79:80], v[79:80], v[99:100]
	s_cbranch_execz .LBB102_82
	s_branch .LBB102_83
.LBB102_81:
                                        ; implicit-def: $vgpr79_vgpr80
.LBB102_82:
	ds_load_b64 v[79:80], v82
.LBB102_83:
	s_and_saveexec_b32 s4, s0
	s_cbranch_execz .LBB102_87
; %bb.84:
	v_subrev_nc_u32_e32 v99, 30, v0
	s_movk_i32 s5, 0x230
	s_mov_b32 s0, 0
.LBB102_85:                             ; =>This Inner Loop Header: Depth=1
	scratch_load_b64 v[100:101], v98, off
	v_dual_mov_b32 v102, s5 :: v_dual_add_nc_u32 v99, -1, v99
	v_add_nc_u32_e32 v98, 8, v98
	s_add_i32 s5, s5, 8
	ds_load_b64 v[102:103], v102
	v_cmp_eq_u32_e32 vcc_lo, 0, v99
	s_or_b32 s0, vcc_lo, s0
	s_waitcnt vmcnt(0) lgkmcnt(0)
	v_fma_f64 v[79:80], v[100:101], v[102:103], v[79:80]
	s_and_not1_b32 exec_lo, exec_lo, s0
	s_cbranch_execnz .LBB102_85
; %bb.86:
	s_or_b32 exec_lo, exec_lo, s0
.LBB102_87:
	s_delay_alu instid0(SALU_CYCLE_1)
	s_or_b32 exec_lo, exec_lo, s4
	v_mov_b32_e32 v98, 0
	ds_load_b64 v[98:99], v98 offset:232
	s_waitcnt lgkmcnt(0)
	v_mul_f64 v[79:80], v[79:80], v[98:99]
	scratch_store_b64 off, v[79:80], off offset:232
.LBB102_88:
	s_or_b32 exec_lo, exec_lo, s2
	scratch_load_b64 v[79:80], off, off offset:224
	v_cmp_lt_u32_e64 s0, 28, v0
	s_waitcnt vmcnt(0)
	ds_store_b64 v82, v[79:80]
	s_waitcnt lgkmcnt(0)
	s_waitcnt_vscnt null, 0x0
	s_barrier
	buffer_gl0_inv
	s_and_saveexec_b32 s2, s0
	s_cbranch_execz .LBB102_98
; %bb.89:
	s_and_not1_b32 vcc_lo, exec_lo, s3
	s_cbranch_vccnz .LBB102_91
; %bb.90:
	scratch_load_b64 v[79:80], v83, off
	ds_load_b64 v[98:99], v82
	s_waitcnt vmcnt(0) lgkmcnt(0)
	v_mul_f64 v[79:80], v[79:80], v[98:99]
	s_cbranch_execz .LBB102_92
	s_branch .LBB102_93
.LBB102_91:
                                        ; implicit-def: $vgpr79_vgpr80
.LBB102_92:
	ds_load_b64 v[79:80], v82
.LBB102_93:
	s_and_saveexec_b32 s4, s1
	s_cbranch_execz .LBB102_97
; %bb.94:
	v_mov_b32_e32 v98, 0
	v_subrev_nc_u32_e32 v99, 29, v0
	s_movk_i32 s5, 0x228
	s_mov_b32 s1, 0
	s_delay_alu instid0(VALU_DEP_2)
	v_add_nc_u32_e32 v98, 0xe8, v98
.LBB102_95:                             ; =>This Inner Loop Header: Depth=1
	scratch_load_b64 v[100:101], v98, off
	v_dual_mov_b32 v102, s5 :: v_dual_add_nc_u32 v99, -1, v99
	v_add_nc_u32_e32 v98, 8, v98
	s_add_i32 s5, s5, 8
	ds_load_b64 v[102:103], v102
	v_cmp_eq_u32_e32 vcc_lo, 0, v99
	s_or_b32 s1, vcc_lo, s1
	s_waitcnt vmcnt(0) lgkmcnt(0)
	v_fma_f64 v[79:80], v[100:101], v[102:103], v[79:80]
	s_and_not1_b32 exec_lo, exec_lo, s1
	s_cbranch_execnz .LBB102_95
; %bb.96:
	s_or_b32 exec_lo, exec_lo, s1
.LBB102_97:
	s_delay_alu instid0(SALU_CYCLE_1)
	s_or_b32 exec_lo, exec_lo, s4
	v_mov_b32_e32 v98, 0
	ds_load_b64 v[98:99], v98 offset:224
	s_waitcnt lgkmcnt(0)
	v_mul_f64 v[79:80], v[79:80], v[98:99]
	scratch_store_b64 off, v[79:80], off offset:224
.LBB102_98:
	s_or_b32 exec_lo, exec_lo, s2
	scratch_load_b64 v[79:80], off, off offset:216
	v_cmp_lt_u32_e64 s1, 27, v0
	s_waitcnt vmcnt(0)
	ds_store_b64 v82, v[79:80]
	s_waitcnt lgkmcnt(0)
	s_waitcnt_vscnt null, 0x0
	s_barrier
	buffer_gl0_inv
	s_and_saveexec_b32 s2, s1
	s_cbranch_execz .LBB102_108
; %bb.99:
	s_and_not1_b32 vcc_lo, exec_lo, s3
	s_cbranch_vccnz .LBB102_101
; %bb.100:
	scratch_load_b64 v[79:80], v83, off
	ds_load_b64 v[98:99], v82
	s_waitcnt vmcnt(0) lgkmcnt(0)
	v_mul_f64 v[79:80], v[79:80], v[98:99]
	s_cbranch_execz .LBB102_102
	s_branch .LBB102_103
.LBB102_101:
                                        ; implicit-def: $vgpr79_vgpr80
.LBB102_102:
	ds_load_b64 v[79:80], v82
.LBB102_103:
	s_and_saveexec_b32 s4, s0
	s_cbranch_execz .LBB102_107
; %bb.104:
	v_subrev_nc_u32_e32 v98, 28, v0
	s_movk_i32 s5, 0x220
	s_mov_b32 s0, 0
.LBB102_105:                            ; =>This Inner Loop Header: Depth=1
	scratch_load_b64 v[99:100], v97, off
	v_dual_mov_b32 v101, s5 :: v_dual_add_nc_u32 v98, -1, v98
	v_add_nc_u32_e32 v97, 8, v97
	s_add_i32 s5, s5, 8
	ds_load_b64 v[101:102], v101
	v_cmp_eq_u32_e32 vcc_lo, 0, v98
	s_or_b32 s0, vcc_lo, s0
	s_waitcnt vmcnt(0) lgkmcnt(0)
	v_fma_f64 v[79:80], v[99:100], v[101:102], v[79:80]
	s_and_not1_b32 exec_lo, exec_lo, s0
	s_cbranch_execnz .LBB102_105
; %bb.106:
	s_or_b32 exec_lo, exec_lo, s0
.LBB102_107:
	s_delay_alu instid0(SALU_CYCLE_1)
	s_or_b32 exec_lo, exec_lo, s4
	v_mov_b32_e32 v97, 0
	ds_load_b64 v[97:98], v97 offset:216
	s_waitcnt lgkmcnt(0)
	v_mul_f64 v[79:80], v[79:80], v[97:98]
	scratch_store_b64 off, v[79:80], off offset:216
.LBB102_108:
	s_or_b32 exec_lo, exec_lo, s2
	scratch_load_b64 v[79:80], off, off offset:208
	v_cmp_lt_u32_e64 s0, 26, v0
	s_waitcnt vmcnt(0)
	ds_store_b64 v82, v[79:80]
	s_waitcnt lgkmcnt(0)
	s_waitcnt_vscnt null, 0x0
	s_barrier
	buffer_gl0_inv
	s_and_saveexec_b32 s2, s0
	s_cbranch_execz .LBB102_118
; %bb.109:
	s_and_not1_b32 vcc_lo, exec_lo, s3
	s_cbranch_vccnz .LBB102_111
; %bb.110:
	scratch_load_b64 v[79:80], v83, off
	ds_load_b64 v[97:98], v82
	s_waitcnt vmcnt(0) lgkmcnt(0)
	v_mul_f64 v[79:80], v[79:80], v[97:98]
	s_cbranch_execz .LBB102_112
	s_branch .LBB102_113
.LBB102_111:
                                        ; implicit-def: $vgpr79_vgpr80
.LBB102_112:
	ds_load_b64 v[79:80], v82
.LBB102_113:
	s_and_saveexec_b32 s4, s1
	s_cbranch_execz .LBB102_117
; %bb.114:
	v_mov_b32_e32 v97, 0
	v_subrev_nc_u32_e32 v98, 27, v0
	s_movk_i32 s5, 0x218
	s_mov_b32 s1, 0
	s_delay_alu instid0(VALU_DEP_2)
	v_add_nc_u32_e32 v97, 0xd8, v97
.LBB102_115:                            ; =>This Inner Loop Header: Depth=1
	scratch_load_b64 v[99:100], v97, off
	v_dual_mov_b32 v101, s5 :: v_dual_add_nc_u32 v98, -1, v98
	v_add_nc_u32_e32 v97, 8, v97
	s_add_i32 s5, s5, 8
	ds_load_b64 v[101:102], v101
	v_cmp_eq_u32_e32 vcc_lo, 0, v98
	s_or_b32 s1, vcc_lo, s1
	s_waitcnt vmcnt(0) lgkmcnt(0)
	v_fma_f64 v[79:80], v[99:100], v[101:102], v[79:80]
	s_and_not1_b32 exec_lo, exec_lo, s1
	s_cbranch_execnz .LBB102_115
; %bb.116:
	s_or_b32 exec_lo, exec_lo, s1
.LBB102_117:
	s_delay_alu instid0(SALU_CYCLE_1)
	s_or_b32 exec_lo, exec_lo, s4
	v_mov_b32_e32 v97, 0
	ds_load_b64 v[97:98], v97 offset:208
	s_waitcnt lgkmcnt(0)
	v_mul_f64 v[79:80], v[79:80], v[97:98]
	scratch_store_b64 off, v[79:80], off offset:208
.LBB102_118:
	s_or_b32 exec_lo, exec_lo, s2
	scratch_load_b64 v[79:80], off, off offset:200
	v_cmp_lt_u32_e64 s1, 25, v0
	s_waitcnt vmcnt(0)
	ds_store_b64 v82, v[79:80]
	s_waitcnt lgkmcnt(0)
	s_waitcnt_vscnt null, 0x0
	s_barrier
	buffer_gl0_inv
	s_and_saveexec_b32 s2, s1
	s_cbranch_execz .LBB102_128
; %bb.119:
	s_and_not1_b32 vcc_lo, exec_lo, s3
	s_cbranch_vccnz .LBB102_121
; %bb.120:
	scratch_load_b64 v[79:80], v83, off
	ds_load_b64 v[97:98], v82
	s_waitcnt vmcnt(0) lgkmcnt(0)
	v_mul_f64 v[79:80], v[79:80], v[97:98]
	s_cbranch_execz .LBB102_122
	s_branch .LBB102_123
.LBB102_121:
                                        ; implicit-def: $vgpr79_vgpr80
.LBB102_122:
	ds_load_b64 v[79:80], v82
.LBB102_123:
	s_and_saveexec_b32 s4, s0
	s_cbranch_execz .LBB102_127
; %bb.124:
	v_subrev_nc_u32_e32 v97, 26, v0
	s_movk_i32 s5, 0x210
	s_mov_b32 s0, 0
.LBB102_125:                            ; =>This Inner Loop Header: Depth=1
	scratch_load_b64 v[98:99], v96, off
	v_dual_mov_b32 v100, s5 :: v_dual_add_nc_u32 v97, -1, v97
	v_add_nc_u32_e32 v96, 8, v96
	s_add_i32 s5, s5, 8
	ds_load_b64 v[100:101], v100
	v_cmp_eq_u32_e32 vcc_lo, 0, v97
	s_or_b32 s0, vcc_lo, s0
	s_waitcnt vmcnt(0) lgkmcnt(0)
	v_fma_f64 v[79:80], v[98:99], v[100:101], v[79:80]
	s_and_not1_b32 exec_lo, exec_lo, s0
	s_cbranch_execnz .LBB102_125
; %bb.126:
	s_or_b32 exec_lo, exec_lo, s0
.LBB102_127:
	s_delay_alu instid0(SALU_CYCLE_1)
	s_or_b32 exec_lo, exec_lo, s4
	v_mov_b32_e32 v96, 0
	ds_load_b64 v[96:97], v96 offset:200
	s_waitcnt lgkmcnt(0)
	v_mul_f64 v[79:80], v[79:80], v[96:97]
	scratch_store_b64 off, v[79:80], off offset:200
.LBB102_128:
	s_or_b32 exec_lo, exec_lo, s2
	scratch_load_b64 v[79:80], off, off offset:192
	v_cmp_lt_u32_e64 s0, 24, v0
	s_waitcnt vmcnt(0)
	ds_store_b64 v82, v[79:80]
	s_waitcnt lgkmcnt(0)
	s_waitcnt_vscnt null, 0x0
	s_barrier
	buffer_gl0_inv
	s_and_saveexec_b32 s2, s0
	s_cbranch_execz .LBB102_138
; %bb.129:
	s_and_not1_b32 vcc_lo, exec_lo, s3
	s_cbranch_vccnz .LBB102_131
; %bb.130:
	scratch_load_b64 v[79:80], v83, off
	ds_load_b64 v[96:97], v82
	s_waitcnt vmcnt(0) lgkmcnt(0)
	v_mul_f64 v[79:80], v[79:80], v[96:97]
	s_cbranch_execz .LBB102_132
	s_branch .LBB102_133
.LBB102_131:
                                        ; implicit-def: $vgpr79_vgpr80
.LBB102_132:
	ds_load_b64 v[79:80], v82
.LBB102_133:
	s_and_saveexec_b32 s4, s1
	s_cbranch_execz .LBB102_137
; %bb.134:
	v_mov_b32_e32 v96, 0
	v_subrev_nc_u32_e32 v97, 25, v0
	s_movk_i32 s5, 0x208
	s_mov_b32 s1, 0
	s_delay_alu instid0(VALU_DEP_2)
	v_add_nc_u32_e32 v96, 0xc8, v96
.LBB102_135:                            ; =>This Inner Loop Header: Depth=1
	scratch_load_b64 v[98:99], v96, off
	v_dual_mov_b32 v100, s5 :: v_dual_add_nc_u32 v97, -1, v97
	v_add_nc_u32_e32 v96, 8, v96
	s_add_i32 s5, s5, 8
	ds_load_b64 v[100:101], v100
	v_cmp_eq_u32_e32 vcc_lo, 0, v97
	s_or_b32 s1, vcc_lo, s1
	s_waitcnt vmcnt(0) lgkmcnt(0)
	v_fma_f64 v[79:80], v[98:99], v[100:101], v[79:80]
	s_and_not1_b32 exec_lo, exec_lo, s1
	s_cbranch_execnz .LBB102_135
; %bb.136:
	s_or_b32 exec_lo, exec_lo, s1
.LBB102_137:
	s_delay_alu instid0(SALU_CYCLE_1)
	s_or_b32 exec_lo, exec_lo, s4
	v_mov_b32_e32 v96, 0
	ds_load_b64 v[96:97], v96 offset:192
	s_waitcnt lgkmcnt(0)
	v_mul_f64 v[79:80], v[79:80], v[96:97]
	scratch_store_b64 off, v[79:80], off offset:192
.LBB102_138:
	s_or_b32 exec_lo, exec_lo, s2
	scratch_load_b64 v[79:80], off, off offset:184
	v_cmp_lt_u32_e64 s1, 23, v0
	s_waitcnt vmcnt(0)
	ds_store_b64 v82, v[79:80]
	s_waitcnt lgkmcnt(0)
	s_waitcnt_vscnt null, 0x0
	s_barrier
	buffer_gl0_inv
	s_and_saveexec_b32 s2, s1
	s_cbranch_execz .LBB102_148
; %bb.139:
	s_and_not1_b32 vcc_lo, exec_lo, s3
	s_cbranch_vccnz .LBB102_141
; %bb.140:
	scratch_load_b64 v[79:80], v83, off
	ds_load_b64 v[96:97], v82
	s_waitcnt vmcnt(0) lgkmcnt(0)
	v_mul_f64 v[79:80], v[79:80], v[96:97]
	s_cbranch_execz .LBB102_142
	s_branch .LBB102_143
.LBB102_141:
                                        ; implicit-def: $vgpr79_vgpr80
.LBB102_142:
	ds_load_b64 v[79:80], v82
.LBB102_143:
	s_and_saveexec_b32 s4, s0
	s_cbranch_execz .LBB102_147
; %bb.144:
	v_subrev_nc_u32_e32 v96, 24, v0
	s_movk_i32 s5, 0x200
	s_mov_b32 s0, 0
.LBB102_145:                            ; =>This Inner Loop Header: Depth=1
	scratch_load_b64 v[97:98], v95, off
	v_dual_mov_b32 v99, s5 :: v_dual_add_nc_u32 v96, -1, v96
	v_add_nc_u32_e32 v95, 8, v95
	s_add_i32 s5, s5, 8
	ds_load_b64 v[99:100], v99
	v_cmp_eq_u32_e32 vcc_lo, 0, v96
	s_or_b32 s0, vcc_lo, s0
	s_waitcnt vmcnt(0) lgkmcnt(0)
	v_fma_f64 v[79:80], v[97:98], v[99:100], v[79:80]
	s_and_not1_b32 exec_lo, exec_lo, s0
	s_cbranch_execnz .LBB102_145
; %bb.146:
	s_or_b32 exec_lo, exec_lo, s0
.LBB102_147:
	s_delay_alu instid0(SALU_CYCLE_1)
	s_or_b32 exec_lo, exec_lo, s4
	v_mov_b32_e32 v95, 0
	ds_load_b64 v[95:96], v95 offset:184
	s_waitcnt lgkmcnt(0)
	v_mul_f64 v[79:80], v[79:80], v[95:96]
	scratch_store_b64 off, v[79:80], off offset:184
.LBB102_148:
	s_or_b32 exec_lo, exec_lo, s2
	scratch_load_b64 v[79:80], off, off offset:176
	v_cmp_lt_u32_e64 s0, 22, v0
	s_waitcnt vmcnt(0)
	ds_store_b64 v82, v[79:80]
	s_waitcnt lgkmcnt(0)
	s_waitcnt_vscnt null, 0x0
	s_barrier
	buffer_gl0_inv
	s_and_saveexec_b32 s2, s0
	s_cbranch_execz .LBB102_158
; %bb.149:
	s_and_not1_b32 vcc_lo, exec_lo, s3
	s_cbranch_vccnz .LBB102_151
; %bb.150:
	scratch_load_b64 v[79:80], v83, off
	ds_load_b64 v[95:96], v82
	s_waitcnt vmcnt(0) lgkmcnt(0)
	v_mul_f64 v[79:80], v[79:80], v[95:96]
	s_cbranch_execz .LBB102_152
	s_branch .LBB102_153
.LBB102_151:
                                        ; implicit-def: $vgpr79_vgpr80
.LBB102_152:
	ds_load_b64 v[79:80], v82
.LBB102_153:
	s_and_saveexec_b32 s4, s1
	s_cbranch_execz .LBB102_157
; %bb.154:
	v_mov_b32_e32 v95, 0
	v_subrev_nc_u32_e32 v96, 23, v0
	s_movk_i32 s5, 0x1f8
	s_mov_b32 s1, 0
	s_delay_alu instid0(VALU_DEP_2)
	v_add_nc_u32_e32 v95, 0xb8, v95
.LBB102_155:                            ; =>This Inner Loop Header: Depth=1
	scratch_load_b64 v[97:98], v95, off
	v_dual_mov_b32 v99, s5 :: v_dual_add_nc_u32 v96, -1, v96
	v_add_nc_u32_e32 v95, 8, v95
	s_add_i32 s5, s5, 8
	ds_load_b64 v[99:100], v99
	v_cmp_eq_u32_e32 vcc_lo, 0, v96
	s_or_b32 s1, vcc_lo, s1
	s_waitcnt vmcnt(0) lgkmcnt(0)
	v_fma_f64 v[79:80], v[97:98], v[99:100], v[79:80]
	s_and_not1_b32 exec_lo, exec_lo, s1
	s_cbranch_execnz .LBB102_155
; %bb.156:
	s_or_b32 exec_lo, exec_lo, s1
.LBB102_157:
	s_delay_alu instid0(SALU_CYCLE_1)
	s_or_b32 exec_lo, exec_lo, s4
	v_mov_b32_e32 v95, 0
	ds_load_b64 v[95:96], v95 offset:176
	s_waitcnt lgkmcnt(0)
	v_mul_f64 v[79:80], v[79:80], v[95:96]
	scratch_store_b64 off, v[79:80], off offset:176
.LBB102_158:
	s_or_b32 exec_lo, exec_lo, s2
	scratch_load_b64 v[79:80], off, off offset:168
	v_cmp_lt_u32_e64 s1, 21, v0
	s_waitcnt vmcnt(0)
	ds_store_b64 v82, v[79:80]
	s_waitcnt lgkmcnt(0)
	s_waitcnt_vscnt null, 0x0
	s_barrier
	buffer_gl0_inv
	s_and_saveexec_b32 s2, s1
	s_cbranch_execz .LBB102_168
; %bb.159:
	s_and_not1_b32 vcc_lo, exec_lo, s3
	s_cbranch_vccnz .LBB102_161
; %bb.160:
	scratch_load_b64 v[79:80], v83, off
	ds_load_b64 v[95:96], v82
	s_waitcnt vmcnt(0) lgkmcnt(0)
	v_mul_f64 v[79:80], v[79:80], v[95:96]
	s_cbranch_execz .LBB102_162
	s_branch .LBB102_163
.LBB102_161:
                                        ; implicit-def: $vgpr79_vgpr80
.LBB102_162:
	ds_load_b64 v[79:80], v82
.LBB102_163:
	s_and_saveexec_b32 s4, s0
	s_cbranch_execz .LBB102_167
; %bb.164:
	v_subrev_nc_u32_e32 v95, 22, v0
	s_movk_i32 s5, 0x1f0
	s_mov_b32 s0, 0
.LBB102_165:                            ; =>This Inner Loop Header: Depth=1
	scratch_load_b64 v[96:97], v94, off
	v_dual_mov_b32 v98, s5 :: v_dual_add_nc_u32 v95, -1, v95
	v_add_nc_u32_e32 v94, 8, v94
	s_add_i32 s5, s5, 8
	ds_load_b64 v[98:99], v98
	v_cmp_eq_u32_e32 vcc_lo, 0, v95
	s_or_b32 s0, vcc_lo, s0
	s_waitcnt vmcnt(0) lgkmcnt(0)
	v_fma_f64 v[79:80], v[96:97], v[98:99], v[79:80]
	s_and_not1_b32 exec_lo, exec_lo, s0
	s_cbranch_execnz .LBB102_165
; %bb.166:
	s_or_b32 exec_lo, exec_lo, s0
.LBB102_167:
	s_delay_alu instid0(SALU_CYCLE_1)
	s_or_b32 exec_lo, exec_lo, s4
	v_mov_b32_e32 v94, 0
	ds_load_b64 v[94:95], v94 offset:168
	s_waitcnt lgkmcnt(0)
	v_mul_f64 v[79:80], v[79:80], v[94:95]
	scratch_store_b64 off, v[79:80], off offset:168
.LBB102_168:
	s_or_b32 exec_lo, exec_lo, s2
	scratch_load_b64 v[79:80], off, off offset:160
	v_cmp_lt_u32_e64 s0, 20, v0
	s_waitcnt vmcnt(0)
	ds_store_b64 v82, v[79:80]
	s_waitcnt lgkmcnt(0)
	s_waitcnt_vscnt null, 0x0
	s_barrier
	buffer_gl0_inv
	s_and_saveexec_b32 s2, s0
	s_cbranch_execz .LBB102_178
; %bb.169:
	s_and_not1_b32 vcc_lo, exec_lo, s3
	s_cbranch_vccnz .LBB102_171
; %bb.170:
	scratch_load_b64 v[79:80], v83, off
	ds_load_b64 v[94:95], v82
	s_waitcnt vmcnt(0) lgkmcnt(0)
	v_mul_f64 v[79:80], v[79:80], v[94:95]
	s_cbranch_execz .LBB102_172
	s_branch .LBB102_173
.LBB102_171:
                                        ; implicit-def: $vgpr79_vgpr80
.LBB102_172:
	ds_load_b64 v[79:80], v82
.LBB102_173:
	s_and_saveexec_b32 s4, s1
	s_cbranch_execz .LBB102_177
; %bb.174:
	v_mov_b32_e32 v94, 0
	v_subrev_nc_u32_e32 v95, 21, v0
	s_movk_i32 s5, 0x1e8
	s_mov_b32 s1, 0
	s_delay_alu instid0(VALU_DEP_2)
	v_add_nc_u32_e32 v94, 0xa8, v94
.LBB102_175:                            ; =>This Inner Loop Header: Depth=1
	scratch_load_b64 v[96:97], v94, off
	v_dual_mov_b32 v98, s5 :: v_dual_add_nc_u32 v95, -1, v95
	v_add_nc_u32_e32 v94, 8, v94
	s_add_i32 s5, s5, 8
	ds_load_b64 v[98:99], v98
	v_cmp_eq_u32_e32 vcc_lo, 0, v95
	s_or_b32 s1, vcc_lo, s1
	s_waitcnt vmcnt(0) lgkmcnt(0)
	v_fma_f64 v[79:80], v[96:97], v[98:99], v[79:80]
	s_and_not1_b32 exec_lo, exec_lo, s1
	s_cbranch_execnz .LBB102_175
; %bb.176:
	s_or_b32 exec_lo, exec_lo, s1
.LBB102_177:
	s_delay_alu instid0(SALU_CYCLE_1)
	s_or_b32 exec_lo, exec_lo, s4
	v_mov_b32_e32 v94, 0
	ds_load_b64 v[94:95], v94 offset:160
	s_waitcnt lgkmcnt(0)
	v_mul_f64 v[79:80], v[79:80], v[94:95]
	scratch_store_b64 off, v[79:80], off offset:160
.LBB102_178:
	s_or_b32 exec_lo, exec_lo, s2
	scratch_load_b64 v[79:80], off, off offset:152
	v_cmp_lt_u32_e64 s1, 19, v0
	s_waitcnt vmcnt(0)
	ds_store_b64 v82, v[79:80]
	s_waitcnt lgkmcnt(0)
	s_waitcnt_vscnt null, 0x0
	s_barrier
	buffer_gl0_inv
	s_and_saveexec_b32 s2, s1
	s_cbranch_execz .LBB102_188
; %bb.179:
	s_and_not1_b32 vcc_lo, exec_lo, s3
	s_cbranch_vccnz .LBB102_181
; %bb.180:
	scratch_load_b64 v[79:80], v83, off
	ds_load_b64 v[94:95], v82
	s_waitcnt vmcnt(0) lgkmcnt(0)
	v_mul_f64 v[79:80], v[79:80], v[94:95]
	s_cbranch_execz .LBB102_182
	s_branch .LBB102_183
.LBB102_181:
                                        ; implicit-def: $vgpr79_vgpr80
.LBB102_182:
	ds_load_b64 v[79:80], v82
.LBB102_183:
	s_and_saveexec_b32 s4, s0
	s_cbranch_execz .LBB102_187
; %bb.184:
	v_subrev_nc_u32_e32 v94, 20, v0
	s_movk_i32 s5, 0x1e0
	s_mov_b32 s0, 0
.LBB102_185:                            ; =>This Inner Loop Header: Depth=1
	scratch_load_b64 v[95:96], v93, off
	v_dual_mov_b32 v97, s5 :: v_dual_add_nc_u32 v94, -1, v94
	v_add_nc_u32_e32 v93, 8, v93
	s_add_i32 s5, s5, 8
	ds_load_b64 v[97:98], v97
	v_cmp_eq_u32_e32 vcc_lo, 0, v94
	s_or_b32 s0, vcc_lo, s0
	s_waitcnt vmcnt(0) lgkmcnt(0)
	v_fma_f64 v[79:80], v[95:96], v[97:98], v[79:80]
	s_and_not1_b32 exec_lo, exec_lo, s0
	s_cbranch_execnz .LBB102_185
; %bb.186:
	s_or_b32 exec_lo, exec_lo, s0
.LBB102_187:
	s_delay_alu instid0(SALU_CYCLE_1)
	s_or_b32 exec_lo, exec_lo, s4
	v_mov_b32_e32 v93, 0
	ds_load_b64 v[93:94], v93 offset:152
	s_waitcnt lgkmcnt(0)
	v_mul_f64 v[79:80], v[79:80], v[93:94]
	scratch_store_b64 off, v[79:80], off offset:152
.LBB102_188:
	s_or_b32 exec_lo, exec_lo, s2
	scratch_load_b64 v[79:80], off, off offset:144
	v_cmp_lt_u32_e64 s0, 18, v0
	s_waitcnt vmcnt(0)
	ds_store_b64 v82, v[79:80]
	s_waitcnt lgkmcnt(0)
	s_waitcnt_vscnt null, 0x0
	s_barrier
	buffer_gl0_inv
	s_and_saveexec_b32 s2, s0
	s_cbranch_execz .LBB102_198
; %bb.189:
	s_and_not1_b32 vcc_lo, exec_lo, s3
	s_cbranch_vccnz .LBB102_191
; %bb.190:
	scratch_load_b64 v[79:80], v83, off
	ds_load_b64 v[93:94], v82
	s_waitcnt vmcnt(0) lgkmcnt(0)
	v_mul_f64 v[79:80], v[79:80], v[93:94]
	s_cbranch_execz .LBB102_192
	s_branch .LBB102_193
.LBB102_191:
                                        ; implicit-def: $vgpr79_vgpr80
.LBB102_192:
	ds_load_b64 v[79:80], v82
.LBB102_193:
	s_and_saveexec_b32 s4, s1
	s_cbranch_execz .LBB102_197
; %bb.194:
	v_mov_b32_e32 v93, 0
	v_subrev_nc_u32_e32 v94, 19, v0
	s_movk_i32 s5, 0x1d8
	s_mov_b32 s1, 0
	s_delay_alu instid0(VALU_DEP_2)
	v_add_nc_u32_e32 v93, 0x98, v93
.LBB102_195:                            ; =>This Inner Loop Header: Depth=1
	scratch_load_b64 v[95:96], v93, off
	v_dual_mov_b32 v97, s5 :: v_dual_add_nc_u32 v94, -1, v94
	v_add_nc_u32_e32 v93, 8, v93
	s_add_i32 s5, s5, 8
	ds_load_b64 v[97:98], v97
	v_cmp_eq_u32_e32 vcc_lo, 0, v94
	s_or_b32 s1, vcc_lo, s1
	s_waitcnt vmcnt(0) lgkmcnt(0)
	v_fma_f64 v[79:80], v[95:96], v[97:98], v[79:80]
	s_and_not1_b32 exec_lo, exec_lo, s1
	s_cbranch_execnz .LBB102_195
; %bb.196:
	s_or_b32 exec_lo, exec_lo, s1
.LBB102_197:
	s_delay_alu instid0(SALU_CYCLE_1)
	s_or_b32 exec_lo, exec_lo, s4
	v_mov_b32_e32 v93, 0
	ds_load_b64 v[93:94], v93 offset:144
	s_waitcnt lgkmcnt(0)
	v_mul_f64 v[79:80], v[79:80], v[93:94]
	scratch_store_b64 off, v[79:80], off offset:144
.LBB102_198:
	s_or_b32 exec_lo, exec_lo, s2
	scratch_load_b64 v[79:80], off, off offset:136
	v_cmp_lt_u32_e64 s1, 17, v0
	s_waitcnt vmcnt(0)
	ds_store_b64 v82, v[79:80]
	s_waitcnt lgkmcnt(0)
	s_waitcnt_vscnt null, 0x0
	s_barrier
	buffer_gl0_inv
	s_and_saveexec_b32 s2, s1
	s_cbranch_execz .LBB102_208
; %bb.199:
	s_and_not1_b32 vcc_lo, exec_lo, s3
	s_cbranch_vccnz .LBB102_201
; %bb.200:
	scratch_load_b64 v[79:80], v83, off
	ds_load_b64 v[93:94], v82
	s_waitcnt vmcnt(0) lgkmcnt(0)
	v_mul_f64 v[79:80], v[79:80], v[93:94]
	s_cbranch_execz .LBB102_202
	s_branch .LBB102_203
.LBB102_201:
                                        ; implicit-def: $vgpr79_vgpr80
.LBB102_202:
	ds_load_b64 v[79:80], v82
.LBB102_203:
	s_and_saveexec_b32 s4, s0
	s_cbranch_execz .LBB102_207
; %bb.204:
	v_subrev_nc_u32_e32 v93, 18, v0
	s_movk_i32 s5, 0x1d0
	s_mov_b32 s0, 0
.LBB102_205:                            ; =>This Inner Loop Header: Depth=1
	scratch_load_b64 v[94:95], v92, off
	v_dual_mov_b32 v96, s5 :: v_dual_add_nc_u32 v93, -1, v93
	v_add_nc_u32_e32 v92, 8, v92
	s_add_i32 s5, s5, 8
	ds_load_b64 v[96:97], v96
	v_cmp_eq_u32_e32 vcc_lo, 0, v93
	s_or_b32 s0, vcc_lo, s0
	s_waitcnt vmcnt(0) lgkmcnt(0)
	v_fma_f64 v[79:80], v[94:95], v[96:97], v[79:80]
	s_and_not1_b32 exec_lo, exec_lo, s0
	s_cbranch_execnz .LBB102_205
; %bb.206:
	s_or_b32 exec_lo, exec_lo, s0
.LBB102_207:
	s_delay_alu instid0(SALU_CYCLE_1)
	s_or_b32 exec_lo, exec_lo, s4
	v_mov_b32_e32 v92, 0
	ds_load_b64 v[92:93], v92 offset:136
	s_waitcnt lgkmcnt(0)
	v_mul_f64 v[79:80], v[79:80], v[92:93]
	scratch_store_b64 off, v[79:80], off offset:136
.LBB102_208:
	s_or_b32 exec_lo, exec_lo, s2
	scratch_load_b64 v[79:80], off, off offset:128
	v_cmp_lt_u32_e64 s0, 16, v0
	s_waitcnt vmcnt(0)
	ds_store_b64 v82, v[79:80]
	s_waitcnt lgkmcnt(0)
	s_waitcnt_vscnt null, 0x0
	s_barrier
	buffer_gl0_inv
	s_and_saveexec_b32 s2, s0
	s_cbranch_execz .LBB102_218
; %bb.209:
	s_and_not1_b32 vcc_lo, exec_lo, s3
	s_cbranch_vccnz .LBB102_211
; %bb.210:
	scratch_load_b64 v[79:80], v83, off
	ds_load_b64 v[92:93], v82
	s_waitcnt vmcnt(0) lgkmcnt(0)
	v_mul_f64 v[79:80], v[79:80], v[92:93]
	s_cbranch_execz .LBB102_212
	s_branch .LBB102_213
.LBB102_211:
                                        ; implicit-def: $vgpr79_vgpr80
.LBB102_212:
	ds_load_b64 v[79:80], v82
.LBB102_213:
	s_and_saveexec_b32 s4, s1
	s_cbranch_execz .LBB102_217
; %bb.214:
	v_mov_b32_e32 v92, 0
	v_subrev_nc_u32_e32 v93, 17, v0
	s_movk_i32 s5, 0x1c8
	s_mov_b32 s1, 0
	s_delay_alu instid0(VALU_DEP_2)
	v_add_nc_u32_e32 v92, 0x88, v92
.LBB102_215:                            ; =>This Inner Loop Header: Depth=1
	scratch_load_b64 v[94:95], v92, off
	v_dual_mov_b32 v96, s5 :: v_dual_add_nc_u32 v93, -1, v93
	v_add_nc_u32_e32 v92, 8, v92
	s_add_i32 s5, s5, 8
	ds_load_b64 v[96:97], v96
	v_cmp_eq_u32_e32 vcc_lo, 0, v93
	s_or_b32 s1, vcc_lo, s1
	s_waitcnt vmcnt(0) lgkmcnt(0)
	v_fma_f64 v[79:80], v[94:95], v[96:97], v[79:80]
	s_and_not1_b32 exec_lo, exec_lo, s1
	s_cbranch_execnz .LBB102_215
; %bb.216:
	s_or_b32 exec_lo, exec_lo, s1
.LBB102_217:
	s_delay_alu instid0(SALU_CYCLE_1)
	s_or_b32 exec_lo, exec_lo, s4
	v_mov_b32_e32 v92, 0
	ds_load_b64 v[92:93], v92 offset:128
	s_waitcnt lgkmcnt(0)
	v_mul_f64 v[79:80], v[79:80], v[92:93]
	scratch_store_b64 off, v[79:80], off offset:128
.LBB102_218:
	s_or_b32 exec_lo, exec_lo, s2
	scratch_load_b64 v[79:80], off, off offset:120
	v_cmp_lt_u32_e64 s1, 15, v0
	s_waitcnt vmcnt(0)
	ds_store_b64 v82, v[79:80]
	s_waitcnt lgkmcnt(0)
	s_waitcnt_vscnt null, 0x0
	s_barrier
	buffer_gl0_inv
	s_and_saveexec_b32 s2, s1
	s_cbranch_execz .LBB102_228
; %bb.219:
	s_and_not1_b32 vcc_lo, exec_lo, s3
	s_cbranch_vccnz .LBB102_221
; %bb.220:
	scratch_load_b64 v[79:80], v83, off
	ds_load_b64 v[92:93], v82
	s_waitcnt vmcnt(0) lgkmcnt(0)
	v_mul_f64 v[79:80], v[79:80], v[92:93]
	s_cbranch_execz .LBB102_222
	s_branch .LBB102_223
.LBB102_221:
                                        ; implicit-def: $vgpr79_vgpr80
.LBB102_222:
	ds_load_b64 v[79:80], v82
.LBB102_223:
	s_and_saveexec_b32 s4, s0
	s_cbranch_execz .LBB102_227
; %bb.224:
	v_add_nc_u32_e32 v92, -16, v0
	s_movk_i32 s5, 0x1c0
	s_mov_b32 s0, 0
.LBB102_225:                            ; =>This Inner Loop Header: Depth=1
	scratch_load_b64 v[93:94], v91, off
	v_dual_mov_b32 v95, s5 :: v_dual_add_nc_u32 v92, -1, v92
	v_add_nc_u32_e32 v91, 8, v91
	s_add_i32 s5, s5, 8
	ds_load_b64 v[95:96], v95
	v_cmp_eq_u32_e32 vcc_lo, 0, v92
	s_or_b32 s0, vcc_lo, s0
	s_waitcnt vmcnt(0) lgkmcnt(0)
	v_fma_f64 v[79:80], v[93:94], v[95:96], v[79:80]
	s_and_not1_b32 exec_lo, exec_lo, s0
	s_cbranch_execnz .LBB102_225
; %bb.226:
	s_or_b32 exec_lo, exec_lo, s0
.LBB102_227:
	s_delay_alu instid0(SALU_CYCLE_1)
	s_or_b32 exec_lo, exec_lo, s4
	v_mov_b32_e32 v91, 0
	ds_load_b64 v[91:92], v91 offset:120
	s_waitcnt lgkmcnt(0)
	v_mul_f64 v[79:80], v[79:80], v[91:92]
	scratch_store_b64 off, v[79:80], off offset:120
.LBB102_228:
	s_or_b32 exec_lo, exec_lo, s2
	scratch_load_b64 v[79:80], off, off offset:112
	v_cmp_lt_u32_e64 s0, 14, v0
	s_waitcnt vmcnt(0)
	ds_store_b64 v82, v[79:80]
	s_waitcnt lgkmcnt(0)
	s_waitcnt_vscnt null, 0x0
	s_barrier
	buffer_gl0_inv
	s_and_saveexec_b32 s2, s0
	s_cbranch_execz .LBB102_238
; %bb.229:
	s_and_not1_b32 vcc_lo, exec_lo, s3
	s_cbranch_vccnz .LBB102_231
; %bb.230:
	scratch_load_b64 v[79:80], v83, off
	ds_load_b64 v[91:92], v82
	s_waitcnt vmcnt(0) lgkmcnt(0)
	v_mul_f64 v[79:80], v[79:80], v[91:92]
	s_cbranch_execz .LBB102_232
	s_branch .LBB102_233
.LBB102_231:
                                        ; implicit-def: $vgpr79_vgpr80
.LBB102_232:
	ds_load_b64 v[79:80], v82
.LBB102_233:
	s_and_saveexec_b32 s4, s1
	s_cbranch_execz .LBB102_237
; %bb.234:
	v_dual_mov_b32 v91, 0 :: v_dual_add_nc_u32 v92, -15, v0
	s_movk_i32 s5, 0x1b8
	s_mov_b32 s1, 0
	s_delay_alu instid0(VALU_DEP_1)
	v_add_nc_u32_e32 v91, 0x78, v91
.LBB102_235:                            ; =>This Inner Loop Header: Depth=1
	scratch_load_b64 v[93:94], v91, off
	v_dual_mov_b32 v95, s5 :: v_dual_add_nc_u32 v92, -1, v92
	v_add_nc_u32_e32 v91, 8, v91
	s_add_i32 s5, s5, 8
	ds_load_b64 v[95:96], v95
	v_cmp_eq_u32_e32 vcc_lo, 0, v92
	s_or_b32 s1, vcc_lo, s1
	s_waitcnt vmcnt(0) lgkmcnt(0)
	v_fma_f64 v[79:80], v[93:94], v[95:96], v[79:80]
	s_and_not1_b32 exec_lo, exec_lo, s1
	s_cbranch_execnz .LBB102_235
; %bb.236:
	s_or_b32 exec_lo, exec_lo, s1
.LBB102_237:
	s_delay_alu instid0(SALU_CYCLE_1)
	s_or_b32 exec_lo, exec_lo, s4
	v_mov_b32_e32 v91, 0
	ds_load_b64 v[91:92], v91 offset:112
	s_waitcnt lgkmcnt(0)
	v_mul_f64 v[79:80], v[79:80], v[91:92]
	scratch_store_b64 off, v[79:80], off offset:112
.LBB102_238:
	s_or_b32 exec_lo, exec_lo, s2
	scratch_load_b64 v[79:80], off, off offset:104
	v_cmp_lt_u32_e64 s1, 13, v0
	s_waitcnt vmcnt(0)
	ds_store_b64 v82, v[79:80]
	s_waitcnt lgkmcnt(0)
	s_waitcnt_vscnt null, 0x0
	s_barrier
	buffer_gl0_inv
	s_and_saveexec_b32 s2, s1
	s_cbranch_execz .LBB102_248
; %bb.239:
	s_and_not1_b32 vcc_lo, exec_lo, s3
	s_cbranch_vccnz .LBB102_241
; %bb.240:
	scratch_load_b64 v[79:80], v83, off
	ds_load_b64 v[91:92], v82
	s_waitcnt vmcnt(0) lgkmcnt(0)
	v_mul_f64 v[79:80], v[79:80], v[91:92]
	s_cbranch_execz .LBB102_242
	s_branch .LBB102_243
.LBB102_241:
                                        ; implicit-def: $vgpr79_vgpr80
.LBB102_242:
	ds_load_b64 v[79:80], v82
.LBB102_243:
	s_and_saveexec_b32 s4, s0
	s_cbranch_execz .LBB102_247
; %bb.244:
	v_add_nc_u32_e32 v91, -14, v0
	s_movk_i32 s5, 0x1b0
	s_mov_b32 s0, 0
.LBB102_245:                            ; =>This Inner Loop Header: Depth=1
	scratch_load_b64 v[92:93], v90, off
	v_dual_mov_b32 v94, s5 :: v_dual_add_nc_u32 v91, -1, v91
	v_add_nc_u32_e32 v90, 8, v90
	s_add_i32 s5, s5, 8
	ds_load_b64 v[94:95], v94
	v_cmp_eq_u32_e32 vcc_lo, 0, v91
	s_or_b32 s0, vcc_lo, s0
	s_waitcnt vmcnt(0) lgkmcnt(0)
	v_fma_f64 v[79:80], v[92:93], v[94:95], v[79:80]
	s_and_not1_b32 exec_lo, exec_lo, s0
	s_cbranch_execnz .LBB102_245
; %bb.246:
	s_or_b32 exec_lo, exec_lo, s0
.LBB102_247:
	s_delay_alu instid0(SALU_CYCLE_1)
	s_or_b32 exec_lo, exec_lo, s4
	v_mov_b32_e32 v90, 0
	ds_load_b64 v[90:91], v90 offset:104
	s_waitcnt lgkmcnt(0)
	v_mul_f64 v[79:80], v[79:80], v[90:91]
	scratch_store_b64 off, v[79:80], off offset:104
.LBB102_248:
	s_or_b32 exec_lo, exec_lo, s2
	scratch_load_b64 v[79:80], off, off offset:96
	v_cmp_lt_u32_e64 s0, 12, v0
	s_waitcnt vmcnt(0)
	ds_store_b64 v82, v[79:80]
	s_waitcnt lgkmcnt(0)
	s_waitcnt_vscnt null, 0x0
	s_barrier
	buffer_gl0_inv
	s_and_saveexec_b32 s2, s0
	s_cbranch_execz .LBB102_258
; %bb.249:
	s_and_not1_b32 vcc_lo, exec_lo, s3
	s_cbranch_vccnz .LBB102_251
; %bb.250:
	scratch_load_b64 v[79:80], v83, off
	ds_load_b64 v[90:91], v82
	s_waitcnt vmcnt(0) lgkmcnt(0)
	v_mul_f64 v[79:80], v[79:80], v[90:91]
	s_cbranch_execz .LBB102_252
	s_branch .LBB102_253
.LBB102_251:
                                        ; implicit-def: $vgpr79_vgpr80
.LBB102_252:
	ds_load_b64 v[79:80], v82
.LBB102_253:
	s_and_saveexec_b32 s4, s1
	s_cbranch_execz .LBB102_257
; %bb.254:
	v_dual_mov_b32 v90, 0 :: v_dual_add_nc_u32 v91, -13, v0
	s_movk_i32 s5, 0x1a8
	s_mov_b32 s1, 0
	s_delay_alu instid0(VALU_DEP_1)
	v_add_nc_u32_e32 v90, 0x68, v90
.LBB102_255:                            ; =>This Inner Loop Header: Depth=1
	scratch_load_b64 v[92:93], v90, off
	v_dual_mov_b32 v94, s5 :: v_dual_add_nc_u32 v91, -1, v91
	v_add_nc_u32_e32 v90, 8, v90
	s_add_i32 s5, s5, 8
	ds_load_b64 v[94:95], v94
	v_cmp_eq_u32_e32 vcc_lo, 0, v91
	s_or_b32 s1, vcc_lo, s1
	s_waitcnt vmcnt(0) lgkmcnt(0)
	v_fma_f64 v[79:80], v[92:93], v[94:95], v[79:80]
	s_and_not1_b32 exec_lo, exec_lo, s1
	s_cbranch_execnz .LBB102_255
; %bb.256:
	s_or_b32 exec_lo, exec_lo, s1
.LBB102_257:
	s_delay_alu instid0(SALU_CYCLE_1)
	s_or_b32 exec_lo, exec_lo, s4
	v_mov_b32_e32 v90, 0
	ds_load_b64 v[90:91], v90 offset:96
	s_waitcnt lgkmcnt(0)
	v_mul_f64 v[79:80], v[79:80], v[90:91]
	scratch_store_b64 off, v[79:80], off offset:96
.LBB102_258:
	s_or_b32 exec_lo, exec_lo, s2
	scratch_load_b64 v[79:80], off, off offset:88
	v_cmp_lt_u32_e64 s1, 11, v0
	s_waitcnt vmcnt(0)
	ds_store_b64 v82, v[79:80]
	s_waitcnt lgkmcnt(0)
	s_waitcnt_vscnt null, 0x0
	s_barrier
	buffer_gl0_inv
	s_and_saveexec_b32 s2, s1
	s_cbranch_execz .LBB102_268
; %bb.259:
	s_and_not1_b32 vcc_lo, exec_lo, s3
	s_cbranch_vccnz .LBB102_261
; %bb.260:
	scratch_load_b64 v[79:80], v83, off
	ds_load_b64 v[90:91], v82
	s_waitcnt vmcnt(0) lgkmcnt(0)
	v_mul_f64 v[79:80], v[79:80], v[90:91]
	s_cbranch_execz .LBB102_262
	s_branch .LBB102_263
.LBB102_261:
                                        ; implicit-def: $vgpr79_vgpr80
.LBB102_262:
	ds_load_b64 v[79:80], v82
.LBB102_263:
	s_and_saveexec_b32 s4, s0
	s_cbranch_execz .LBB102_267
; %bb.264:
	v_add_nc_u32_e32 v90, -12, v0
	s_movk_i32 s5, 0x1a0
	s_mov_b32 s0, 0
.LBB102_265:                            ; =>This Inner Loop Header: Depth=1
	scratch_load_b64 v[91:92], v89, off
	v_dual_mov_b32 v93, s5 :: v_dual_add_nc_u32 v90, -1, v90
	v_add_nc_u32_e32 v89, 8, v89
	s_add_i32 s5, s5, 8
	ds_load_b64 v[93:94], v93
	v_cmp_eq_u32_e32 vcc_lo, 0, v90
	s_or_b32 s0, vcc_lo, s0
	s_waitcnt vmcnt(0) lgkmcnt(0)
	v_fma_f64 v[79:80], v[91:92], v[93:94], v[79:80]
	s_and_not1_b32 exec_lo, exec_lo, s0
	s_cbranch_execnz .LBB102_265
; %bb.266:
	s_or_b32 exec_lo, exec_lo, s0
.LBB102_267:
	s_delay_alu instid0(SALU_CYCLE_1)
	s_or_b32 exec_lo, exec_lo, s4
	v_mov_b32_e32 v89, 0
	ds_load_b64 v[89:90], v89 offset:88
	s_waitcnt lgkmcnt(0)
	v_mul_f64 v[79:80], v[79:80], v[89:90]
	scratch_store_b64 off, v[79:80], off offset:88
.LBB102_268:
	s_or_b32 exec_lo, exec_lo, s2
	scratch_load_b64 v[79:80], off, off offset:80
	v_cmp_lt_u32_e64 s0, 10, v0
	s_waitcnt vmcnt(0)
	ds_store_b64 v82, v[79:80]
	s_waitcnt lgkmcnt(0)
	s_waitcnt_vscnt null, 0x0
	s_barrier
	buffer_gl0_inv
	s_and_saveexec_b32 s2, s0
	s_cbranch_execz .LBB102_278
; %bb.269:
	s_and_not1_b32 vcc_lo, exec_lo, s3
	s_cbranch_vccnz .LBB102_271
; %bb.270:
	scratch_load_b64 v[79:80], v83, off
	ds_load_b64 v[89:90], v82
	s_waitcnt vmcnt(0) lgkmcnt(0)
	v_mul_f64 v[79:80], v[79:80], v[89:90]
	s_cbranch_execz .LBB102_272
	s_branch .LBB102_273
.LBB102_271:
                                        ; implicit-def: $vgpr79_vgpr80
.LBB102_272:
	ds_load_b64 v[79:80], v82
.LBB102_273:
	s_and_saveexec_b32 s4, s1
	s_cbranch_execz .LBB102_277
; %bb.274:
	v_dual_mov_b32 v89, 0 :: v_dual_add_nc_u32 v90, -11, v0
	s_movk_i32 s5, 0x198
	s_mov_b32 s1, 0
	s_delay_alu instid0(VALU_DEP_1)
	v_add_nc_u32_e32 v89, 0x58, v89
.LBB102_275:                            ; =>This Inner Loop Header: Depth=1
	scratch_load_b64 v[91:92], v89, off
	v_dual_mov_b32 v93, s5 :: v_dual_add_nc_u32 v90, -1, v90
	v_add_nc_u32_e32 v89, 8, v89
	s_add_i32 s5, s5, 8
	ds_load_b64 v[93:94], v93
	v_cmp_eq_u32_e32 vcc_lo, 0, v90
	s_or_b32 s1, vcc_lo, s1
	s_waitcnt vmcnt(0) lgkmcnt(0)
	v_fma_f64 v[79:80], v[91:92], v[93:94], v[79:80]
	s_and_not1_b32 exec_lo, exec_lo, s1
	s_cbranch_execnz .LBB102_275
; %bb.276:
	s_or_b32 exec_lo, exec_lo, s1
.LBB102_277:
	s_delay_alu instid0(SALU_CYCLE_1)
	s_or_b32 exec_lo, exec_lo, s4
	v_mov_b32_e32 v89, 0
	ds_load_b64 v[89:90], v89 offset:80
	s_waitcnt lgkmcnt(0)
	v_mul_f64 v[79:80], v[79:80], v[89:90]
	scratch_store_b64 off, v[79:80], off offset:80
.LBB102_278:
	s_or_b32 exec_lo, exec_lo, s2
	scratch_load_b64 v[79:80], off, off offset:72
	v_cmp_lt_u32_e64 s1, 9, v0
	s_waitcnt vmcnt(0)
	ds_store_b64 v82, v[79:80]
	s_waitcnt lgkmcnt(0)
	s_waitcnt_vscnt null, 0x0
	s_barrier
	buffer_gl0_inv
	s_and_saveexec_b32 s2, s1
	s_cbranch_execz .LBB102_288
; %bb.279:
	s_and_not1_b32 vcc_lo, exec_lo, s3
	s_cbranch_vccnz .LBB102_281
; %bb.280:
	scratch_load_b64 v[79:80], v83, off
	ds_load_b64 v[89:90], v82
	s_waitcnt vmcnt(0) lgkmcnt(0)
	v_mul_f64 v[79:80], v[79:80], v[89:90]
	s_cbranch_execz .LBB102_282
	s_branch .LBB102_283
.LBB102_281:
                                        ; implicit-def: $vgpr79_vgpr80
.LBB102_282:
	ds_load_b64 v[79:80], v82
.LBB102_283:
	s_and_saveexec_b32 s4, s0
	s_cbranch_execz .LBB102_287
; %bb.284:
	v_add_nc_u32_e32 v89, -10, v0
	s_movk_i32 s5, 0x190
	s_mov_b32 s0, 0
.LBB102_285:                            ; =>This Inner Loop Header: Depth=1
	scratch_load_b64 v[90:91], v88, off
	v_dual_mov_b32 v92, s5 :: v_dual_add_nc_u32 v89, -1, v89
	v_add_nc_u32_e32 v88, 8, v88
	s_add_i32 s5, s5, 8
	ds_load_b64 v[92:93], v92
	v_cmp_eq_u32_e32 vcc_lo, 0, v89
	s_or_b32 s0, vcc_lo, s0
	s_waitcnt vmcnt(0) lgkmcnt(0)
	v_fma_f64 v[79:80], v[90:91], v[92:93], v[79:80]
	s_and_not1_b32 exec_lo, exec_lo, s0
	s_cbranch_execnz .LBB102_285
; %bb.286:
	s_or_b32 exec_lo, exec_lo, s0
.LBB102_287:
	s_delay_alu instid0(SALU_CYCLE_1)
	s_or_b32 exec_lo, exec_lo, s4
	v_mov_b32_e32 v88, 0
	ds_load_b64 v[88:89], v88 offset:72
	s_waitcnt lgkmcnt(0)
	v_mul_f64 v[79:80], v[79:80], v[88:89]
	scratch_store_b64 off, v[79:80], off offset:72
.LBB102_288:
	s_or_b32 exec_lo, exec_lo, s2
	scratch_load_b64 v[79:80], off, off offset:64
	v_cmp_lt_u32_e64 s0, 8, v0
	s_waitcnt vmcnt(0)
	ds_store_b64 v82, v[79:80]
	s_waitcnt lgkmcnt(0)
	s_waitcnt_vscnt null, 0x0
	s_barrier
	buffer_gl0_inv
	s_and_saveexec_b32 s2, s0
	s_cbranch_execz .LBB102_298
; %bb.289:
	s_and_not1_b32 vcc_lo, exec_lo, s3
	s_cbranch_vccnz .LBB102_291
; %bb.290:
	scratch_load_b64 v[79:80], v83, off
	ds_load_b64 v[88:89], v82
	s_waitcnt vmcnt(0) lgkmcnt(0)
	v_mul_f64 v[79:80], v[79:80], v[88:89]
	s_cbranch_execz .LBB102_292
	s_branch .LBB102_293
.LBB102_291:
                                        ; implicit-def: $vgpr79_vgpr80
.LBB102_292:
	ds_load_b64 v[79:80], v82
.LBB102_293:
	s_and_saveexec_b32 s4, s1
	s_cbranch_execz .LBB102_297
; %bb.294:
	v_dual_mov_b32 v88, 0 :: v_dual_add_nc_u32 v89, -9, v0
	s_movk_i32 s5, 0x188
	s_mov_b32 s1, 0
	s_delay_alu instid0(VALU_DEP_1)
	v_add_nc_u32_e32 v88, 0x48, v88
.LBB102_295:                            ; =>This Inner Loop Header: Depth=1
	scratch_load_b64 v[90:91], v88, off
	v_dual_mov_b32 v92, s5 :: v_dual_add_nc_u32 v89, -1, v89
	v_add_nc_u32_e32 v88, 8, v88
	s_add_i32 s5, s5, 8
	ds_load_b64 v[92:93], v92
	v_cmp_eq_u32_e32 vcc_lo, 0, v89
	s_or_b32 s1, vcc_lo, s1
	s_waitcnt vmcnt(0) lgkmcnt(0)
	v_fma_f64 v[79:80], v[90:91], v[92:93], v[79:80]
	s_and_not1_b32 exec_lo, exec_lo, s1
	s_cbranch_execnz .LBB102_295
; %bb.296:
	s_or_b32 exec_lo, exec_lo, s1
.LBB102_297:
	s_delay_alu instid0(SALU_CYCLE_1)
	s_or_b32 exec_lo, exec_lo, s4
	v_mov_b32_e32 v88, 0
	ds_load_b64 v[88:89], v88 offset:64
	s_waitcnt lgkmcnt(0)
	v_mul_f64 v[79:80], v[79:80], v[88:89]
	scratch_store_b64 off, v[79:80], off offset:64
.LBB102_298:
	s_or_b32 exec_lo, exec_lo, s2
	scratch_load_b64 v[79:80], off, off offset:56
	v_cmp_lt_u32_e64 s1, 7, v0
	s_waitcnt vmcnt(0)
	ds_store_b64 v82, v[79:80]
	s_waitcnt lgkmcnt(0)
	s_waitcnt_vscnt null, 0x0
	s_barrier
	buffer_gl0_inv
	s_and_saveexec_b32 s2, s1
	s_cbranch_execz .LBB102_308
; %bb.299:
	s_and_not1_b32 vcc_lo, exec_lo, s3
	s_cbranch_vccnz .LBB102_301
; %bb.300:
	scratch_load_b64 v[79:80], v83, off
	ds_load_b64 v[88:89], v82
	s_waitcnt vmcnt(0) lgkmcnt(0)
	v_mul_f64 v[79:80], v[79:80], v[88:89]
	s_cbranch_execz .LBB102_302
	s_branch .LBB102_303
.LBB102_301:
                                        ; implicit-def: $vgpr79_vgpr80
.LBB102_302:
	ds_load_b64 v[79:80], v82
.LBB102_303:
	s_and_saveexec_b32 s4, s0
	s_cbranch_execz .LBB102_307
; %bb.304:
	v_add_nc_u32_e32 v88, -8, v0
	s_movk_i32 s5, 0x180
	s_mov_b32 s0, 0
.LBB102_305:                            ; =>This Inner Loop Header: Depth=1
	scratch_load_b64 v[89:90], v87, off
	v_dual_mov_b32 v91, s5 :: v_dual_add_nc_u32 v88, -1, v88
	v_add_nc_u32_e32 v87, 8, v87
	s_add_i32 s5, s5, 8
	ds_load_b64 v[91:92], v91
	v_cmp_eq_u32_e32 vcc_lo, 0, v88
	s_or_b32 s0, vcc_lo, s0
	s_waitcnt vmcnt(0) lgkmcnt(0)
	v_fma_f64 v[79:80], v[89:90], v[91:92], v[79:80]
	s_and_not1_b32 exec_lo, exec_lo, s0
	s_cbranch_execnz .LBB102_305
; %bb.306:
	s_or_b32 exec_lo, exec_lo, s0
.LBB102_307:
	s_delay_alu instid0(SALU_CYCLE_1)
	s_or_b32 exec_lo, exec_lo, s4
	v_mov_b32_e32 v87, 0
	ds_load_b64 v[87:88], v87 offset:56
	s_waitcnt lgkmcnt(0)
	v_mul_f64 v[79:80], v[79:80], v[87:88]
	scratch_store_b64 off, v[79:80], off offset:56
.LBB102_308:
	s_or_b32 exec_lo, exec_lo, s2
	scratch_load_b64 v[79:80], off, off offset:48
	v_cmp_lt_u32_e64 s0, 6, v0
	s_waitcnt vmcnt(0)
	ds_store_b64 v82, v[79:80]
	s_waitcnt lgkmcnt(0)
	s_waitcnt_vscnt null, 0x0
	s_barrier
	buffer_gl0_inv
	s_and_saveexec_b32 s2, s0
	s_cbranch_execz .LBB102_318
; %bb.309:
	s_and_not1_b32 vcc_lo, exec_lo, s3
	s_cbranch_vccnz .LBB102_311
; %bb.310:
	scratch_load_b64 v[79:80], v83, off
	ds_load_b64 v[87:88], v82
	s_waitcnt vmcnt(0) lgkmcnt(0)
	v_mul_f64 v[79:80], v[79:80], v[87:88]
	s_cbranch_execz .LBB102_312
	s_branch .LBB102_313
.LBB102_311:
                                        ; implicit-def: $vgpr79_vgpr80
.LBB102_312:
	ds_load_b64 v[79:80], v82
.LBB102_313:
	s_and_saveexec_b32 s4, s1
	s_cbranch_execz .LBB102_317
; %bb.314:
	v_add_nc_u32_e64 v87, 0, 56
	v_add_nc_u32_e32 v88, -7, v0
	s_movk_i32 s5, 0x178
	s_mov_b32 s1, 0
.LBB102_315:                            ; =>This Inner Loop Header: Depth=1
	scratch_load_b64 v[89:90], v87, off
	v_dual_mov_b32 v91, s5 :: v_dual_add_nc_u32 v88, -1, v88
	v_add_nc_u32_e32 v87, 8, v87
	s_add_i32 s5, s5, 8
	ds_load_b64 v[91:92], v91
	v_cmp_eq_u32_e32 vcc_lo, 0, v88
	s_or_b32 s1, vcc_lo, s1
	s_waitcnt vmcnt(0) lgkmcnt(0)
	v_fma_f64 v[79:80], v[89:90], v[91:92], v[79:80]
	s_and_not1_b32 exec_lo, exec_lo, s1
	s_cbranch_execnz .LBB102_315
; %bb.316:
	s_or_b32 exec_lo, exec_lo, s1
.LBB102_317:
	s_delay_alu instid0(SALU_CYCLE_1)
	s_or_b32 exec_lo, exec_lo, s4
	v_mov_b32_e32 v87, 0
	ds_load_b64 v[87:88], v87 offset:48
	s_waitcnt lgkmcnt(0)
	v_mul_f64 v[79:80], v[79:80], v[87:88]
	scratch_store_b64 off, v[79:80], off offset:48
.LBB102_318:
	s_or_b32 exec_lo, exec_lo, s2
	scratch_load_b64 v[79:80], off, off offset:40
	v_cmp_lt_u32_e64 s1, 5, v0
	s_waitcnt vmcnt(0)
	ds_store_b64 v82, v[79:80]
	s_waitcnt lgkmcnt(0)
	s_waitcnt_vscnt null, 0x0
	s_barrier
	buffer_gl0_inv
	s_and_saveexec_b32 s2, s1
	s_cbranch_execz .LBB102_328
; %bb.319:
	s_and_not1_b32 vcc_lo, exec_lo, s3
	s_cbranch_vccnz .LBB102_321
; %bb.320:
	scratch_load_b64 v[79:80], v83, off
	ds_load_b64 v[87:88], v82
	s_waitcnt vmcnt(0) lgkmcnt(0)
	v_mul_f64 v[79:80], v[79:80], v[87:88]
	s_cbranch_execz .LBB102_322
	s_branch .LBB102_323
.LBB102_321:
                                        ; implicit-def: $vgpr79_vgpr80
.LBB102_322:
	ds_load_b64 v[79:80], v82
.LBB102_323:
	s_and_saveexec_b32 s4, s0
	s_cbranch_execz .LBB102_327
; %bb.324:
	v_add_nc_u32_e32 v87, -6, v0
	s_movk_i32 s5, 0x170
	s_mov_b32 s0, 0
.LBB102_325:                            ; =>This Inner Loop Header: Depth=1
	scratch_load_b64 v[88:89], v86, off
	v_dual_mov_b32 v90, s5 :: v_dual_add_nc_u32 v87, -1, v87
	v_add_nc_u32_e32 v86, 8, v86
	s_add_i32 s5, s5, 8
	ds_load_b64 v[90:91], v90
	v_cmp_eq_u32_e32 vcc_lo, 0, v87
	s_or_b32 s0, vcc_lo, s0
	s_waitcnt vmcnt(0) lgkmcnt(0)
	v_fma_f64 v[79:80], v[88:89], v[90:91], v[79:80]
	s_and_not1_b32 exec_lo, exec_lo, s0
	s_cbranch_execnz .LBB102_325
; %bb.326:
	s_or_b32 exec_lo, exec_lo, s0
.LBB102_327:
	s_delay_alu instid0(SALU_CYCLE_1)
	s_or_b32 exec_lo, exec_lo, s4
	v_mov_b32_e32 v86, 0
	ds_load_b64 v[86:87], v86 offset:40
	s_waitcnt lgkmcnt(0)
	v_mul_f64 v[79:80], v[79:80], v[86:87]
	scratch_store_b64 off, v[79:80], off offset:40
.LBB102_328:
	s_or_b32 exec_lo, exec_lo, s2
	scratch_load_b64 v[79:80], off, off offset:32
	v_cmp_lt_u32_e64 s0, 4, v0
	s_waitcnt vmcnt(0)
	ds_store_b64 v82, v[79:80]
	s_waitcnt lgkmcnt(0)
	s_waitcnt_vscnt null, 0x0
	s_barrier
	buffer_gl0_inv
	s_and_saveexec_b32 s2, s0
	s_cbranch_execz .LBB102_338
; %bb.329:
	s_and_not1_b32 vcc_lo, exec_lo, s3
	s_cbranch_vccnz .LBB102_331
; %bb.330:
	scratch_load_b64 v[79:80], v83, off
	ds_load_b64 v[86:87], v82
	s_waitcnt vmcnt(0) lgkmcnt(0)
	v_mul_f64 v[79:80], v[79:80], v[86:87]
	s_cbranch_execz .LBB102_332
	s_branch .LBB102_333
.LBB102_331:
                                        ; implicit-def: $vgpr79_vgpr80
.LBB102_332:
	ds_load_b64 v[79:80], v82
.LBB102_333:
	s_and_saveexec_b32 s4, s1
	s_cbranch_execz .LBB102_337
; %bb.334:
	v_add_nc_u32_e64 v86, 0, 40
	v_add_nc_u32_e32 v87, -5, v0
	s_movk_i32 s5, 0x168
	s_mov_b32 s1, 0
.LBB102_335:                            ; =>This Inner Loop Header: Depth=1
	scratch_load_b64 v[88:89], v86, off
	v_dual_mov_b32 v90, s5 :: v_dual_add_nc_u32 v87, -1, v87
	v_add_nc_u32_e32 v86, 8, v86
	s_add_i32 s5, s5, 8
	ds_load_b64 v[90:91], v90
	v_cmp_eq_u32_e32 vcc_lo, 0, v87
	s_or_b32 s1, vcc_lo, s1
	s_waitcnt vmcnt(0) lgkmcnt(0)
	v_fma_f64 v[79:80], v[88:89], v[90:91], v[79:80]
	s_and_not1_b32 exec_lo, exec_lo, s1
	s_cbranch_execnz .LBB102_335
; %bb.336:
	s_or_b32 exec_lo, exec_lo, s1
.LBB102_337:
	s_delay_alu instid0(SALU_CYCLE_1)
	s_or_b32 exec_lo, exec_lo, s4
	v_mov_b32_e32 v86, 0
	ds_load_b64 v[86:87], v86 offset:32
	s_waitcnt lgkmcnt(0)
	v_mul_f64 v[79:80], v[79:80], v[86:87]
	scratch_store_b64 off, v[79:80], off offset:32
.LBB102_338:
	s_or_b32 exec_lo, exec_lo, s2
	scratch_load_b64 v[79:80], off, off offset:24
	v_cmp_lt_u32_e64 s1, 3, v0
	s_waitcnt vmcnt(0)
	ds_store_b64 v82, v[79:80]
	s_waitcnt lgkmcnt(0)
	s_waitcnt_vscnt null, 0x0
	s_barrier
	buffer_gl0_inv
	s_and_saveexec_b32 s2, s1
	s_cbranch_execz .LBB102_348
; %bb.339:
	s_and_not1_b32 vcc_lo, exec_lo, s3
	s_cbranch_vccnz .LBB102_341
; %bb.340:
	scratch_load_b64 v[79:80], v83, off
	ds_load_b64 v[86:87], v82
	s_waitcnt vmcnt(0) lgkmcnt(0)
	v_mul_f64 v[79:80], v[79:80], v[86:87]
	s_cbranch_execz .LBB102_342
	s_branch .LBB102_343
.LBB102_341:
                                        ; implicit-def: $vgpr79_vgpr80
.LBB102_342:
	ds_load_b64 v[79:80], v82
.LBB102_343:
	s_and_saveexec_b32 s4, s0
	s_cbranch_execz .LBB102_347
; %bb.344:
	v_add_nc_u32_e32 v86, -4, v0
	s_movk_i32 s5, 0x160
	s_mov_b32 s0, 0
.LBB102_345:                            ; =>This Inner Loop Header: Depth=1
	scratch_load_b64 v[87:88], v85, off
	v_dual_mov_b32 v89, s5 :: v_dual_add_nc_u32 v86, -1, v86
	v_add_nc_u32_e32 v85, 8, v85
	s_add_i32 s5, s5, 8
	ds_load_b64 v[89:90], v89
	v_cmp_eq_u32_e32 vcc_lo, 0, v86
	s_or_b32 s0, vcc_lo, s0
	s_waitcnt vmcnt(0) lgkmcnt(0)
	v_fma_f64 v[79:80], v[87:88], v[89:90], v[79:80]
	s_and_not1_b32 exec_lo, exec_lo, s0
	s_cbranch_execnz .LBB102_345
; %bb.346:
	s_or_b32 exec_lo, exec_lo, s0
.LBB102_347:
	s_delay_alu instid0(SALU_CYCLE_1)
	s_or_b32 exec_lo, exec_lo, s4
	v_mov_b32_e32 v85, 0
	ds_load_b64 v[85:86], v85 offset:24
	s_waitcnt lgkmcnt(0)
	v_mul_f64 v[79:80], v[79:80], v[85:86]
	scratch_store_b64 off, v[79:80], off offset:24
.LBB102_348:
	s_or_b32 exec_lo, exec_lo, s2
	scratch_load_b64 v[79:80], off, off offset:16
	v_cmp_lt_u32_e64 s0, 2, v0
	s_waitcnt vmcnt(0)
	ds_store_b64 v82, v[79:80]
	s_waitcnt lgkmcnt(0)
	s_waitcnt_vscnt null, 0x0
	s_barrier
	buffer_gl0_inv
	s_and_saveexec_b32 s2, s0
	s_cbranch_execz .LBB102_358
; %bb.349:
	s_and_not1_b32 vcc_lo, exec_lo, s3
	s_cbranch_vccnz .LBB102_351
; %bb.350:
	scratch_load_b64 v[79:80], v83, off
	ds_load_b64 v[85:86], v82
	s_waitcnt vmcnt(0) lgkmcnt(0)
	v_mul_f64 v[79:80], v[79:80], v[85:86]
	s_cbranch_execz .LBB102_352
	s_branch .LBB102_353
.LBB102_351:
                                        ; implicit-def: $vgpr79_vgpr80
.LBB102_352:
	ds_load_b64 v[79:80], v82
.LBB102_353:
	s_and_saveexec_b32 s4, s1
	s_cbranch_execz .LBB102_357
; %bb.354:
	v_add_nc_u32_e64 v85, 0, 24
	v_add_nc_u32_e32 v86, -3, v0
	s_movk_i32 s5, 0x158
	s_mov_b32 s1, 0
.LBB102_355:                            ; =>This Inner Loop Header: Depth=1
	scratch_load_b64 v[87:88], v85, off
	v_dual_mov_b32 v89, s5 :: v_dual_add_nc_u32 v86, -1, v86
	v_add_nc_u32_e32 v85, 8, v85
	s_add_i32 s5, s5, 8
	ds_load_b64 v[89:90], v89
	v_cmp_eq_u32_e32 vcc_lo, 0, v86
	s_or_b32 s1, vcc_lo, s1
	s_waitcnt vmcnt(0) lgkmcnt(0)
	v_fma_f64 v[79:80], v[87:88], v[89:90], v[79:80]
	s_and_not1_b32 exec_lo, exec_lo, s1
	s_cbranch_execnz .LBB102_355
; %bb.356:
	s_or_b32 exec_lo, exec_lo, s1
.LBB102_357:
	s_delay_alu instid0(SALU_CYCLE_1)
	s_or_b32 exec_lo, exec_lo, s4
	v_mov_b32_e32 v85, 0
	ds_load_b64 v[85:86], v85 offset:16
	s_waitcnt lgkmcnt(0)
	v_mul_f64 v[79:80], v[79:80], v[85:86]
	scratch_store_b64 off, v[79:80], off offset:16
.LBB102_358:
	s_or_b32 exec_lo, exec_lo, s2
	scratch_load_b64 v[79:80], off, off offset:8
	v_cmp_lt_u32_e64 s1, 1, v0
	s_waitcnt vmcnt(0)
	ds_store_b64 v82, v[79:80]
	s_waitcnt lgkmcnt(0)
	s_waitcnt_vscnt null, 0x0
	s_barrier
	buffer_gl0_inv
	s_and_saveexec_b32 s2, s1
	s_cbranch_execz .LBB102_368
; %bb.359:
	s_and_not1_b32 vcc_lo, exec_lo, s3
	s_cbranch_vccnz .LBB102_361
; %bb.360:
	scratch_load_b64 v[79:80], v83, off
	ds_load_b64 v[85:86], v82
	s_waitcnt vmcnt(0) lgkmcnt(0)
	v_mul_f64 v[79:80], v[79:80], v[85:86]
	s_cbranch_execz .LBB102_362
	s_branch .LBB102_363
.LBB102_361:
                                        ; implicit-def: $vgpr79_vgpr80
.LBB102_362:
	ds_load_b64 v[79:80], v82
.LBB102_363:
	s_and_saveexec_b32 s4, s0
	s_cbranch_execz .LBB102_367
; %bb.364:
	v_add_nc_u32_e32 v85, -2, v0
	s_movk_i32 s5, 0x150
	s_mov_b32 s0, 0
.LBB102_365:                            ; =>This Inner Loop Header: Depth=1
	scratch_load_b64 v[86:87], v84, off
	v_dual_mov_b32 v88, s5 :: v_dual_add_nc_u32 v85, -1, v85
	v_add_nc_u32_e32 v84, 8, v84
	s_add_i32 s5, s5, 8
	ds_load_b64 v[88:89], v88
	v_cmp_eq_u32_e32 vcc_lo, 0, v85
	s_or_b32 s0, vcc_lo, s0
	s_waitcnt vmcnt(0) lgkmcnt(0)
	v_fma_f64 v[79:80], v[86:87], v[88:89], v[79:80]
	s_and_not1_b32 exec_lo, exec_lo, s0
	s_cbranch_execnz .LBB102_365
; %bb.366:
	s_or_b32 exec_lo, exec_lo, s0
.LBB102_367:
	s_delay_alu instid0(SALU_CYCLE_1)
	s_or_b32 exec_lo, exec_lo, s4
	v_mov_b32_e32 v84, 0
	ds_load_b64 v[84:85], v84 offset:8
	s_waitcnt lgkmcnt(0)
	v_mul_f64 v[79:80], v[79:80], v[84:85]
	scratch_store_b64 off, v[79:80], off offset:8
.LBB102_368:
	s_or_b32 exec_lo, exec_lo, s2
	scratch_load_b64 v[79:80], off, off
	s_mov_b32 s0, 0
	s_mov_b32 s2, exec_lo
	s_waitcnt vmcnt(0)
	ds_store_b64 v82, v[79:80]
	s_waitcnt lgkmcnt(0)
	s_waitcnt_vscnt null, 0x0
	s_barrier
	buffer_gl0_inv
	v_cmpx_ne_u32_e32 0, v0
	s_cbranch_execz .LBB102_378
; %bb.369:
	s_and_not1_b32 vcc_lo, exec_lo, s3
	s_cbranch_vccnz .LBB102_371
; %bb.370:
	scratch_load_b64 v[79:80], v83, off
	ds_load_b64 v[84:85], v82
	s_waitcnt vmcnt(0) lgkmcnt(0)
	v_mul_f64 v[79:80], v[79:80], v[84:85]
	s_cbranch_execz .LBB102_372
	s_branch .LBB102_373
.LBB102_371:
                                        ; implicit-def: $vgpr79_vgpr80
.LBB102_372:
	ds_load_b64 v[79:80], v82
.LBB102_373:
	s_and_saveexec_b32 s4, s1
	s_cbranch_execz .LBB102_377
; %bb.374:
	v_or_b32_e64 v84, 0, 8
	v_add_nc_u32_e32 v85, -1, v0
	s_movk_i32 s5, 0x148
	s_mov_b32 s1, 0
.LBB102_375:                            ; =>This Inner Loop Header: Depth=1
	scratch_load_b64 v[86:87], v84, off
	v_dual_mov_b32 v88, s5 :: v_dual_add_nc_u32 v85, -1, v85
	v_add_nc_u32_e32 v84, 8, v84
	s_add_i32 s5, s5, 8
	ds_load_b64 v[88:89], v88
	v_cmp_eq_u32_e32 vcc_lo, 0, v85
	s_or_b32 s1, vcc_lo, s1
	s_waitcnt vmcnt(0) lgkmcnt(0)
	v_fma_f64 v[79:80], v[86:87], v[88:89], v[79:80]
	s_and_not1_b32 exec_lo, exec_lo, s1
	s_cbranch_execnz .LBB102_375
; %bb.376:
	s_or_b32 exec_lo, exec_lo, s1
.LBB102_377:
	s_delay_alu instid0(SALU_CYCLE_1)
	s_or_b32 exec_lo, exec_lo, s4
	v_mov_b32_e32 v84, 0
	ds_load_b64 v[84:85], v84
	s_waitcnt lgkmcnt(0)
	v_mul_f64 v[79:80], v[79:80], v[84:85]
	scratch_store_b64 off, v[79:80], off
.LBB102_378:
	s_or_b32 exec_lo, exec_lo, s2
.LBB102_379:
	s_delay_alu instid0(SALU_CYCLE_1)
	s_and_b32 vcc_lo, exec_lo, s0
	s_cbranch_vccz .LBB102_755
; %bb.380:
	scratch_load_b64 v[79:80], off, off offset:8
	v_cmp_eq_u32_e64 s0, 0, v0
	s_waitcnt vmcnt(0)
	ds_store_b64 v82, v[79:80]
	s_waitcnt lgkmcnt(0)
	s_waitcnt_vscnt null, 0x0
	s_barrier
	buffer_gl0_inv
	s_and_saveexec_b32 s1, s0
	s_cbranch_execz .LBB102_386
; %bb.381:
	s_and_b32 vcc_lo, exec_lo, s3
	s_cbranch_vccz .LBB102_383
; %bb.382:
	scratch_load_b64 v[79:80], v83, off
	ds_load_b64 v[84:85], v82
	s_waitcnt vmcnt(0) lgkmcnt(0)
	v_mul_f64 v[79:80], v[79:80], v[84:85]
	s_cbranch_execz .LBB102_384
	s_branch .LBB102_385
.LBB102_383:
                                        ; implicit-def: $vgpr79_vgpr80
.LBB102_384:
	ds_load_b64 v[79:80], v82
.LBB102_385:
	v_mov_b32_e32 v84, 0
	ds_load_b64 v[84:85], v84 offset:8
	s_waitcnt lgkmcnt(0)
	v_mul_f64 v[79:80], v[79:80], v[84:85]
	scratch_store_b64 off, v[79:80], off offset:8
.LBB102_386:
	s_or_b32 exec_lo, exec_lo, s1
	scratch_load_b64 v[79:80], off, off offset:16
	v_cndmask_b32_e64 v84, 0, 1, s3
	s_mov_b32 s1, exec_lo
	s_waitcnt vmcnt(0)
	ds_store_b64 v82, v[79:80]
	s_waitcnt lgkmcnt(0)
	s_waitcnt_vscnt null, 0x0
	s_barrier
	buffer_gl0_inv
	v_cmpx_gt_u32_e32 2, v0
	s_cbranch_execz .LBB102_394
; %bb.387:
	s_and_not1_b32 vcc_lo, exec_lo, s3
	s_cbranch_vccnz .LBB102_389
; %bb.388:
	scratch_load_b64 v[79:80], v83, off
	ds_load_b64 v[85:86], v82
	s_waitcnt vmcnt(0) lgkmcnt(0)
	v_mul_f64 v[79:80], v[79:80], v[85:86]
	s_cbranch_execz .LBB102_390
	s_branch .LBB102_391
.LBB102_389:
                                        ; implicit-def: $vgpr79_vgpr80
.LBB102_390:
	ds_load_b64 v[79:80], v82
.LBB102_391:
	s_and_saveexec_b32 s2, s0
	s_cbranch_execz .LBB102_393
; %bb.392:
	scratch_load_b64 v[85:86], v83, off offset:8
	ds_load_b64 v[87:88], v82 offset:8
	s_waitcnt vmcnt(0) lgkmcnt(0)
	v_fma_f64 v[79:80], v[85:86], v[87:88], v[79:80]
.LBB102_393:
	s_or_b32 exec_lo, exec_lo, s2
	v_mov_b32_e32 v85, 0
	ds_load_b64 v[85:86], v85 offset:16
	s_waitcnt lgkmcnt(0)
	v_mul_f64 v[79:80], v[79:80], v[85:86]
	scratch_store_b64 off, v[79:80], off offset:16
.LBB102_394:
	s_or_b32 exec_lo, exec_lo, s1
	scratch_load_b64 v[79:80], off, off offset:24
	s_mov_b32 s1, exec_lo
	s_waitcnt vmcnt(0)
	ds_store_b64 v82, v[79:80]
	s_waitcnt lgkmcnt(0)
	s_waitcnt_vscnt null, 0x0
	s_barrier
	buffer_gl0_inv
	v_cmpx_gt_u32_e32 3, v0
	s_cbranch_execz .LBB102_404
; %bb.395:
	v_cmp_ne_u32_e32 vcc_lo, 1, v84
	s_cbranch_vccnz .LBB102_397
; %bb.396:
	scratch_load_b64 v[79:80], v83, off
	ds_load_b64 v[85:86], v82
	s_waitcnt vmcnt(0) lgkmcnt(0)
	v_mul_f64 v[79:80], v[79:80], v[85:86]
	s_cbranch_execz .LBB102_398
	s_branch .LBB102_399
.LBB102_397:
                                        ; implicit-def: $vgpr79_vgpr80
.LBB102_398:
	ds_load_b64 v[79:80], v82
.LBB102_399:
	s_mov_b32 s2, exec_lo
	v_cmpx_ne_u32_e32 2, v0
	s_cbranch_execz .LBB102_403
; %bb.400:
	scratch_load_b64 v[85:86], v83, off offset:8
	ds_load_b64 v[87:88], v82 offset:8
	s_waitcnt vmcnt(0) lgkmcnt(0)
	v_fma_f64 v[79:80], v[85:86], v[87:88], v[79:80]
	s_and_saveexec_b32 s3, s0
	s_cbranch_execz .LBB102_402
; %bb.401:
	scratch_load_b64 v[85:86], off, off offset:16
	v_mov_b32_e32 v87, 0
	ds_load_b64 v[87:88], v87 offset:336
	s_waitcnt vmcnt(0) lgkmcnt(0)
	v_fma_f64 v[79:80], v[85:86], v[87:88], v[79:80]
.LBB102_402:
	s_or_b32 exec_lo, exec_lo, s3
.LBB102_403:
	s_delay_alu instid0(SALU_CYCLE_1)
	s_or_b32 exec_lo, exec_lo, s2
	v_mov_b32_e32 v85, 0
	ds_load_b64 v[85:86], v85 offset:24
	s_waitcnt lgkmcnt(0)
	v_mul_f64 v[79:80], v[79:80], v[85:86]
	scratch_store_b64 off, v[79:80], off offset:24
.LBB102_404:
	s_or_b32 exec_lo, exec_lo, s1
	scratch_load_b64 v[79:80], off, off offset:32
	s_mov_b32 s0, exec_lo
	s_waitcnt vmcnt(0)
	ds_store_b64 v82, v[79:80]
	s_waitcnt lgkmcnt(0)
	s_waitcnt_vscnt null, 0x0
	s_barrier
	buffer_gl0_inv
	v_cmpx_gt_u32_e32 4, v0
	s_cbranch_execz .LBB102_414
; %bb.405:
	v_cmp_ne_u32_e32 vcc_lo, 1, v84
	s_cbranch_vccnz .LBB102_407
; %bb.406:
	scratch_load_b64 v[79:80], v83, off
	ds_load_b64 v[85:86], v82
	s_waitcnt vmcnt(0) lgkmcnt(0)
	v_mul_f64 v[79:80], v[79:80], v[85:86]
	s_cbranch_execz .LBB102_408
	s_branch .LBB102_409
.LBB102_407:
                                        ; implicit-def: $vgpr79_vgpr80
.LBB102_408:
	ds_load_b64 v[79:80], v82
.LBB102_409:
	s_mov_b32 s1, exec_lo
	v_cmpx_ne_u32_e32 3, v0
	s_cbranch_execz .LBB102_413
; %bb.410:
	v_add_nc_u32_e32 v85, 0x148, v81
	v_add3_u32 v86, 0, v81, 8
	v_mov_b32_e32 v87, v0
	s_mov_b32 s2, 0
.LBB102_411:                            ; =>This Inner Loop Header: Depth=1
	scratch_load_b64 v[88:89], v86, off
	ds_load_b64 v[90:91], v85
	v_add_nc_u32_e32 v87, 1, v87
	v_add_nc_u32_e32 v85, 8, v85
	v_add_nc_u32_e32 v86, 8, v86
	s_delay_alu instid0(VALU_DEP_3)
	v_cmp_lt_u32_e32 vcc_lo, 2, v87
	s_or_b32 s2, vcc_lo, s2
	s_waitcnt vmcnt(0) lgkmcnt(0)
	v_fma_f64 v[79:80], v[88:89], v[90:91], v[79:80]
	s_and_not1_b32 exec_lo, exec_lo, s2
	s_cbranch_execnz .LBB102_411
; %bb.412:
	s_or_b32 exec_lo, exec_lo, s2
.LBB102_413:
	s_delay_alu instid0(SALU_CYCLE_1)
	s_or_b32 exec_lo, exec_lo, s1
	v_mov_b32_e32 v85, 0
	ds_load_b64 v[85:86], v85 offset:32
	s_waitcnt lgkmcnt(0)
	v_mul_f64 v[79:80], v[79:80], v[85:86]
	scratch_store_b64 off, v[79:80], off offset:32
.LBB102_414:
	s_or_b32 exec_lo, exec_lo, s0
	scratch_load_b64 v[79:80], off, off offset:40
	s_mov_b32 s0, exec_lo
	s_waitcnt vmcnt(0)
	ds_store_b64 v82, v[79:80]
	s_waitcnt lgkmcnt(0)
	s_waitcnt_vscnt null, 0x0
	s_barrier
	buffer_gl0_inv
	v_cmpx_gt_u32_e32 5, v0
	s_cbranch_execz .LBB102_424
; %bb.415:
	v_cmp_ne_u32_e32 vcc_lo, 1, v84
	s_cbranch_vccnz .LBB102_417
; %bb.416:
	scratch_load_b64 v[79:80], v83, off
	ds_load_b64 v[85:86], v82
	s_waitcnt vmcnt(0) lgkmcnt(0)
	v_mul_f64 v[79:80], v[79:80], v[85:86]
	s_cbranch_execz .LBB102_418
	s_branch .LBB102_419
.LBB102_417:
                                        ; implicit-def: $vgpr79_vgpr80
.LBB102_418:
	ds_load_b64 v[79:80], v82
.LBB102_419:
	s_mov_b32 s1, exec_lo
	v_cmpx_ne_u32_e32 4, v0
	s_cbranch_execz .LBB102_423
; %bb.420:
	v_add_nc_u32_e32 v85, 0x148, v81
	v_add3_u32 v86, 0, v81, 8
	v_mov_b32_e32 v87, v0
	s_mov_b32 s2, 0
.LBB102_421:                            ; =>This Inner Loop Header: Depth=1
	scratch_load_b64 v[88:89], v86, off
	ds_load_b64 v[90:91], v85
	v_add_nc_u32_e32 v87, 1, v87
	v_add_nc_u32_e32 v85, 8, v85
	v_add_nc_u32_e32 v86, 8, v86
	s_delay_alu instid0(VALU_DEP_3)
	v_cmp_lt_u32_e32 vcc_lo, 3, v87
	s_or_b32 s2, vcc_lo, s2
	s_waitcnt vmcnt(0) lgkmcnt(0)
	v_fma_f64 v[79:80], v[88:89], v[90:91], v[79:80]
	s_and_not1_b32 exec_lo, exec_lo, s2
	s_cbranch_execnz .LBB102_421
; %bb.422:
	s_or_b32 exec_lo, exec_lo, s2
.LBB102_423:
	s_delay_alu instid0(SALU_CYCLE_1)
	s_or_b32 exec_lo, exec_lo, s1
	v_mov_b32_e32 v85, 0
	ds_load_b64 v[85:86], v85 offset:40
	s_waitcnt lgkmcnt(0)
	v_mul_f64 v[79:80], v[79:80], v[85:86]
	scratch_store_b64 off, v[79:80], off offset:40
.LBB102_424:
	;; [unrolled: 58-line block ×33, first 2 shown]
	s_or_b32 exec_lo, exec_lo, s0
	scratch_load_b64 v[79:80], off, off offset:296
	v_cmp_gt_u32_e64 s0, 37, v0
	s_waitcnt vmcnt(0)
	ds_store_b64 v82, v[79:80]
	s_waitcnt lgkmcnt(0)
	s_waitcnt_vscnt null, 0x0
	s_barrier
	buffer_gl0_inv
	s_and_saveexec_b32 s1, s0
	s_cbranch_execz .LBB102_744
; %bb.735:
	v_cmp_ne_u32_e32 vcc_lo, 1, v84
	s_cbranch_vccnz .LBB102_737
; %bb.736:
	scratch_load_b64 v[79:80], v83, off
	ds_load_b64 v[85:86], v82
	s_waitcnt vmcnt(0) lgkmcnt(0)
	v_mul_f64 v[79:80], v[79:80], v[85:86]
	s_cbranch_execz .LBB102_738
	s_branch .LBB102_739
.LBB102_737:
                                        ; implicit-def: $vgpr79_vgpr80
.LBB102_738:
	ds_load_b64 v[79:80], v82
.LBB102_739:
	s_mov_b32 s2, exec_lo
	v_cmpx_ne_u32_e32 36, v0
	s_cbranch_execz .LBB102_743
; %bb.740:
	v_add_nc_u32_e32 v85, 0x148, v81
	v_add3_u32 v86, 0, v81, 8
	v_mov_b32_e32 v87, v0
	s_mov_b32 s3, 0
.LBB102_741:                            ; =>This Inner Loop Header: Depth=1
	scratch_load_b64 v[88:89], v86, off
	ds_load_b64 v[90:91], v85
	v_add_nc_u32_e32 v87, 1, v87
	v_add_nc_u32_e32 v85, 8, v85
	;; [unrolled: 1-line block ×3, first 2 shown]
	s_delay_alu instid0(VALU_DEP_3)
	v_cmp_lt_u32_e32 vcc_lo, 35, v87
	s_or_b32 s3, vcc_lo, s3
	s_waitcnt vmcnt(0) lgkmcnt(0)
	v_fma_f64 v[79:80], v[88:89], v[90:91], v[79:80]
	s_and_not1_b32 exec_lo, exec_lo, s3
	s_cbranch_execnz .LBB102_741
; %bb.742:
	s_or_b32 exec_lo, exec_lo, s3
.LBB102_743:
	s_delay_alu instid0(SALU_CYCLE_1)
	s_or_b32 exec_lo, exec_lo, s2
	v_mov_b32_e32 v85, 0
	ds_load_b64 v[85:86], v85 offset:296
	s_waitcnt lgkmcnt(0)
	v_mul_f64 v[79:80], v[79:80], v[85:86]
	scratch_store_b64 off, v[79:80], off offset:296
.LBB102_744:
	s_or_b32 exec_lo, exec_lo, s1
	scratch_load_b64 v[79:80], off, off offset:304
	s_mov_b32 s1, exec_lo
	s_waitcnt vmcnt(0)
	ds_store_b64 v82, v[79:80]
	s_waitcnt lgkmcnt(0)
	s_waitcnt_vscnt null, 0x0
	s_barrier
	buffer_gl0_inv
	v_cmpx_ne_u32_e32 38, v0
	s_cbranch_execz .LBB102_754
; %bb.745:
	v_cmp_ne_u32_e32 vcc_lo, 1, v84
	s_cbranch_vccnz .LBB102_747
; %bb.746:
	scratch_load_b64 v[79:80], v83, off
	ds_load_b64 v[83:84], v82
	s_waitcnt vmcnt(0) lgkmcnt(0)
	v_mul_f64 v[79:80], v[79:80], v[83:84]
	s_cbranch_execz .LBB102_748
	s_branch .LBB102_749
.LBB102_747:
                                        ; implicit-def: $vgpr79_vgpr80
.LBB102_748:
	ds_load_b64 v[79:80], v82
.LBB102_749:
	s_and_saveexec_b32 s2, s0
	s_cbranch_execz .LBB102_753
; %bb.750:
	v_add_nc_u32_e32 v82, 0x148, v81
	v_add3_u32 v81, 0, v81, 8
	s_mov_b32 s0, 0
.LBB102_751:                            ; =>This Inner Loop Header: Depth=1
	scratch_load_b64 v[83:84], v81, off
	ds_load_b64 v[85:86], v82
	v_add_nc_u32_e32 v0, 1, v0
	v_add_nc_u32_e32 v82, 8, v82
	;; [unrolled: 1-line block ×3, first 2 shown]
	s_delay_alu instid0(VALU_DEP_3)
	v_cmp_lt_u32_e32 vcc_lo, 36, v0
	s_or_b32 s0, vcc_lo, s0
	s_waitcnt vmcnt(0) lgkmcnt(0)
	v_fma_f64 v[79:80], v[83:84], v[85:86], v[79:80]
	s_and_not1_b32 exec_lo, exec_lo, s0
	s_cbranch_execnz .LBB102_751
; %bb.752:
	s_or_b32 exec_lo, exec_lo, s0
.LBB102_753:
	s_delay_alu instid0(SALU_CYCLE_1)
	s_or_b32 exec_lo, exec_lo, s2
	v_mov_b32_e32 v0, 0
	ds_load_b64 v[81:82], v0 offset:304
	s_waitcnt lgkmcnt(0)
	v_mul_f64 v[79:80], v[79:80], v[81:82]
	scratch_store_b64 off, v[79:80], off offset:304
.LBB102_754:
	s_or_b32 exec_lo, exec_lo, s1
.LBB102_755:
	s_clause 0xb
	scratch_load_b128 v[79:82], off, off
	scratch_load_b128 v[83:86], off, off offset:16
	scratch_load_b128 v[87:90], off, off offset:32
	;; [unrolled: 1-line block ×11, first 2 shown]
	s_waitcnt vmcnt(11)
	s_clause 0x1
	global_store_b64 v[7:8], v[79:80], off
	global_store_b64 v[5:6], v[81:82], off
	s_waitcnt vmcnt(10)
	s_clause 0x1
	global_store_b64 v[31:32], v[83:84], off
	global_store_b64 v[19:20], v[85:86], off
	;; [unrolled: 4-line block ×4, first 2 shown]
	scratch_load_b128 v[25:28], off, off offset:256
	s_waitcnt vmcnt(8)
	s_clause 0x1
	global_store_b64 v[21:22], v[95:96], off
	global_store_b64 v[15:16], v[97:98], off
	s_clause 0x6
	scratch_load_b128 v[5:8], off, off offset:160
	scratch_load_b128 v[79:82], off, off offset:176
	;; [unrolled: 1-line block ×6, first 2 shown]
	scratch_load_b64 v[9:10], off, off offset:304
	s_waitcnt vmcnt(14)
	s_clause 0x1
	global_store_b64 v[11:12], v[99:100], off
	global_store_b64 v[17:18], v[101:102], off
	s_waitcnt vmcnt(13)
	s_clause 0x1
	global_store_b64 v[23:24], v[103:104], off
	global_store_b64 v[29:30], v[105:106], off
	;; [unrolled: 4-line block ×8, first 2 shown]
	global_store_b64 v[55:56], v[119:120], off
	global_store_b64 v[57:58], v[121:122], off
	s_waitcnt vmcnt(3)
	s_clause 0x5
	global_store_b64 v[59:60], v[87:88], off
	global_store_b64 v[61:62], v[89:90], off
	;; [unrolled: 1-line block ×6, first 2 shown]
	s_waitcnt vmcnt(2)
	s_clause 0x1
	global_store_b64 v[71:72], v[19:20], off
	global_store_b64 v[73:74], v[21:22], off
	s_waitcnt vmcnt(1)
	s_clause 0x1
	global_store_b64 v[75:76], v[13:14], off
	global_store_b64 v[77:78], v[15:16], off
	s_waitcnt vmcnt(0)
	global_store_b64 v[35:36], v[9:10], off
.LBB102_756:
	s_endpgm
	.section	.rodata,"a",@progbits
	.p2align	6, 0x0
	.amdhsa_kernel _ZN9rocsolver6v33100L18trti2_kernel_smallILi39EdPKPdEEv13rocblas_fill_17rocblas_diagonal_T1_iil
		.amdhsa_group_segment_fixed_size 632
		.amdhsa_private_segment_fixed_size 320
		.amdhsa_kernarg_size 32
		.amdhsa_user_sgpr_count 15
		.amdhsa_user_sgpr_dispatch_ptr 0
		.amdhsa_user_sgpr_queue_ptr 0
		.amdhsa_user_sgpr_kernarg_segment_ptr 1
		.amdhsa_user_sgpr_dispatch_id 0
		.amdhsa_user_sgpr_private_segment_size 0
		.amdhsa_wavefront_size32 1
		.amdhsa_uses_dynamic_stack 0
		.amdhsa_enable_private_segment 1
		.amdhsa_system_sgpr_workgroup_id_x 1
		.amdhsa_system_sgpr_workgroup_id_y 0
		.amdhsa_system_sgpr_workgroup_id_z 0
		.amdhsa_system_sgpr_workgroup_info 0
		.amdhsa_system_vgpr_workitem_id 0
		.amdhsa_next_free_vgpr 127
		.amdhsa_next_free_sgpr 17
		.amdhsa_reserve_vcc 1
		.amdhsa_float_round_mode_32 0
		.amdhsa_float_round_mode_16_64 0
		.amdhsa_float_denorm_mode_32 3
		.amdhsa_float_denorm_mode_16_64 3
		.amdhsa_dx10_clamp 1
		.amdhsa_ieee_mode 1
		.amdhsa_fp16_overflow 0
		.amdhsa_workgroup_processor_mode 1
		.amdhsa_memory_ordered 1
		.amdhsa_forward_progress 0
		.amdhsa_shared_vgpr_count 0
		.amdhsa_exception_fp_ieee_invalid_op 0
		.amdhsa_exception_fp_denorm_src 0
		.amdhsa_exception_fp_ieee_div_zero 0
		.amdhsa_exception_fp_ieee_overflow 0
		.amdhsa_exception_fp_ieee_underflow 0
		.amdhsa_exception_fp_ieee_inexact 0
		.amdhsa_exception_int_div_zero 0
	.end_amdhsa_kernel
	.section	.text._ZN9rocsolver6v33100L18trti2_kernel_smallILi39EdPKPdEEv13rocblas_fill_17rocblas_diagonal_T1_iil,"axG",@progbits,_ZN9rocsolver6v33100L18trti2_kernel_smallILi39EdPKPdEEv13rocblas_fill_17rocblas_diagonal_T1_iil,comdat
.Lfunc_end102:
	.size	_ZN9rocsolver6v33100L18trti2_kernel_smallILi39EdPKPdEEv13rocblas_fill_17rocblas_diagonal_T1_iil, .Lfunc_end102-_ZN9rocsolver6v33100L18trti2_kernel_smallILi39EdPKPdEEv13rocblas_fill_17rocblas_diagonal_T1_iil
                                        ; -- End function
	.section	.AMDGPU.csdata,"",@progbits
; Kernel info:
; codeLenInByte = 21200
; NumSgprs: 19
; NumVgprs: 127
; ScratchSize: 320
; MemoryBound: 0
; FloatMode: 240
; IeeeMode: 1
; LDSByteSize: 632 bytes/workgroup (compile time only)
; SGPRBlocks: 2
; VGPRBlocks: 15
; NumSGPRsForWavesPerEU: 19
; NumVGPRsForWavesPerEU: 127
; Occupancy: 10
; WaveLimiterHint : 1
; COMPUTE_PGM_RSRC2:SCRATCH_EN: 1
; COMPUTE_PGM_RSRC2:USER_SGPR: 15
; COMPUTE_PGM_RSRC2:TRAP_HANDLER: 0
; COMPUTE_PGM_RSRC2:TGID_X_EN: 1
; COMPUTE_PGM_RSRC2:TGID_Y_EN: 0
; COMPUTE_PGM_RSRC2:TGID_Z_EN: 0
; COMPUTE_PGM_RSRC2:TIDIG_COMP_CNT: 0
	.section	.text._ZN9rocsolver6v33100L18trti2_kernel_smallILi40EdPKPdEEv13rocblas_fill_17rocblas_diagonal_T1_iil,"axG",@progbits,_ZN9rocsolver6v33100L18trti2_kernel_smallILi40EdPKPdEEv13rocblas_fill_17rocblas_diagonal_T1_iil,comdat
	.globl	_ZN9rocsolver6v33100L18trti2_kernel_smallILi40EdPKPdEEv13rocblas_fill_17rocblas_diagonal_T1_iil ; -- Begin function _ZN9rocsolver6v33100L18trti2_kernel_smallILi40EdPKPdEEv13rocblas_fill_17rocblas_diagonal_T1_iil
	.p2align	8
	.type	_ZN9rocsolver6v33100L18trti2_kernel_smallILi40EdPKPdEEv13rocblas_fill_17rocblas_diagonal_T1_iil,@function
_ZN9rocsolver6v33100L18trti2_kernel_smallILi40EdPKPdEEv13rocblas_fill_17rocblas_diagonal_T1_iil: ; @_ZN9rocsolver6v33100L18trti2_kernel_smallILi40EdPKPdEEv13rocblas_fill_17rocblas_diagonal_T1_iil
; %bb.0:
	s_mov_b32 s2, exec_lo
	v_cmpx_gt_u32_e32 40, v0
	s_cbranch_execz .LBB103_776
; %bb.1:
	s_clause 0x1
	s_load_b64 s[4:5], s[0:1], 0x10
	s_load_b128 s[0:3], s[0:1], 0x0
	s_mov_b32 s6, s15
	s_ashr_i32 s7, s15, 31
	v_lshlrev_b32_e32 v83, 3, v0
	s_lshl_b64 s[6:7], s[6:7], 3
	s_waitcnt lgkmcnt(0)
	s_ashr_i32 s9, s4, 31
	s_add_u32 s2, s2, s6
	s_addc_u32 s3, s3, s7
	v_add3_u32 v9, s5, s5, v0
	s_load_b64 s[2:3], s[2:3], 0x0
	s_mov_b32 s8, s4
	s_mov_b32 s6, s5
	s_lshl_b64 s[8:9], s[8:9], 3
	v_add_nc_u32_e32 v11, s5, v9
	v_ashrrev_i32_e32 v10, 31, v9
	s_delay_alu instid0(VALU_DEP_2) | instskip(SKIP_1) | instid1(VALU_DEP_3)
	v_add_nc_u32_e32 v13, s5, v11
	v_ashrrev_i32_e32 v12, 31, v11
	v_lshlrev_b64 v[9:10], 3, v[9:10]
	s_delay_alu instid0(VALU_DEP_3) | instskip(NEXT) | instid1(VALU_DEP_3)
	v_add_nc_u32_e32 v15, s5, v13
	v_lshlrev_b64 v[11:12], 3, v[11:12]
	v_ashrrev_i32_e32 v14, 31, v13
	s_delay_alu instid0(VALU_DEP_3)
	v_ashrrev_i32_e32 v16, 31, v15
	s_waitcnt lgkmcnt(0)
	s_add_u32 s2, s2, s8
	s_addc_u32 s3, s3, s9
	v_add_co_u32 v7, s4, s2, v83
	s_ashr_i32 s7, s5, 31
	v_add_co_ci_u32_e64 v8, null, s3, 0, s4
	s_lshl_b64 s[6:7], s[6:7], 3
	v_add_nc_u32_e32 v17, s5, v15
	v_add_co_u32 v5, vcc_lo, v7, s6
	s_delay_alu instid0(VALU_DEP_3)
	v_add_co_ci_u32_e32 v6, vcc_lo, s7, v8, vcc_lo
	s_clause 0x1
	global_load_b64 v[1:2], v83, s[2:3]
	global_load_b64 v[3:4], v[5:6], off
	v_lshlrev_b64 v[15:16], 3, v[15:16]
	v_add_co_u32 v33, vcc_lo, s2, v9
	v_add_co_ci_u32_e32 v34, vcc_lo, s3, v10, vcc_lo
	v_lshlrev_b64 v[13:14], 3, v[13:14]
	v_add_co_u32 v23, vcc_lo, s2, v11
	v_add_nc_u32_e32 v9, s5, v17
	v_add_co_ci_u32_e32 v24, vcc_lo, s3, v12, vcc_lo
	v_add_co_u32 v11, vcc_lo, s2, v15
	v_ashrrev_i32_e32 v18, 31, v17
	v_add_co_ci_u32_e32 v12, vcc_lo, s3, v16, vcc_lo
	v_add_co_u32 v21, vcc_lo, s2, v13
	v_ashrrev_i32_e32 v10, 31, v9
	v_add_nc_u32_e32 v15, s5, v9
	v_add_co_ci_u32_e32 v22, vcc_lo, s3, v14, vcc_lo
	v_lshlrev_b64 v[13:14], 3, v[17:18]
	s_delay_alu instid0(VALU_DEP_4) | instskip(NEXT) | instid1(VALU_DEP_4)
	v_lshlrev_b64 v[9:10], 3, v[9:10]
	v_add_nc_u32_e32 v19, s5, v15
	s_clause 0x3
	global_load_b64 v[43:44], v[33:34], off
	global_load_b64 v[45:46], v[23:24], off
	;; [unrolled: 1-line block ×4, first 2 shown]
	v_ashrrev_i32_e32 v16, 31, v15
	s_cmpk_lg_i32 s1, 0x84
	v_add_co_u32 v17, vcc_lo, s2, v13
	v_add_co_ci_u32_e32 v18, vcc_lo, s3, v14, vcc_lo
	v_add_co_u32 v13, vcc_lo, s2, v9
	v_ashrrev_i32_e32 v20, 31, v19
	v_add_co_ci_u32_e32 v14, vcc_lo, s3, v10, vcc_lo
	v_lshlrev_b64 v[9:10], 3, v[15:16]
	s_clause 0x1
	global_load_b64 v[51:52], v[17:18], off
	global_load_b64 v[53:54], v[13:14], off
	v_lshlrev_b64 v[25:26], 3, v[19:20]
	v_add_nc_u32_e32 v19, s5, v19
	v_add_co_u32 v15, vcc_lo, s2, v9
	v_add_co_ci_u32_e32 v16, vcc_lo, s3, v10, vcc_lo
	s_delay_alu instid0(VALU_DEP_4)
	v_add_co_u32 v9, vcc_lo, s2, v25
	v_add_co_ci_u32_e32 v10, vcc_lo, s3, v26, vcc_lo
	s_clause 0x1
	global_load_b64 v[55:56], v[15:16], off
	global_load_b64 v[57:58], v[9:10], off
	v_add_nc_u32_e32 v25, s5, v19
	v_ashrrev_i32_e32 v20, 31, v19
	s_delay_alu instid0(VALU_DEP_2) | instskip(SKIP_1) | instid1(VALU_DEP_3)
	v_add_nc_u32_e32 v27, s5, v25
	v_ashrrev_i32_e32 v26, 31, v25
	v_lshlrev_b64 v[19:20], 3, v[19:20]
	s_delay_alu instid0(VALU_DEP_3) | instskip(SKIP_1) | instid1(VALU_DEP_4)
	v_add_nc_u32_e32 v29, s5, v27
	v_ashrrev_i32_e32 v28, 31, v27
	v_lshlrev_b64 v[25:26], 3, v[25:26]
	s_delay_alu instid0(VALU_DEP_4) | instskip(NEXT) | instid1(VALU_DEP_4)
	v_add_co_u32 v31, vcc_lo, s2, v19
	v_add_nc_u32_e32 v35, s5, v29
	v_add_co_ci_u32_e32 v32, vcc_lo, s3, v20, vcc_lo
	v_lshlrev_b64 v[19:20], 3, v[27:28]
	v_add_co_u32 v27, vcc_lo, s2, v25
	s_delay_alu instid0(VALU_DEP_4) | instskip(SKIP_3) | instid1(VALU_DEP_4)
	v_add_nc_u32_e32 v37, s5, v35
	v_ashrrev_i32_e32 v36, 31, v35
	v_add_co_ci_u32_e32 v28, vcc_lo, s3, v26, vcc_lo
	v_add_co_u32 v25, vcc_lo, s2, v19
	v_add_nc_u32_e32 v39, s5, v37
	v_ashrrev_i32_e32 v30, 31, v29
	v_add_co_ci_u32_e32 v26, vcc_lo, s3, v20, vcc_lo
	v_lshlrev_b64 v[19:20], 3, v[35:36]
	s_delay_alu instid0(VALU_DEP_4) | instskip(NEXT) | instid1(VALU_DEP_4)
	v_add_nc_u32_e32 v41, s5, v39
	v_lshlrev_b64 v[29:30], 3, v[29:30]
	v_ashrrev_i32_e32 v38, 31, v37
	v_ashrrev_i32_e32 v40, 31, v39
	s_clause 0x2
	global_load_b64 v[59:60], v[31:32], off
	global_load_b64 v[61:62], v[27:28], off
	global_load_b64 v[63:64], v[25:26], off
	v_add_nc_u32_e32 v71, s5, v41
	v_ashrrev_i32_e32 v42, 31, v41
	v_add_co_u32 v29, vcc_lo, s2, v29
	v_add_co_ci_u32_e32 v30, vcc_lo, s3, v30, vcc_lo
	s_delay_alu instid0(VALU_DEP_4) | instskip(SKIP_2) | instid1(VALU_DEP_3)
	v_add_nc_u32_e32 v73, s5, v71
	v_lshlrev_b64 v[37:38], 3, v[37:38]
	v_ashrrev_i32_e32 v72, 31, v71
	v_add_nc_u32_e32 v79, s5, v73
	v_ashrrev_i32_e32 v74, 31, v73
	s_delay_alu instid0(VALU_DEP_2) | instskip(SKIP_1) | instid1(VALU_DEP_2)
	v_add_nc_u32_e32 v81, s5, v79
	v_ashrrev_i32_e32 v80, 31, v79
	v_add_nc_u32_e32 v84, s5, v81
	v_ashrrev_i32_e32 v82, 31, v81
	s_delay_alu instid0(VALU_DEP_2) | instskip(SKIP_1) | instid1(VALU_DEP_2)
	v_add_nc_u32_e32 v90, s5, v84
	;; [unrolled: 5-line block ×10, first 2 shown]
	v_ashrrev_i32_e32 v125, 31, v124
	v_ashrrev_i32_e32 v36, 31, v35
	s_delay_alu instid0(VALU_DEP_1) | instskip(SKIP_2) | instid1(VALU_DEP_3)
	v_lshlrev_b64 v[65:66], 3, v[35:36]
	v_add_co_u32 v35, vcc_lo, s2, v19
	v_add_co_ci_u32_e32 v36, vcc_lo, s3, v20, vcc_lo
	v_add_co_u32 v19, vcc_lo, s2, v65
	s_delay_alu instid0(VALU_DEP_4)
	v_add_co_ci_u32_e32 v20, vcc_lo, s3, v66, vcc_lo
	v_add_co_u32 v37, vcc_lo, s2, v37
	v_add_co_ci_u32_e32 v38, vcc_lo, s3, v38, vcc_lo
	global_load_b64 v[86:87], v[19:20], off
	s_waitcnt vmcnt(12)
	scratch_store_b128 off, v[1:4], off
	v_lshlrev_b64 v[1:2], 3, v[39:40]
	v_lshlrev_b64 v[3:4], 3, v[41:42]
	;; [unrolled: 1-line block ×3, first 2 shown]
	s_clause 0x2
	global_load_b64 v[65:66], v[29:30], off
	global_load_b64 v[67:68], v[35:36], off
	;; [unrolled: 1-line block ×3, first 2 shown]
	v_lshlrev_b64 v[41:42], 3, v[73:74]
	v_add_co_u32 v1, vcc_lo, s2, v1
	v_add_co_ci_u32_e32 v2, vcc_lo, s3, v2, vcc_lo
	v_add_co_u32 v3, vcc_lo, s2, v3
	v_add_co_ci_u32_e32 v4, vcc_lo, s3, v4, vcc_lo
	;; [unrolled: 2-line block ×4, first 2 shown]
	global_load_b64 v[71:72], v[1:2], off
	s_waitcnt vmcnt(14)
	scratch_store_b128 off, v[43:46], off offset:16
	v_lshlrev_b64 v[43:44], 3, v[79:80]
	s_waitcnt vmcnt(12)
	scratch_store_b128 off, v[47:50], off offset:32
	s_clause 0x2
	global_load_b64 v[73:74], v[3:4], off
	global_load_b64 v[75:76], v[39:40], off
	;; [unrolled: 1-line block ×3, first 2 shown]
	v_lshlrev_b64 v[45:46], 3, v[81:82]
	v_lshlrev_b64 v[47:48], 3, v[84:85]
	;; [unrolled: 1-line block ×3, first 2 shown]
	v_add_co_u32 v43, vcc_lo, s2, v43
	v_add_co_ci_u32_e32 v44, vcc_lo, s3, v44, vcc_lo
	v_add_co_u32 v45, vcc_lo, s2, v45
	v_add_co_ci_u32_e32 v46, vcc_lo, s3, v46, vcc_lo
	;; [unrolled: 2-line block ×4, first 2 shown]
	s_waitcnt vmcnt(13)
	scratch_store_b128 off, v[51:54], off offset:48
	s_clause 0x1
	global_load_b64 v[88:89], v[43:44], off
	global_load_b64 v[90:91], v[45:46], off
	v_lshlrev_b64 v[51:52], 3, v[96:97]
	v_lshlrev_b64 v[53:54], 3, v[98:99]
	;; [unrolled: 1-line block ×4, first 2 shown]
	s_waitcnt vmcnt(13)
	scratch_store_b128 off, v[55:58], off offset:64
	s_clause 0x1
	global_load_b64 v[92:93], v[47:48], off
	global_load_b64 v[94:95], v[49:50], off
	v_add_co_u32 v51, vcc_lo, s2, v51
	v_lshlrev_b64 v[55:56], 3, v[100:101]
	v_add_co_ci_u32_e32 v52, vcc_lo, s3, v52, vcc_lo
	v_add_co_u32 v53, vcc_lo, s2, v53
	v_lshlrev_b64 v[57:58], 3, v[102:103]
	v_add_co_ci_u32_e32 v54, vcc_lo, s3, v54, vcc_lo
	v_add_co_u32 v55, vcc_lo, s2, v55
	v_add_co_ci_u32_e32 v56, vcc_lo, s3, v56, vcc_lo
	s_delay_alu instid0(VALU_DEP_4)
	v_add_co_u32 v57, vcc_lo, s2, v57
	v_add_co_ci_u32_e32 v58, vcc_lo, s3, v58, vcc_lo
	global_load_b64 v[96:97], v[51:52], off
	s_waitcnt vmcnt(14)
	scratch_store_b128 off, v[59:62], off offset:80
	v_lshlrev_b64 v[59:60], 3, v[104:105]
	v_lshlrev_b64 v[61:62], 3, v[106:107]
	s_waitcnt vmcnt(11)
	scratch_store_b128 off, v[63:66], off offset:96
	s_waitcnt vmcnt(9)
	scratch_store_b128 off, v[67:70], off offset:112
	v_add_co_u32 v59, vcc_lo, s2, v59
	v_add_co_ci_u32_e32 v60, vcc_lo, s3, v60, vcc_lo
	v_add_co_u32 v61, vcc_lo, s2, v61
	v_lshlrev_b64 v[65:66], 3, v[110:111]
	v_add_co_ci_u32_e32 v62, vcc_lo, s3, v62, vcc_lo
	v_add_co_u32 v63, vcc_lo, s2, v79
	v_lshlrev_b64 v[67:68], 3, v[112:113]
	;; [unrolled: 3-line block ×4, first 2 shown]
	v_add_co_ci_u32_e32 v68, vcc_lo, s3, v68, vcc_lo
	s_clause 0x3
	global_load_b64 v[98:99], v[53:54], off
	global_load_b64 v[100:101], v[55:56], off
	;; [unrolled: 1-line block ×4, first 2 shown]
	s_waitcnt vmcnt(11)
	scratch_store_b128 off, v[71:74], off offset:128
	s_waitcnt vmcnt(9)
	scratch_store_b128 off, v[75:78], off offset:144
	v_add_co_u32 v69, vcc_lo, s2, v69
	v_lshlrev_b64 v[73:74], 3, v[118:119]
	v_add_co_ci_u32_e32 v70, vcc_lo, s3, v70, vcc_lo
	v_add_co_u32 v71, vcc_lo, s2, v79
	v_add_co_ci_u32_e32 v72, vcc_lo, s3, v80, vcc_lo
	v_lshlrev_b64 v[77:78], 3, v[120:121]
	v_add_co_u32 v75, vcc_lo, s2, v73
	v_add_co_ci_u32_e32 v76, vcc_lo, s3, v74, vcc_lo
	v_lshlrev_b64 v[73:74], 3, v[122:123]
	s_delay_alu instid0(VALU_DEP_4)
	v_add_co_u32 v77, vcc_lo, s2, v77
	v_add_co_ci_u32_e32 v78, vcc_lo, s3, v78, vcc_lo
	s_clause 0x3
	global_load_b64 v[106:107], v[61:62], off
	global_load_b64 v[108:109], v[63:64], off
	;; [unrolled: 1-line block ×4, first 2 shown]
	v_add_co_u32 v79, vcc_lo, s2, v73
	v_add_co_ci_u32_e32 v80, vcc_lo, s3, v74, vcc_lo
	v_add_co_u32 v73, vcc_lo, s2, v81
	v_add_co_ci_u32_e32 v74, vcc_lo, s3, v82, vcc_lo
	s_waitcnt vmcnt(11)
	scratch_store_b128 off, v[88:91], off offset:160
	s_clause 0x2
	global_load_b64 v[114:115], v[69:70], off
	global_load_b64 v[88:89], v[71:72], off
	;; [unrolled: 1-line block ×3, first 2 shown]
	s_waitcnt vmcnt(12)
	scratch_store_b128 off, v[92:95], off offset:176
	s_clause 0x2
	global_load_b64 v[92:93], v[77:78], off
	global_load_b64 v[94:95], v[79:80], off
	;; [unrolled: 1-line block ×3, first 2 shown]
	v_mov_b32_e32 v81, 0
	v_mov_b32_e32 v82, 0xbff00000
	s_cselect_b32 s2, -1, 0
	s_cmpk_eq_i32 s1, 0x84
	s_waitcnt vmcnt(13)
	scratch_store_b128 off, v[96:99], off offset:192
	s_waitcnt vmcnt(11)
	scratch_store_b128 off, v[100:103], off offset:208
	;; [unrolled: 2-line block ×8, first 2 shown]
	s_cbranch_scc1 .LBB103_3
; %bb.2:
	scratch_load_b64 v[81:82], v83, off
	s_waitcnt vmcnt(0)
	v_div_scale_f64 v[84:85], null, v[81:82], v[81:82], 1.0
	v_div_scale_f64 v[90:91], vcc_lo, 1.0, v[81:82], 1.0
	s_delay_alu instid0(VALU_DEP_2) | instskip(SKIP_2) | instid1(VALU_DEP_1)
	v_rcp_f64_e32 v[86:87], v[84:85]
	s_waitcnt_depctr 0xfff
	v_fma_f64 v[88:89], -v[84:85], v[86:87], 1.0
	v_fma_f64 v[86:87], v[86:87], v[88:89], v[86:87]
	s_delay_alu instid0(VALU_DEP_1) | instskip(NEXT) | instid1(VALU_DEP_1)
	v_fma_f64 v[88:89], -v[84:85], v[86:87], 1.0
	v_fma_f64 v[86:87], v[86:87], v[88:89], v[86:87]
	s_delay_alu instid0(VALU_DEP_1) | instskip(NEXT) | instid1(VALU_DEP_1)
	v_mul_f64 v[88:89], v[90:91], v[86:87]
	v_fma_f64 v[84:85], -v[84:85], v[88:89], v[90:91]
	s_delay_alu instid0(VALU_DEP_1) | instskip(NEXT) | instid1(VALU_DEP_1)
	v_div_fmas_f64 v[84:85], v[84:85], v[86:87], v[88:89]
	v_div_fixup_f64 v[81:82], v[84:85], v[81:82], 1.0
	scratch_store_b64 v83, v[81:82], off
	v_xor_b32_e32 v82, 0x80000000, v82
.LBB103_3:
	v_add_nc_u32_e32 v84, 0x140, v83
	v_add_nc_u32_e32 v85, 0, v83
	s_cmpk_eq_i32 s0, 0x79
	s_mov_b32 s0, -1
	ds_store_b64 v83, v[81:82]
	s_cbranch_scc1 .LBB103_389
; %bb.4:
	scratch_load_b64 v[81:82], off, off offset:304
	v_cmp_eq_u32_e64 s0, 39, v0
	s_movk_i32 s1, 0x50
	s_movk_i32 s3, 0x60
	;; [unrolled: 1-line block ×14, first 2 shown]
	s_waitcnt vmcnt(0)
	ds_store_b64 v84, v[81:82]
	s_waitcnt lgkmcnt(0)
	s_waitcnt_vscnt null, 0x0
	s_barrier
	buffer_gl0_inv
	s_and_saveexec_b32 s16, s0
	s_cbranch_execz .LBB103_10
; %bb.5:
	s_and_b32 vcc_lo, exec_lo, s2
	s_cbranch_vccz .LBB103_7
; %bb.6:
	scratch_load_b64 v[81:82], v85, off
	ds_load_b64 v[86:87], v84
	s_waitcnt vmcnt(0) lgkmcnt(0)
	v_mul_f64 v[81:82], v[81:82], v[86:87]
	s_cbranch_execz .LBB103_8
	s_branch .LBB103_9
.LBB103_7:
                                        ; implicit-def: $vgpr81_vgpr82
.LBB103_8:
	ds_load_b64 v[81:82], v84
.LBB103_9:
	v_mov_b32_e32 v86, 0
	ds_load_b64 v[86:87], v86 offset:304
	s_waitcnt lgkmcnt(0)
	v_mul_f64 v[81:82], v[81:82], v[86:87]
	scratch_store_b64 off, v[81:82], off offset:304
.LBB103_10:
	s_or_b32 exec_lo, exec_lo, s16
	scratch_load_b64 v[81:82], off, off offset:296
	v_add_nc_u32_e64 v86, 0, 16
	v_add_nc_u32_e64 v87, 0, 32
	;; [unrolled: 1-line block ×18, first 2 shown]
	v_cmp_lt_u32_e64 s1, 37, v0
	s_waitcnt vmcnt(0)
	ds_store_b64 v84, v[81:82]
	s_waitcnt lgkmcnt(0)
	s_waitcnt_vscnt null, 0x0
	s_barrier
	buffer_gl0_inv
	s_and_saveexec_b32 s3, s1
	s_cbranch_execz .LBB103_18
; %bb.11:
	s_and_not1_b32 vcc_lo, exec_lo, s2
	s_cbranch_vccnz .LBB103_13
; %bb.12:
	scratch_load_b64 v[81:82], v85, off
	ds_load_b64 v[104:105], v84
	s_waitcnt vmcnt(0) lgkmcnt(0)
	v_mul_f64 v[81:82], v[81:82], v[104:105]
	s_cbranch_execz .LBB103_14
	s_branch .LBB103_15
.LBB103_13:
                                        ; implicit-def: $vgpr81_vgpr82
.LBB103_14:
	ds_load_b64 v[81:82], v84
.LBB103_15:
	s_and_saveexec_b32 s4, s0
	s_cbranch_execz .LBB103_17
; %bb.16:
	scratch_load_b64 v[104:105], off, off offset:304
	v_mov_b32_e32 v106, 0
	ds_load_b64 v[106:107], v106 offset:624
	s_waitcnt vmcnt(0) lgkmcnt(0)
	v_fma_f64 v[81:82], v[104:105], v[106:107], v[81:82]
.LBB103_17:
	s_or_b32 exec_lo, exec_lo, s4
	v_mov_b32_e32 v104, 0
	ds_load_b64 v[104:105], v104 offset:296
	s_waitcnt lgkmcnt(0)
	v_mul_f64 v[81:82], v[81:82], v[104:105]
	scratch_store_b64 off, v[81:82], off offset:296
.LBB103_18:
	s_or_b32 exec_lo, exec_lo, s3
	scratch_load_b64 v[81:82], off, off offset:288
	v_cmp_lt_u32_e64 s0, 36, v0
	s_waitcnt vmcnt(0)
	ds_store_b64 v84, v[81:82]
	s_waitcnt lgkmcnt(0)
	s_waitcnt_vscnt null, 0x0
	s_barrier
	buffer_gl0_inv
	s_and_saveexec_b32 s3, s0
	s_cbranch_execz .LBB103_28
; %bb.19:
	s_and_not1_b32 vcc_lo, exec_lo, s2
	s_cbranch_vccnz .LBB103_21
; %bb.20:
	scratch_load_b64 v[81:82], v85, off
	ds_load_b64 v[104:105], v84
	s_waitcnt vmcnt(0) lgkmcnt(0)
	v_mul_f64 v[81:82], v[81:82], v[104:105]
	s_cbranch_execz .LBB103_22
	s_branch .LBB103_23
.LBB103_21:
                                        ; implicit-def: $vgpr81_vgpr82
.LBB103_22:
	ds_load_b64 v[81:82], v84
.LBB103_23:
	s_and_saveexec_b32 s4, s1
	s_cbranch_execz .LBB103_27
; %bb.24:
	v_mov_b32_e32 v104, 0
	v_subrev_nc_u32_e32 v105, 37, v0
	s_movk_i32 s5, 0x268
	s_mov_b32 s1, 0
	s_delay_alu instid0(VALU_DEP_2)
	v_add_nc_u32_e32 v104, 0x128, v104
.LBB103_25:                             ; =>This Inner Loop Header: Depth=1
	scratch_load_b64 v[106:107], v104, off
	v_dual_mov_b32 v108, s5 :: v_dual_add_nc_u32 v105, -1, v105
	v_add_nc_u32_e32 v104, 8, v104
	s_add_i32 s5, s5, 8
	ds_load_b64 v[108:109], v108
	v_cmp_eq_u32_e32 vcc_lo, 0, v105
	s_or_b32 s1, vcc_lo, s1
	s_waitcnt vmcnt(0) lgkmcnt(0)
	v_fma_f64 v[81:82], v[106:107], v[108:109], v[81:82]
	s_and_not1_b32 exec_lo, exec_lo, s1
	s_cbranch_execnz .LBB103_25
; %bb.26:
	s_or_b32 exec_lo, exec_lo, s1
.LBB103_27:
	s_delay_alu instid0(SALU_CYCLE_1)
	s_or_b32 exec_lo, exec_lo, s4
	v_mov_b32_e32 v104, 0
	ds_load_b64 v[104:105], v104 offset:288
	s_waitcnt lgkmcnt(0)
	v_mul_f64 v[81:82], v[81:82], v[104:105]
	scratch_store_b64 off, v[81:82], off offset:288
.LBB103_28:
	s_or_b32 exec_lo, exec_lo, s3
	scratch_load_b64 v[81:82], off, off offset:280
	v_cmp_lt_u32_e64 s1, 35, v0
	s_waitcnt vmcnt(0)
	ds_store_b64 v84, v[81:82]
	s_waitcnt lgkmcnt(0)
	s_waitcnt_vscnt null, 0x0
	s_barrier
	buffer_gl0_inv
	s_and_saveexec_b32 s3, s1
	s_cbranch_execz .LBB103_38
; %bb.29:
	s_and_not1_b32 vcc_lo, exec_lo, s2
	s_cbranch_vccnz .LBB103_31
; %bb.30:
	scratch_load_b64 v[81:82], v85, off
	ds_load_b64 v[104:105], v84
	s_waitcnt vmcnt(0) lgkmcnt(0)
	v_mul_f64 v[81:82], v[81:82], v[104:105]
	s_cbranch_execz .LBB103_32
	s_branch .LBB103_33
.LBB103_31:
                                        ; implicit-def: $vgpr81_vgpr82
.LBB103_32:
	ds_load_b64 v[81:82], v84
.LBB103_33:
	s_and_saveexec_b32 s4, s0
	s_cbranch_execz .LBB103_37
; %bb.34:
	v_subrev_nc_u32_e32 v104, 36, v0
	s_movk_i32 s5, 0x260
	s_mov_b32 s0, 0
.LBB103_35:                             ; =>This Inner Loop Header: Depth=1
	scratch_load_b64 v[105:106], v103, off
	v_dual_mov_b32 v107, s5 :: v_dual_add_nc_u32 v104, -1, v104
	v_add_nc_u32_e32 v103, 8, v103
	s_add_i32 s5, s5, 8
	ds_load_b64 v[107:108], v107
	v_cmp_eq_u32_e32 vcc_lo, 0, v104
	s_or_b32 s0, vcc_lo, s0
	s_waitcnt vmcnt(0) lgkmcnt(0)
	v_fma_f64 v[81:82], v[105:106], v[107:108], v[81:82]
	s_and_not1_b32 exec_lo, exec_lo, s0
	s_cbranch_execnz .LBB103_35
; %bb.36:
	s_or_b32 exec_lo, exec_lo, s0
.LBB103_37:
	s_delay_alu instid0(SALU_CYCLE_1)
	s_or_b32 exec_lo, exec_lo, s4
	v_mov_b32_e32 v103, 0
	ds_load_b64 v[103:104], v103 offset:280
	s_waitcnt lgkmcnt(0)
	v_mul_f64 v[81:82], v[81:82], v[103:104]
	scratch_store_b64 off, v[81:82], off offset:280
.LBB103_38:
	s_or_b32 exec_lo, exec_lo, s3
	scratch_load_b64 v[81:82], off, off offset:272
	v_cmp_lt_u32_e64 s0, 34, v0
	s_waitcnt vmcnt(0)
	ds_store_b64 v84, v[81:82]
	s_waitcnt lgkmcnt(0)
	s_waitcnt_vscnt null, 0x0
	s_barrier
	buffer_gl0_inv
	s_and_saveexec_b32 s3, s0
	s_cbranch_execz .LBB103_48
; %bb.39:
	s_and_not1_b32 vcc_lo, exec_lo, s2
	s_cbranch_vccnz .LBB103_41
; %bb.40:
	scratch_load_b64 v[81:82], v85, off
	ds_load_b64 v[103:104], v84
	s_waitcnt vmcnt(0) lgkmcnt(0)
	v_mul_f64 v[81:82], v[81:82], v[103:104]
	s_cbranch_execz .LBB103_42
	s_branch .LBB103_43
.LBB103_41:
                                        ; implicit-def: $vgpr81_vgpr82
.LBB103_42:
	ds_load_b64 v[81:82], v84
.LBB103_43:
	s_and_saveexec_b32 s4, s1
	s_cbranch_execz .LBB103_47
; %bb.44:
	v_mov_b32_e32 v103, 0
	v_subrev_nc_u32_e32 v104, 35, v0
	s_movk_i32 s5, 0x258
	s_mov_b32 s1, 0
	s_delay_alu instid0(VALU_DEP_2)
	v_add_nc_u32_e32 v103, 0x118, v103
.LBB103_45:                             ; =>This Inner Loop Header: Depth=1
	scratch_load_b64 v[105:106], v103, off
	v_dual_mov_b32 v107, s5 :: v_dual_add_nc_u32 v104, -1, v104
	v_add_nc_u32_e32 v103, 8, v103
	s_add_i32 s5, s5, 8
	ds_load_b64 v[107:108], v107
	v_cmp_eq_u32_e32 vcc_lo, 0, v104
	s_or_b32 s1, vcc_lo, s1
	s_waitcnt vmcnt(0) lgkmcnt(0)
	v_fma_f64 v[81:82], v[105:106], v[107:108], v[81:82]
	s_and_not1_b32 exec_lo, exec_lo, s1
	s_cbranch_execnz .LBB103_45
; %bb.46:
	s_or_b32 exec_lo, exec_lo, s1
.LBB103_47:
	s_delay_alu instid0(SALU_CYCLE_1)
	s_or_b32 exec_lo, exec_lo, s4
	v_mov_b32_e32 v103, 0
	ds_load_b64 v[103:104], v103 offset:272
	s_waitcnt lgkmcnt(0)
	v_mul_f64 v[81:82], v[81:82], v[103:104]
	scratch_store_b64 off, v[81:82], off offset:272
.LBB103_48:
	s_or_b32 exec_lo, exec_lo, s3
	scratch_load_b64 v[81:82], off, off offset:264
	v_cmp_lt_u32_e64 s1, 33, v0
	s_waitcnt vmcnt(0)
	ds_store_b64 v84, v[81:82]
	s_waitcnt lgkmcnt(0)
	s_waitcnt_vscnt null, 0x0
	s_barrier
	buffer_gl0_inv
	s_and_saveexec_b32 s3, s1
	s_cbranch_execz .LBB103_58
; %bb.49:
	s_and_not1_b32 vcc_lo, exec_lo, s2
	s_cbranch_vccnz .LBB103_51
; %bb.50:
	scratch_load_b64 v[81:82], v85, off
	ds_load_b64 v[103:104], v84
	s_waitcnt vmcnt(0) lgkmcnt(0)
	v_mul_f64 v[81:82], v[81:82], v[103:104]
	s_cbranch_execz .LBB103_52
	s_branch .LBB103_53
.LBB103_51:
                                        ; implicit-def: $vgpr81_vgpr82
.LBB103_52:
	ds_load_b64 v[81:82], v84
.LBB103_53:
	s_and_saveexec_b32 s4, s0
	s_cbranch_execz .LBB103_57
; %bb.54:
	v_subrev_nc_u32_e32 v103, 34, v0
	s_movk_i32 s5, 0x250
	s_mov_b32 s0, 0
.LBB103_55:                             ; =>This Inner Loop Header: Depth=1
	scratch_load_b64 v[104:105], v102, off
	v_dual_mov_b32 v106, s5 :: v_dual_add_nc_u32 v103, -1, v103
	v_add_nc_u32_e32 v102, 8, v102
	s_add_i32 s5, s5, 8
	ds_load_b64 v[106:107], v106
	v_cmp_eq_u32_e32 vcc_lo, 0, v103
	s_or_b32 s0, vcc_lo, s0
	s_waitcnt vmcnt(0) lgkmcnt(0)
	v_fma_f64 v[81:82], v[104:105], v[106:107], v[81:82]
	s_and_not1_b32 exec_lo, exec_lo, s0
	s_cbranch_execnz .LBB103_55
; %bb.56:
	s_or_b32 exec_lo, exec_lo, s0
.LBB103_57:
	s_delay_alu instid0(SALU_CYCLE_1)
	s_or_b32 exec_lo, exec_lo, s4
	v_mov_b32_e32 v102, 0
	ds_load_b64 v[102:103], v102 offset:264
	s_waitcnt lgkmcnt(0)
	v_mul_f64 v[81:82], v[81:82], v[102:103]
	scratch_store_b64 off, v[81:82], off offset:264
.LBB103_58:
	s_or_b32 exec_lo, exec_lo, s3
	scratch_load_b64 v[81:82], off, off offset:256
	v_cmp_lt_u32_e64 s0, 32, v0
	s_waitcnt vmcnt(0)
	ds_store_b64 v84, v[81:82]
	s_waitcnt lgkmcnt(0)
	s_waitcnt_vscnt null, 0x0
	s_barrier
	buffer_gl0_inv
	s_and_saveexec_b32 s3, s0
	s_cbranch_execz .LBB103_68
; %bb.59:
	s_and_not1_b32 vcc_lo, exec_lo, s2
	s_cbranch_vccnz .LBB103_61
; %bb.60:
	scratch_load_b64 v[81:82], v85, off
	ds_load_b64 v[102:103], v84
	s_waitcnt vmcnt(0) lgkmcnt(0)
	v_mul_f64 v[81:82], v[81:82], v[102:103]
	s_cbranch_execz .LBB103_62
	s_branch .LBB103_63
.LBB103_61:
                                        ; implicit-def: $vgpr81_vgpr82
.LBB103_62:
	ds_load_b64 v[81:82], v84
.LBB103_63:
	s_and_saveexec_b32 s4, s1
	s_cbranch_execz .LBB103_67
; %bb.64:
	v_mov_b32_e32 v102, 0
	v_subrev_nc_u32_e32 v103, 33, v0
	s_movk_i32 s5, 0x248
	s_mov_b32 s1, 0
	s_delay_alu instid0(VALU_DEP_2)
	v_add_nc_u32_e32 v102, 0x108, v102
.LBB103_65:                             ; =>This Inner Loop Header: Depth=1
	scratch_load_b64 v[104:105], v102, off
	v_dual_mov_b32 v106, s5 :: v_dual_add_nc_u32 v103, -1, v103
	v_add_nc_u32_e32 v102, 8, v102
	s_add_i32 s5, s5, 8
	ds_load_b64 v[106:107], v106
	v_cmp_eq_u32_e32 vcc_lo, 0, v103
	s_or_b32 s1, vcc_lo, s1
	s_waitcnt vmcnt(0) lgkmcnt(0)
	v_fma_f64 v[81:82], v[104:105], v[106:107], v[81:82]
	s_and_not1_b32 exec_lo, exec_lo, s1
	s_cbranch_execnz .LBB103_65
; %bb.66:
	s_or_b32 exec_lo, exec_lo, s1
.LBB103_67:
	s_delay_alu instid0(SALU_CYCLE_1)
	s_or_b32 exec_lo, exec_lo, s4
	v_mov_b32_e32 v102, 0
	ds_load_b64 v[102:103], v102 offset:256
	s_waitcnt lgkmcnt(0)
	v_mul_f64 v[81:82], v[81:82], v[102:103]
	scratch_store_b64 off, v[81:82], off offset:256
.LBB103_68:
	s_or_b32 exec_lo, exec_lo, s3
	scratch_load_b64 v[81:82], off, off offset:248
	v_cmp_lt_u32_e64 s1, 31, v0
	s_waitcnt vmcnt(0)
	ds_store_b64 v84, v[81:82]
	s_waitcnt lgkmcnt(0)
	s_waitcnt_vscnt null, 0x0
	s_barrier
	buffer_gl0_inv
	s_and_saveexec_b32 s3, s1
	s_cbranch_execz .LBB103_78
; %bb.69:
	s_and_not1_b32 vcc_lo, exec_lo, s2
	s_cbranch_vccnz .LBB103_71
; %bb.70:
	scratch_load_b64 v[81:82], v85, off
	ds_load_b64 v[102:103], v84
	s_waitcnt vmcnt(0) lgkmcnt(0)
	v_mul_f64 v[81:82], v[81:82], v[102:103]
	s_cbranch_execz .LBB103_72
	s_branch .LBB103_73
.LBB103_71:
                                        ; implicit-def: $vgpr81_vgpr82
.LBB103_72:
	ds_load_b64 v[81:82], v84
.LBB103_73:
	s_and_saveexec_b32 s4, s0
	s_cbranch_execz .LBB103_77
; %bb.74:
	v_subrev_nc_u32_e32 v102, 32, v0
	s_movk_i32 s5, 0x240
	s_mov_b32 s0, 0
.LBB103_75:                             ; =>This Inner Loop Header: Depth=1
	scratch_load_b64 v[103:104], v101, off
	v_dual_mov_b32 v105, s5 :: v_dual_add_nc_u32 v102, -1, v102
	v_add_nc_u32_e32 v101, 8, v101
	s_add_i32 s5, s5, 8
	ds_load_b64 v[105:106], v105
	v_cmp_eq_u32_e32 vcc_lo, 0, v102
	s_or_b32 s0, vcc_lo, s0
	s_waitcnt vmcnt(0) lgkmcnt(0)
	v_fma_f64 v[81:82], v[103:104], v[105:106], v[81:82]
	s_and_not1_b32 exec_lo, exec_lo, s0
	s_cbranch_execnz .LBB103_75
; %bb.76:
	s_or_b32 exec_lo, exec_lo, s0
.LBB103_77:
	s_delay_alu instid0(SALU_CYCLE_1)
	s_or_b32 exec_lo, exec_lo, s4
	v_mov_b32_e32 v101, 0
	ds_load_b64 v[101:102], v101 offset:248
	s_waitcnt lgkmcnt(0)
	v_mul_f64 v[81:82], v[81:82], v[101:102]
	scratch_store_b64 off, v[81:82], off offset:248
.LBB103_78:
	s_or_b32 exec_lo, exec_lo, s3
	scratch_load_b64 v[81:82], off, off offset:240
	v_cmp_lt_u32_e64 s0, 30, v0
	s_waitcnt vmcnt(0)
	ds_store_b64 v84, v[81:82]
	s_waitcnt lgkmcnt(0)
	s_waitcnt_vscnt null, 0x0
	s_barrier
	buffer_gl0_inv
	s_and_saveexec_b32 s3, s0
	s_cbranch_execz .LBB103_88
; %bb.79:
	s_and_not1_b32 vcc_lo, exec_lo, s2
	s_cbranch_vccnz .LBB103_81
; %bb.80:
	scratch_load_b64 v[81:82], v85, off
	ds_load_b64 v[101:102], v84
	s_waitcnt vmcnt(0) lgkmcnt(0)
	v_mul_f64 v[81:82], v[81:82], v[101:102]
	s_cbranch_execz .LBB103_82
	s_branch .LBB103_83
.LBB103_81:
                                        ; implicit-def: $vgpr81_vgpr82
.LBB103_82:
	ds_load_b64 v[81:82], v84
.LBB103_83:
	s_and_saveexec_b32 s4, s1
	s_cbranch_execz .LBB103_87
; %bb.84:
	v_mov_b32_e32 v101, 0
	v_subrev_nc_u32_e32 v102, 31, v0
	s_movk_i32 s5, 0x238
	s_mov_b32 s1, 0
	s_delay_alu instid0(VALU_DEP_2)
	v_add_nc_u32_e32 v101, 0xf8, v101
.LBB103_85:                             ; =>This Inner Loop Header: Depth=1
	scratch_load_b64 v[103:104], v101, off
	v_dual_mov_b32 v105, s5 :: v_dual_add_nc_u32 v102, -1, v102
	v_add_nc_u32_e32 v101, 8, v101
	s_add_i32 s5, s5, 8
	ds_load_b64 v[105:106], v105
	v_cmp_eq_u32_e32 vcc_lo, 0, v102
	s_or_b32 s1, vcc_lo, s1
	s_waitcnt vmcnt(0) lgkmcnt(0)
	v_fma_f64 v[81:82], v[103:104], v[105:106], v[81:82]
	s_and_not1_b32 exec_lo, exec_lo, s1
	s_cbranch_execnz .LBB103_85
; %bb.86:
	s_or_b32 exec_lo, exec_lo, s1
.LBB103_87:
	s_delay_alu instid0(SALU_CYCLE_1)
	s_or_b32 exec_lo, exec_lo, s4
	v_mov_b32_e32 v101, 0
	ds_load_b64 v[101:102], v101 offset:240
	s_waitcnt lgkmcnt(0)
	v_mul_f64 v[81:82], v[81:82], v[101:102]
	scratch_store_b64 off, v[81:82], off offset:240
.LBB103_88:
	s_or_b32 exec_lo, exec_lo, s3
	scratch_load_b64 v[81:82], off, off offset:232
	v_cmp_lt_u32_e64 s1, 29, v0
	s_waitcnt vmcnt(0)
	ds_store_b64 v84, v[81:82]
	s_waitcnt lgkmcnt(0)
	s_waitcnt_vscnt null, 0x0
	s_barrier
	buffer_gl0_inv
	s_and_saveexec_b32 s3, s1
	s_cbranch_execz .LBB103_98
; %bb.89:
	s_and_not1_b32 vcc_lo, exec_lo, s2
	s_cbranch_vccnz .LBB103_91
; %bb.90:
	scratch_load_b64 v[81:82], v85, off
	ds_load_b64 v[101:102], v84
	s_waitcnt vmcnt(0) lgkmcnt(0)
	v_mul_f64 v[81:82], v[81:82], v[101:102]
	s_cbranch_execz .LBB103_92
	s_branch .LBB103_93
.LBB103_91:
                                        ; implicit-def: $vgpr81_vgpr82
.LBB103_92:
	ds_load_b64 v[81:82], v84
.LBB103_93:
	s_and_saveexec_b32 s4, s0
	s_cbranch_execz .LBB103_97
; %bb.94:
	v_subrev_nc_u32_e32 v101, 30, v0
	s_movk_i32 s5, 0x230
	s_mov_b32 s0, 0
.LBB103_95:                             ; =>This Inner Loop Header: Depth=1
	scratch_load_b64 v[102:103], v100, off
	v_dual_mov_b32 v104, s5 :: v_dual_add_nc_u32 v101, -1, v101
	v_add_nc_u32_e32 v100, 8, v100
	s_add_i32 s5, s5, 8
	ds_load_b64 v[104:105], v104
	v_cmp_eq_u32_e32 vcc_lo, 0, v101
	s_or_b32 s0, vcc_lo, s0
	s_waitcnt vmcnt(0) lgkmcnt(0)
	v_fma_f64 v[81:82], v[102:103], v[104:105], v[81:82]
	s_and_not1_b32 exec_lo, exec_lo, s0
	s_cbranch_execnz .LBB103_95
; %bb.96:
	s_or_b32 exec_lo, exec_lo, s0
.LBB103_97:
	s_delay_alu instid0(SALU_CYCLE_1)
	s_or_b32 exec_lo, exec_lo, s4
	v_mov_b32_e32 v100, 0
	ds_load_b64 v[100:101], v100 offset:232
	s_waitcnt lgkmcnt(0)
	v_mul_f64 v[81:82], v[81:82], v[100:101]
	scratch_store_b64 off, v[81:82], off offset:232
.LBB103_98:
	s_or_b32 exec_lo, exec_lo, s3
	scratch_load_b64 v[81:82], off, off offset:224
	v_cmp_lt_u32_e64 s0, 28, v0
	s_waitcnt vmcnt(0)
	ds_store_b64 v84, v[81:82]
	s_waitcnt lgkmcnt(0)
	s_waitcnt_vscnt null, 0x0
	s_barrier
	buffer_gl0_inv
	s_and_saveexec_b32 s3, s0
	s_cbranch_execz .LBB103_108
; %bb.99:
	s_and_not1_b32 vcc_lo, exec_lo, s2
	s_cbranch_vccnz .LBB103_101
; %bb.100:
	scratch_load_b64 v[81:82], v85, off
	ds_load_b64 v[100:101], v84
	s_waitcnt vmcnt(0) lgkmcnt(0)
	v_mul_f64 v[81:82], v[81:82], v[100:101]
	s_cbranch_execz .LBB103_102
	s_branch .LBB103_103
.LBB103_101:
                                        ; implicit-def: $vgpr81_vgpr82
.LBB103_102:
	ds_load_b64 v[81:82], v84
.LBB103_103:
	s_and_saveexec_b32 s4, s1
	s_cbranch_execz .LBB103_107
; %bb.104:
	v_mov_b32_e32 v100, 0
	v_subrev_nc_u32_e32 v101, 29, v0
	s_movk_i32 s5, 0x228
	s_mov_b32 s1, 0
	s_delay_alu instid0(VALU_DEP_2)
	v_add_nc_u32_e32 v100, 0xe8, v100
.LBB103_105:                            ; =>This Inner Loop Header: Depth=1
	scratch_load_b64 v[102:103], v100, off
	v_dual_mov_b32 v104, s5 :: v_dual_add_nc_u32 v101, -1, v101
	v_add_nc_u32_e32 v100, 8, v100
	s_add_i32 s5, s5, 8
	ds_load_b64 v[104:105], v104
	v_cmp_eq_u32_e32 vcc_lo, 0, v101
	s_or_b32 s1, vcc_lo, s1
	s_waitcnt vmcnt(0) lgkmcnt(0)
	v_fma_f64 v[81:82], v[102:103], v[104:105], v[81:82]
	s_and_not1_b32 exec_lo, exec_lo, s1
	s_cbranch_execnz .LBB103_105
; %bb.106:
	s_or_b32 exec_lo, exec_lo, s1
.LBB103_107:
	s_delay_alu instid0(SALU_CYCLE_1)
	s_or_b32 exec_lo, exec_lo, s4
	v_mov_b32_e32 v100, 0
	ds_load_b64 v[100:101], v100 offset:224
	s_waitcnt lgkmcnt(0)
	v_mul_f64 v[81:82], v[81:82], v[100:101]
	scratch_store_b64 off, v[81:82], off offset:224
.LBB103_108:
	s_or_b32 exec_lo, exec_lo, s3
	scratch_load_b64 v[81:82], off, off offset:216
	v_cmp_lt_u32_e64 s1, 27, v0
	s_waitcnt vmcnt(0)
	ds_store_b64 v84, v[81:82]
	s_waitcnt lgkmcnt(0)
	s_waitcnt_vscnt null, 0x0
	s_barrier
	buffer_gl0_inv
	s_and_saveexec_b32 s3, s1
	s_cbranch_execz .LBB103_118
; %bb.109:
	s_and_not1_b32 vcc_lo, exec_lo, s2
	s_cbranch_vccnz .LBB103_111
; %bb.110:
	scratch_load_b64 v[81:82], v85, off
	ds_load_b64 v[100:101], v84
	s_waitcnt vmcnt(0) lgkmcnt(0)
	v_mul_f64 v[81:82], v[81:82], v[100:101]
	s_cbranch_execz .LBB103_112
	s_branch .LBB103_113
.LBB103_111:
                                        ; implicit-def: $vgpr81_vgpr82
.LBB103_112:
	ds_load_b64 v[81:82], v84
.LBB103_113:
	s_and_saveexec_b32 s4, s0
	s_cbranch_execz .LBB103_117
; %bb.114:
	v_subrev_nc_u32_e32 v100, 28, v0
	s_movk_i32 s5, 0x220
	s_mov_b32 s0, 0
.LBB103_115:                            ; =>This Inner Loop Header: Depth=1
	scratch_load_b64 v[101:102], v99, off
	v_dual_mov_b32 v103, s5 :: v_dual_add_nc_u32 v100, -1, v100
	v_add_nc_u32_e32 v99, 8, v99
	s_add_i32 s5, s5, 8
	ds_load_b64 v[103:104], v103
	v_cmp_eq_u32_e32 vcc_lo, 0, v100
	s_or_b32 s0, vcc_lo, s0
	s_waitcnt vmcnt(0) lgkmcnt(0)
	v_fma_f64 v[81:82], v[101:102], v[103:104], v[81:82]
	s_and_not1_b32 exec_lo, exec_lo, s0
	s_cbranch_execnz .LBB103_115
; %bb.116:
	s_or_b32 exec_lo, exec_lo, s0
.LBB103_117:
	s_delay_alu instid0(SALU_CYCLE_1)
	s_or_b32 exec_lo, exec_lo, s4
	v_mov_b32_e32 v99, 0
	ds_load_b64 v[99:100], v99 offset:216
	s_waitcnt lgkmcnt(0)
	v_mul_f64 v[81:82], v[81:82], v[99:100]
	scratch_store_b64 off, v[81:82], off offset:216
.LBB103_118:
	s_or_b32 exec_lo, exec_lo, s3
	scratch_load_b64 v[81:82], off, off offset:208
	v_cmp_lt_u32_e64 s0, 26, v0
	s_waitcnt vmcnt(0)
	ds_store_b64 v84, v[81:82]
	s_waitcnt lgkmcnt(0)
	s_waitcnt_vscnt null, 0x0
	s_barrier
	buffer_gl0_inv
	s_and_saveexec_b32 s3, s0
	s_cbranch_execz .LBB103_128
; %bb.119:
	s_and_not1_b32 vcc_lo, exec_lo, s2
	s_cbranch_vccnz .LBB103_121
; %bb.120:
	scratch_load_b64 v[81:82], v85, off
	ds_load_b64 v[99:100], v84
	s_waitcnt vmcnt(0) lgkmcnt(0)
	v_mul_f64 v[81:82], v[81:82], v[99:100]
	s_cbranch_execz .LBB103_122
	s_branch .LBB103_123
.LBB103_121:
                                        ; implicit-def: $vgpr81_vgpr82
.LBB103_122:
	ds_load_b64 v[81:82], v84
.LBB103_123:
	s_and_saveexec_b32 s4, s1
	s_cbranch_execz .LBB103_127
; %bb.124:
	v_mov_b32_e32 v99, 0
	v_subrev_nc_u32_e32 v100, 27, v0
	s_movk_i32 s5, 0x218
	s_mov_b32 s1, 0
	s_delay_alu instid0(VALU_DEP_2)
	v_add_nc_u32_e32 v99, 0xd8, v99
.LBB103_125:                            ; =>This Inner Loop Header: Depth=1
	scratch_load_b64 v[101:102], v99, off
	v_dual_mov_b32 v103, s5 :: v_dual_add_nc_u32 v100, -1, v100
	v_add_nc_u32_e32 v99, 8, v99
	s_add_i32 s5, s5, 8
	ds_load_b64 v[103:104], v103
	v_cmp_eq_u32_e32 vcc_lo, 0, v100
	s_or_b32 s1, vcc_lo, s1
	s_waitcnt vmcnt(0) lgkmcnt(0)
	v_fma_f64 v[81:82], v[101:102], v[103:104], v[81:82]
	s_and_not1_b32 exec_lo, exec_lo, s1
	s_cbranch_execnz .LBB103_125
; %bb.126:
	s_or_b32 exec_lo, exec_lo, s1
.LBB103_127:
	s_delay_alu instid0(SALU_CYCLE_1)
	s_or_b32 exec_lo, exec_lo, s4
	v_mov_b32_e32 v99, 0
	ds_load_b64 v[99:100], v99 offset:208
	s_waitcnt lgkmcnt(0)
	v_mul_f64 v[81:82], v[81:82], v[99:100]
	scratch_store_b64 off, v[81:82], off offset:208
.LBB103_128:
	s_or_b32 exec_lo, exec_lo, s3
	scratch_load_b64 v[81:82], off, off offset:200
	v_cmp_lt_u32_e64 s1, 25, v0
	s_waitcnt vmcnt(0)
	ds_store_b64 v84, v[81:82]
	s_waitcnt lgkmcnt(0)
	s_waitcnt_vscnt null, 0x0
	s_barrier
	buffer_gl0_inv
	s_and_saveexec_b32 s3, s1
	s_cbranch_execz .LBB103_138
; %bb.129:
	s_and_not1_b32 vcc_lo, exec_lo, s2
	s_cbranch_vccnz .LBB103_131
; %bb.130:
	scratch_load_b64 v[81:82], v85, off
	ds_load_b64 v[99:100], v84
	s_waitcnt vmcnt(0) lgkmcnt(0)
	v_mul_f64 v[81:82], v[81:82], v[99:100]
	s_cbranch_execz .LBB103_132
	s_branch .LBB103_133
.LBB103_131:
                                        ; implicit-def: $vgpr81_vgpr82
.LBB103_132:
	ds_load_b64 v[81:82], v84
.LBB103_133:
	s_and_saveexec_b32 s4, s0
	s_cbranch_execz .LBB103_137
; %bb.134:
	v_subrev_nc_u32_e32 v99, 26, v0
	s_movk_i32 s5, 0x210
	s_mov_b32 s0, 0
.LBB103_135:                            ; =>This Inner Loop Header: Depth=1
	scratch_load_b64 v[100:101], v98, off
	v_dual_mov_b32 v102, s5 :: v_dual_add_nc_u32 v99, -1, v99
	v_add_nc_u32_e32 v98, 8, v98
	s_add_i32 s5, s5, 8
	ds_load_b64 v[102:103], v102
	v_cmp_eq_u32_e32 vcc_lo, 0, v99
	s_or_b32 s0, vcc_lo, s0
	s_waitcnt vmcnt(0) lgkmcnt(0)
	v_fma_f64 v[81:82], v[100:101], v[102:103], v[81:82]
	s_and_not1_b32 exec_lo, exec_lo, s0
	s_cbranch_execnz .LBB103_135
; %bb.136:
	s_or_b32 exec_lo, exec_lo, s0
.LBB103_137:
	s_delay_alu instid0(SALU_CYCLE_1)
	s_or_b32 exec_lo, exec_lo, s4
	v_mov_b32_e32 v98, 0
	ds_load_b64 v[98:99], v98 offset:200
	s_waitcnt lgkmcnt(0)
	v_mul_f64 v[81:82], v[81:82], v[98:99]
	scratch_store_b64 off, v[81:82], off offset:200
.LBB103_138:
	s_or_b32 exec_lo, exec_lo, s3
	scratch_load_b64 v[81:82], off, off offset:192
	v_cmp_lt_u32_e64 s0, 24, v0
	s_waitcnt vmcnt(0)
	ds_store_b64 v84, v[81:82]
	s_waitcnt lgkmcnt(0)
	s_waitcnt_vscnt null, 0x0
	s_barrier
	buffer_gl0_inv
	s_and_saveexec_b32 s3, s0
	s_cbranch_execz .LBB103_148
; %bb.139:
	s_and_not1_b32 vcc_lo, exec_lo, s2
	s_cbranch_vccnz .LBB103_141
; %bb.140:
	scratch_load_b64 v[81:82], v85, off
	ds_load_b64 v[98:99], v84
	s_waitcnt vmcnt(0) lgkmcnt(0)
	v_mul_f64 v[81:82], v[81:82], v[98:99]
	s_cbranch_execz .LBB103_142
	s_branch .LBB103_143
.LBB103_141:
                                        ; implicit-def: $vgpr81_vgpr82
.LBB103_142:
	ds_load_b64 v[81:82], v84
.LBB103_143:
	s_and_saveexec_b32 s4, s1
	s_cbranch_execz .LBB103_147
; %bb.144:
	v_mov_b32_e32 v98, 0
	v_subrev_nc_u32_e32 v99, 25, v0
	s_movk_i32 s5, 0x208
	s_mov_b32 s1, 0
	s_delay_alu instid0(VALU_DEP_2)
	v_add_nc_u32_e32 v98, 0xc8, v98
.LBB103_145:                            ; =>This Inner Loop Header: Depth=1
	scratch_load_b64 v[100:101], v98, off
	v_dual_mov_b32 v102, s5 :: v_dual_add_nc_u32 v99, -1, v99
	v_add_nc_u32_e32 v98, 8, v98
	s_add_i32 s5, s5, 8
	ds_load_b64 v[102:103], v102
	v_cmp_eq_u32_e32 vcc_lo, 0, v99
	s_or_b32 s1, vcc_lo, s1
	s_waitcnt vmcnt(0) lgkmcnt(0)
	v_fma_f64 v[81:82], v[100:101], v[102:103], v[81:82]
	s_and_not1_b32 exec_lo, exec_lo, s1
	s_cbranch_execnz .LBB103_145
; %bb.146:
	s_or_b32 exec_lo, exec_lo, s1
.LBB103_147:
	s_delay_alu instid0(SALU_CYCLE_1)
	s_or_b32 exec_lo, exec_lo, s4
	v_mov_b32_e32 v98, 0
	ds_load_b64 v[98:99], v98 offset:192
	s_waitcnt lgkmcnt(0)
	v_mul_f64 v[81:82], v[81:82], v[98:99]
	scratch_store_b64 off, v[81:82], off offset:192
.LBB103_148:
	s_or_b32 exec_lo, exec_lo, s3
	scratch_load_b64 v[81:82], off, off offset:184
	v_cmp_lt_u32_e64 s1, 23, v0
	s_waitcnt vmcnt(0)
	ds_store_b64 v84, v[81:82]
	s_waitcnt lgkmcnt(0)
	s_waitcnt_vscnt null, 0x0
	s_barrier
	buffer_gl0_inv
	s_and_saveexec_b32 s3, s1
	s_cbranch_execz .LBB103_158
; %bb.149:
	s_and_not1_b32 vcc_lo, exec_lo, s2
	s_cbranch_vccnz .LBB103_151
; %bb.150:
	scratch_load_b64 v[81:82], v85, off
	ds_load_b64 v[98:99], v84
	s_waitcnt vmcnt(0) lgkmcnt(0)
	v_mul_f64 v[81:82], v[81:82], v[98:99]
	s_cbranch_execz .LBB103_152
	s_branch .LBB103_153
.LBB103_151:
                                        ; implicit-def: $vgpr81_vgpr82
.LBB103_152:
	ds_load_b64 v[81:82], v84
.LBB103_153:
	s_and_saveexec_b32 s4, s0
	s_cbranch_execz .LBB103_157
; %bb.154:
	v_subrev_nc_u32_e32 v98, 24, v0
	s_movk_i32 s5, 0x200
	s_mov_b32 s0, 0
.LBB103_155:                            ; =>This Inner Loop Header: Depth=1
	scratch_load_b64 v[99:100], v97, off
	v_dual_mov_b32 v101, s5 :: v_dual_add_nc_u32 v98, -1, v98
	v_add_nc_u32_e32 v97, 8, v97
	s_add_i32 s5, s5, 8
	ds_load_b64 v[101:102], v101
	v_cmp_eq_u32_e32 vcc_lo, 0, v98
	s_or_b32 s0, vcc_lo, s0
	s_waitcnt vmcnt(0) lgkmcnt(0)
	v_fma_f64 v[81:82], v[99:100], v[101:102], v[81:82]
	s_and_not1_b32 exec_lo, exec_lo, s0
	s_cbranch_execnz .LBB103_155
; %bb.156:
	s_or_b32 exec_lo, exec_lo, s0
.LBB103_157:
	s_delay_alu instid0(SALU_CYCLE_1)
	s_or_b32 exec_lo, exec_lo, s4
	v_mov_b32_e32 v97, 0
	ds_load_b64 v[97:98], v97 offset:184
	s_waitcnt lgkmcnt(0)
	v_mul_f64 v[81:82], v[81:82], v[97:98]
	scratch_store_b64 off, v[81:82], off offset:184
.LBB103_158:
	s_or_b32 exec_lo, exec_lo, s3
	scratch_load_b64 v[81:82], off, off offset:176
	v_cmp_lt_u32_e64 s0, 22, v0
	s_waitcnt vmcnt(0)
	ds_store_b64 v84, v[81:82]
	s_waitcnt lgkmcnt(0)
	s_waitcnt_vscnt null, 0x0
	s_barrier
	buffer_gl0_inv
	s_and_saveexec_b32 s3, s0
	s_cbranch_execz .LBB103_168
; %bb.159:
	s_and_not1_b32 vcc_lo, exec_lo, s2
	s_cbranch_vccnz .LBB103_161
; %bb.160:
	scratch_load_b64 v[81:82], v85, off
	ds_load_b64 v[97:98], v84
	s_waitcnt vmcnt(0) lgkmcnt(0)
	v_mul_f64 v[81:82], v[81:82], v[97:98]
	s_cbranch_execz .LBB103_162
	s_branch .LBB103_163
.LBB103_161:
                                        ; implicit-def: $vgpr81_vgpr82
.LBB103_162:
	ds_load_b64 v[81:82], v84
.LBB103_163:
	s_and_saveexec_b32 s4, s1
	s_cbranch_execz .LBB103_167
; %bb.164:
	v_mov_b32_e32 v97, 0
	v_subrev_nc_u32_e32 v98, 23, v0
	s_movk_i32 s5, 0x1f8
	s_mov_b32 s1, 0
	s_delay_alu instid0(VALU_DEP_2)
	v_add_nc_u32_e32 v97, 0xb8, v97
.LBB103_165:                            ; =>This Inner Loop Header: Depth=1
	scratch_load_b64 v[99:100], v97, off
	v_dual_mov_b32 v101, s5 :: v_dual_add_nc_u32 v98, -1, v98
	v_add_nc_u32_e32 v97, 8, v97
	s_add_i32 s5, s5, 8
	ds_load_b64 v[101:102], v101
	v_cmp_eq_u32_e32 vcc_lo, 0, v98
	s_or_b32 s1, vcc_lo, s1
	s_waitcnt vmcnt(0) lgkmcnt(0)
	v_fma_f64 v[81:82], v[99:100], v[101:102], v[81:82]
	s_and_not1_b32 exec_lo, exec_lo, s1
	s_cbranch_execnz .LBB103_165
; %bb.166:
	s_or_b32 exec_lo, exec_lo, s1
.LBB103_167:
	s_delay_alu instid0(SALU_CYCLE_1)
	s_or_b32 exec_lo, exec_lo, s4
	v_mov_b32_e32 v97, 0
	ds_load_b64 v[97:98], v97 offset:176
	s_waitcnt lgkmcnt(0)
	v_mul_f64 v[81:82], v[81:82], v[97:98]
	scratch_store_b64 off, v[81:82], off offset:176
.LBB103_168:
	s_or_b32 exec_lo, exec_lo, s3
	scratch_load_b64 v[81:82], off, off offset:168
	v_cmp_lt_u32_e64 s1, 21, v0
	s_waitcnt vmcnt(0)
	ds_store_b64 v84, v[81:82]
	s_waitcnt lgkmcnt(0)
	s_waitcnt_vscnt null, 0x0
	s_barrier
	buffer_gl0_inv
	s_and_saveexec_b32 s3, s1
	s_cbranch_execz .LBB103_178
; %bb.169:
	s_and_not1_b32 vcc_lo, exec_lo, s2
	s_cbranch_vccnz .LBB103_171
; %bb.170:
	scratch_load_b64 v[81:82], v85, off
	ds_load_b64 v[97:98], v84
	s_waitcnt vmcnt(0) lgkmcnt(0)
	v_mul_f64 v[81:82], v[81:82], v[97:98]
	s_cbranch_execz .LBB103_172
	s_branch .LBB103_173
.LBB103_171:
                                        ; implicit-def: $vgpr81_vgpr82
.LBB103_172:
	ds_load_b64 v[81:82], v84
.LBB103_173:
	s_and_saveexec_b32 s4, s0
	s_cbranch_execz .LBB103_177
; %bb.174:
	v_subrev_nc_u32_e32 v97, 22, v0
	s_movk_i32 s5, 0x1f0
	s_mov_b32 s0, 0
.LBB103_175:                            ; =>This Inner Loop Header: Depth=1
	scratch_load_b64 v[98:99], v96, off
	v_dual_mov_b32 v100, s5 :: v_dual_add_nc_u32 v97, -1, v97
	v_add_nc_u32_e32 v96, 8, v96
	s_add_i32 s5, s5, 8
	ds_load_b64 v[100:101], v100
	v_cmp_eq_u32_e32 vcc_lo, 0, v97
	s_or_b32 s0, vcc_lo, s0
	s_waitcnt vmcnt(0) lgkmcnt(0)
	v_fma_f64 v[81:82], v[98:99], v[100:101], v[81:82]
	s_and_not1_b32 exec_lo, exec_lo, s0
	s_cbranch_execnz .LBB103_175
; %bb.176:
	s_or_b32 exec_lo, exec_lo, s0
.LBB103_177:
	s_delay_alu instid0(SALU_CYCLE_1)
	s_or_b32 exec_lo, exec_lo, s4
	v_mov_b32_e32 v96, 0
	ds_load_b64 v[96:97], v96 offset:168
	s_waitcnt lgkmcnt(0)
	v_mul_f64 v[81:82], v[81:82], v[96:97]
	scratch_store_b64 off, v[81:82], off offset:168
.LBB103_178:
	s_or_b32 exec_lo, exec_lo, s3
	scratch_load_b64 v[81:82], off, off offset:160
	v_cmp_lt_u32_e64 s0, 20, v0
	s_waitcnt vmcnt(0)
	ds_store_b64 v84, v[81:82]
	s_waitcnt lgkmcnt(0)
	s_waitcnt_vscnt null, 0x0
	s_barrier
	buffer_gl0_inv
	s_and_saveexec_b32 s3, s0
	s_cbranch_execz .LBB103_188
; %bb.179:
	s_and_not1_b32 vcc_lo, exec_lo, s2
	s_cbranch_vccnz .LBB103_181
; %bb.180:
	scratch_load_b64 v[81:82], v85, off
	ds_load_b64 v[96:97], v84
	s_waitcnt vmcnt(0) lgkmcnt(0)
	v_mul_f64 v[81:82], v[81:82], v[96:97]
	s_cbranch_execz .LBB103_182
	s_branch .LBB103_183
.LBB103_181:
                                        ; implicit-def: $vgpr81_vgpr82
.LBB103_182:
	ds_load_b64 v[81:82], v84
.LBB103_183:
	s_and_saveexec_b32 s4, s1
	s_cbranch_execz .LBB103_187
; %bb.184:
	v_mov_b32_e32 v96, 0
	v_subrev_nc_u32_e32 v97, 21, v0
	s_movk_i32 s5, 0x1e8
	s_mov_b32 s1, 0
	s_delay_alu instid0(VALU_DEP_2)
	v_add_nc_u32_e32 v96, 0xa8, v96
.LBB103_185:                            ; =>This Inner Loop Header: Depth=1
	scratch_load_b64 v[98:99], v96, off
	v_dual_mov_b32 v100, s5 :: v_dual_add_nc_u32 v97, -1, v97
	v_add_nc_u32_e32 v96, 8, v96
	s_add_i32 s5, s5, 8
	ds_load_b64 v[100:101], v100
	v_cmp_eq_u32_e32 vcc_lo, 0, v97
	s_or_b32 s1, vcc_lo, s1
	s_waitcnt vmcnt(0) lgkmcnt(0)
	v_fma_f64 v[81:82], v[98:99], v[100:101], v[81:82]
	s_and_not1_b32 exec_lo, exec_lo, s1
	s_cbranch_execnz .LBB103_185
; %bb.186:
	s_or_b32 exec_lo, exec_lo, s1
.LBB103_187:
	s_delay_alu instid0(SALU_CYCLE_1)
	s_or_b32 exec_lo, exec_lo, s4
	v_mov_b32_e32 v96, 0
	ds_load_b64 v[96:97], v96 offset:160
	s_waitcnt lgkmcnt(0)
	v_mul_f64 v[81:82], v[81:82], v[96:97]
	scratch_store_b64 off, v[81:82], off offset:160
.LBB103_188:
	s_or_b32 exec_lo, exec_lo, s3
	scratch_load_b64 v[81:82], off, off offset:152
	v_cmp_lt_u32_e64 s1, 19, v0
	s_waitcnt vmcnt(0)
	ds_store_b64 v84, v[81:82]
	s_waitcnt lgkmcnt(0)
	s_waitcnt_vscnt null, 0x0
	s_barrier
	buffer_gl0_inv
	s_and_saveexec_b32 s3, s1
	s_cbranch_execz .LBB103_198
; %bb.189:
	s_and_not1_b32 vcc_lo, exec_lo, s2
	s_cbranch_vccnz .LBB103_191
; %bb.190:
	scratch_load_b64 v[81:82], v85, off
	ds_load_b64 v[96:97], v84
	s_waitcnt vmcnt(0) lgkmcnt(0)
	v_mul_f64 v[81:82], v[81:82], v[96:97]
	s_cbranch_execz .LBB103_192
	s_branch .LBB103_193
.LBB103_191:
                                        ; implicit-def: $vgpr81_vgpr82
.LBB103_192:
	ds_load_b64 v[81:82], v84
.LBB103_193:
	s_and_saveexec_b32 s4, s0
	s_cbranch_execz .LBB103_197
; %bb.194:
	v_subrev_nc_u32_e32 v96, 20, v0
	s_movk_i32 s5, 0x1e0
	s_mov_b32 s0, 0
.LBB103_195:                            ; =>This Inner Loop Header: Depth=1
	scratch_load_b64 v[97:98], v95, off
	v_dual_mov_b32 v99, s5 :: v_dual_add_nc_u32 v96, -1, v96
	v_add_nc_u32_e32 v95, 8, v95
	s_add_i32 s5, s5, 8
	ds_load_b64 v[99:100], v99
	v_cmp_eq_u32_e32 vcc_lo, 0, v96
	s_or_b32 s0, vcc_lo, s0
	s_waitcnt vmcnt(0) lgkmcnt(0)
	v_fma_f64 v[81:82], v[97:98], v[99:100], v[81:82]
	s_and_not1_b32 exec_lo, exec_lo, s0
	s_cbranch_execnz .LBB103_195
; %bb.196:
	s_or_b32 exec_lo, exec_lo, s0
.LBB103_197:
	s_delay_alu instid0(SALU_CYCLE_1)
	s_or_b32 exec_lo, exec_lo, s4
	v_mov_b32_e32 v95, 0
	ds_load_b64 v[95:96], v95 offset:152
	s_waitcnt lgkmcnt(0)
	v_mul_f64 v[81:82], v[81:82], v[95:96]
	scratch_store_b64 off, v[81:82], off offset:152
.LBB103_198:
	s_or_b32 exec_lo, exec_lo, s3
	scratch_load_b64 v[81:82], off, off offset:144
	v_cmp_lt_u32_e64 s0, 18, v0
	s_waitcnt vmcnt(0)
	ds_store_b64 v84, v[81:82]
	s_waitcnt lgkmcnt(0)
	s_waitcnt_vscnt null, 0x0
	s_barrier
	buffer_gl0_inv
	s_and_saveexec_b32 s3, s0
	s_cbranch_execz .LBB103_208
; %bb.199:
	s_and_not1_b32 vcc_lo, exec_lo, s2
	s_cbranch_vccnz .LBB103_201
; %bb.200:
	scratch_load_b64 v[81:82], v85, off
	ds_load_b64 v[95:96], v84
	s_waitcnt vmcnt(0) lgkmcnt(0)
	v_mul_f64 v[81:82], v[81:82], v[95:96]
	s_cbranch_execz .LBB103_202
	s_branch .LBB103_203
.LBB103_201:
                                        ; implicit-def: $vgpr81_vgpr82
.LBB103_202:
	ds_load_b64 v[81:82], v84
.LBB103_203:
	s_and_saveexec_b32 s4, s1
	s_cbranch_execz .LBB103_207
; %bb.204:
	v_mov_b32_e32 v95, 0
	v_subrev_nc_u32_e32 v96, 19, v0
	s_movk_i32 s5, 0x1d8
	s_mov_b32 s1, 0
	s_delay_alu instid0(VALU_DEP_2)
	v_add_nc_u32_e32 v95, 0x98, v95
.LBB103_205:                            ; =>This Inner Loop Header: Depth=1
	scratch_load_b64 v[97:98], v95, off
	v_dual_mov_b32 v99, s5 :: v_dual_add_nc_u32 v96, -1, v96
	v_add_nc_u32_e32 v95, 8, v95
	s_add_i32 s5, s5, 8
	ds_load_b64 v[99:100], v99
	v_cmp_eq_u32_e32 vcc_lo, 0, v96
	s_or_b32 s1, vcc_lo, s1
	s_waitcnt vmcnt(0) lgkmcnt(0)
	v_fma_f64 v[81:82], v[97:98], v[99:100], v[81:82]
	s_and_not1_b32 exec_lo, exec_lo, s1
	s_cbranch_execnz .LBB103_205
; %bb.206:
	s_or_b32 exec_lo, exec_lo, s1
.LBB103_207:
	s_delay_alu instid0(SALU_CYCLE_1)
	s_or_b32 exec_lo, exec_lo, s4
	v_mov_b32_e32 v95, 0
	ds_load_b64 v[95:96], v95 offset:144
	s_waitcnt lgkmcnt(0)
	v_mul_f64 v[81:82], v[81:82], v[95:96]
	scratch_store_b64 off, v[81:82], off offset:144
.LBB103_208:
	s_or_b32 exec_lo, exec_lo, s3
	scratch_load_b64 v[81:82], off, off offset:136
	v_cmp_lt_u32_e64 s1, 17, v0
	s_waitcnt vmcnt(0)
	ds_store_b64 v84, v[81:82]
	s_waitcnt lgkmcnt(0)
	s_waitcnt_vscnt null, 0x0
	s_barrier
	buffer_gl0_inv
	s_and_saveexec_b32 s3, s1
	s_cbranch_execz .LBB103_218
; %bb.209:
	s_and_not1_b32 vcc_lo, exec_lo, s2
	s_cbranch_vccnz .LBB103_211
; %bb.210:
	scratch_load_b64 v[81:82], v85, off
	ds_load_b64 v[95:96], v84
	s_waitcnt vmcnt(0) lgkmcnt(0)
	v_mul_f64 v[81:82], v[81:82], v[95:96]
	s_cbranch_execz .LBB103_212
	s_branch .LBB103_213
.LBB103_211:
                                        ; implicit-def: $vgpr81_vgpr82
.LBB103_212:
	ds_load_b64 v[81:82], v84
.LBB103_213:
	s_and_saveexec_b32 s4, s0
	s_cbranch_execz .LBB103_217
; %bb.214:
	v_subrev_nc_u32_e32 v95, 18, v0
	s_movk_i32 s5, 0x1d0
	s_mov_b32 s0, 0
.LBB103_215:                            ; =>This Inner Loop Header: Depth=1
	scratch_load_b64 v[96:97], v94, off
	v_dual_mov_b32 v98, s5 :: v_dual_add_nc_u32 v95, -1, v95
	v_add_nc_u32_e32 v94, 8, v94
	s_add_i32 s5, s5, 8
	ds_load_b64 v[98:99], v98
	v_cmp_eq_u32_e32 vcc_lo, 0, v95
	s_or_b32 s0, vcc_lo, s0
	s_waitcnt vmcnt(0) lgkmcnt(0)
	v_fma_f64 v[81:82], v[96:97], v[98:99], v[81:82]
	s_and_not1_b32 exec_lo, exec_lo, s0
	s_cbranch_execnz .LBB103_215
; %bb.216:
	s_or_b32 exec_lo, exec_lo, s0
.LBB103_217:
	s_delay_alu instid0(SALU_CYCLE_1)
	s_or_b32 exec_lo, exec_lo, s4
	v_mov_b32_e32 v94, 0
	ds_load_b64 v[94:95], v94 offset:136
	s_waitcnt lgkmcnt(0)
	v_mul_f64 v[81:82], v[81:82], v[94:95]
	scratch_store_b64 off, v[81:82], off offset:136
.LBB103_218:
	s_or_b32 exec_lo, exec_lo, s3
	scratch_load_b64 v[81:82], off, off offset:128
	v_cmp_lt_u32_e64 s0, 16, v0
	s_waitcnt vmcnt(0)
	ds_store_b64 v84, v[81:82]
	s_waitcnt lgkmcnt(0)
	s_waitcnt_vscnt null, 0x0
	s_barrier
	buffer_gl0_inv
	s_and_saveexec_b32 s3, s0
	s_cbranch_execz .LBB103_228
; %bb.219:
	s_and_not1_b32 vcc_lo, exec_lo, s2
	s_cbranch_vccnz .LBB103_221
; %bb.220:
	scratch_load_b64 v[81:82], v85, off
	ds_load_b64 v[94:95], v84
	s_waitcnt vmcnt(0) lgkmcnt(0)
	v_mul_f64 v[81:82], v[81:82], v[94:95]
	s_cbranch_execz .LBB103_222
	s_branch .LBB103_223
.LBB103_221:
                                        ; implicit-def: $vgpr81_vgpr82
.LBB103_222:
	ds_load_b64 v[81:82], v84
.LBB103_223:
	s_and_saveexec_b32 s4, s1
	s_cbranch_execz .LBB103_227
; %bb.224:
	v_mov_b32_e32 v94, 0
	v_subrev_nc_u32_e32 v95, 17, v0
	s_movk_i32 s5, 0x1c8
	s_mov_b32 s1, 0
	s_delay_alu instid0(VALU_DEP_2)
	v_add_nc_u32_e32 v94, 0x88, v94
.LBB103_225:                            ; =>This Inner Loop Header: Depth=1
	scratch_load_b64 v[96:97], v94, off
	v_dual_mov_b32 v98, s5 :: v_dual_add_nc_u32 v95, -1, v95
	v_add_nc_u32_e32 v94, 8, v94
	s_add_i32 s5, s5, 8
	ds_load_b64 v[98:99], v98
	v_cmp_eq_u32_e32 vcc_lo, 0, v95
	s_or_b32 s1, vcc_lo, s1
	s_waitcnt vmcnt(0) lgkmcnt(0)
	v_fma_f64 v[81:82], v[96:97], v[98:99], v[81:82]
	s_and_not1_b32 exec_lo, exec_lo, s1
	s_cbranch_execnz .LBB103_225
; %bb.226:
	s_or_b32 exec_lo, exec_lo, s1
.LBB103_227:
	s_delay_alu instid0(SALU_CYCLE_1)
	s_or_b32 exec_lo, exec_lo, s4
	v_mov_b32_e32 v94, 0
	ds_load_b64 v[94:95], v94 offset:128
	s_waitcnt lgkmcnt(0)
	v_mul_f64 v[81:82], v[81:82], v[94:95]
	scratch_store_b64 off, v[81:82], off offset:128
.LBB103_228:
	s_or_b32 exec_lo, exec_lo, s3
	scratch_load_b64 v[81:82], off, off offset:120
	v_cmp_lt_u32_e64 s1, 15, v0
	s_waitcnt vmcnt(0)
	ds_store_b64 v84, v[81:82]
	s_waitcnt lgkmcnt(0)
	s_waitcnt_vscnt null, 0x0
	s_barrier
	buffer_gl0_inv
	s_and_saveexec_b32 s3, s1
	s_cbranch_execz .LBB103_238
; %bb.229:
	s_and_not1_b32 vcc_lo, exec_lo, s2
	s_cbranch_vccnz .LBB103_231
; %bb.230:
	scratch_load_b64 v[81:82], v85, off
	ds_load_b64 v[94:95], v84
	s_waitcnt vmcnt(0) lgkmcnt(0)
	v_mul_f64 v[81:82], v[81:82], v[94:95]
	s_cbranch_execz .LBB103_232
	s_branch .LBB103_233
.LBB103_231:
                                        ; implicit-def: $vgpr81_vgpr82
.LBB103_232:
	ds_load_b64 v[81:82], v84
.LBB103_233:
	s_and_saveexec_b32 s4, s0
	s_cbranch_execz .LBB103_237
; %bb.234:
	v_add_nc_u32_e32 v94, -16, v0
	s_movk_i32 s5, 0x1c0
	s_mov_b32 s0, 0
.LBB103_235:                            ; =>This Inner Loop Header: Depth=1
	scratch_load_b64 v[95:96], v93, off
	v_dual_mov_b32 v97, s5 :: v_dual_add_nc_u32 v94, -1, v94
	v_add_nc_u32_e32 v93, 8, v93
	s_add_i32 s5, s5, 8
	ds_load_b64 v[97:98], v97
	v_cmp_eq_u32_e32 vcc_lo, 0, v94
	s_or_b32 s0, vcc_lo, s0
	s_waitcnt vmcnt(0) lgkmcnt(0)
	v_fma_f64 v[81:82], v[95:96], v[97:98], v[81:82]
	s_and_not1_b32 exec_lo, exec_lo, s0
	s_cbranch_execnz .LBB103_235
; %bb.236:
	s_or_b32 exec_lo, exec_lo, s0
.LBB103_237:
	s_delay_alu instid0(SALU_CYCLE_1)
	s_or_b32 exec_lo, exec_lo, s4
	v_mov_b32_e32 v93, 0
	ds_load_b64 v[93:94], v93 offset:120
	s_waitcnt lgkmcnt(0)
	v_mul_f64 v[81:82], v[81:82], v[93:94]
	scratch_store_b64 off, v[81:82], off offset:120
.LBB103_238:
	s_or_b32 exec_lo, exec_lo, s3
	scratch_load_b64 v[81:82], off, off offset:112
	v_cmp_lt_u32_e64 s0, 14, v0
	s_waitcnt vmcnt(0)
	ds_store_b64 v84, v[81:82]
	s_waitcnt lgkmcnt(0)
	s_waitcnt_vscnt null, 0x0
	s_barrier
	buffer_gl0_inv
	s_and_saveexec_b32 s3, s0
	s_cbranch_execz .LBB103_248
; %bb.239:
	s_and_not1_b32 vcc_lo, exec_lo, s2
	s_cbranch_vccnz .LBB103_241
; %bb.240:
	scratch_load_b64 v[81:82], v85, off
	ds_load_b64 v[93:94], v84
	s_waitcnt vmcnt(0) lgkmcnt(0)
	v_mul_f64 v[81:82], v[81:82], v[93:94]
	s_cbranch_execz .LBB103_242
	s_branch .LBB103_243
.LBB103_241:
                                        ; implicit-def: $vgpr81_vgpr82
.LBB103_242:
	ds_load_b64 v[81:82], v84
.LBB103_243:
	s_and_saveexec_b32 s4, s1
	s_cbranch_execz .LBB103_247
; %bb.244:
	v_dual_mov_b32 v93, 0 :: v_dual_add_nc_u32 v94, -15, v0
	s_movk_i32 s5, 0x1b8
	s_mov_b32 s1, 0
	s_delay_alu instid0(VALU_DEP_1)
	v_add_nc_u32_e32 v93, 0x78, v93
.LBB103_245:                            ; =>This Inner Loop Header: Depth=1
	scratch_load_b64 v[95:96], v93, off
	v_dual_mov_b32 v97, s5 :: v_dual_add_nc_u32 v94, -1, v94
	v_add_nc_u32_e32 v93, 8, v93
	s_add_i32 s5, s5, 8
	ds_load_b64 v[97:98], v97
	v_cmp_eq_u32_e32 vcc_lo, 0, v94
	s_or_b32 s1, vcc_lo, s1
	s_waitcnt vmcnt(0) lgkmcnt(0)
	v_fma_f64 v[81:82], v[95:96], v[97:98], v[81:82]
	s_and_not1_b32 exec_lo, exec_lo, s1
	s_cbranch_execnz .LBB103_245
; %bb.246:
	s_or_b32 exec_lo, exec_lo, s1
.LBB103_247:
	s_delay_alu instid0(SALU_CYCLE_1)
	s_or_b32 exec_lo, exec_lo, s4
	v_mov_b32_e32 v93, 0
	ds_load_b64 v[93:94], v93 offset:112
	s_waitcnt lgkmcnt(0)
	v_mul_f64 v[81:82], v[81:82], v[93:94]
	scratch_store_b64 off, v[81:82], off offset:112
.LBB103_248:
	s_or_b32 exec_lo, exec_lo, s3
	scratch_load_b64 v[81:82], off, off offset:104
	v_cmp_lt_u32_e64 s1, 13, v0
	s_waitcnt vmcnt(0)
	ds_store_b64 v84, v[81:82]
	s_waitcnt lgkmcnt(0)
	s_waitcnt_vscnt null, 0x0
	s_barrier
	buffer_gl0_inv
	s_and_saveexec_b32 s3, s1
	s_cbranch_execz .LBB103_258
; %bb.249:
	s_and_not1_b32 vcc_lo, exec_lo, s2
	s_cbranch_vccnz .LBB103_251
; %bb.250:
	scratch_load_b64 v[81:82], v85, off
	ds_load_b64 v[93:94], v84
	s_waitcnt vmcnt(0) lgkmcnt(0)
	v_mul_f64 v[81:82], v[81:82], v[93:94]
	s_cbranch_execz .LBB103_252
	s_branch .LBB103_253
.LBB103_251:
                                        ; implicit-def: $vgpr81_vgpr82
.LBB103_252:
	ds_load_b64 v[81:82], v84
.LBB103_253:
	s_and_saveexec_b32 s4, s0
	s_cbranch_execz .LBB103_257
; %bb.254:
	v_add_nc_u32_e32 v93, -14, v0
	s_movk_i32 s5, 0x1b0
	s_mov_b32 s0, 0
.LBB103_255:                            ; =>This Inner Loop Header: Depth=1
	scratch_load_b64 v[94:95], v92, off
	v_dual_mov_b32 v96, s5 :: v_dual_add_nc_u32 v93, -1, v93
	v_add_nc_u32_e32 v92, 8, v92
	s_add_i32 s5, s5, 8
	ds_load_b64 v[96:97], v96
	v_cmp_eq_u32_e32 vcc_lo, 0, v93
	s_or_b32 s0, vcc_lo, s0
	s_waitcnt vmcnt(0) lgkmcnt(0)
	v_fma_f64 v[81:82], v[94:95], v[96:97], v[81:82]
	s_and_not1_b32 exec_lo, exec_lo, s0
	s_cbranch_execnz .LBB103_255
; %bb.256:
	s_or_b32 exec_lo, exec_lo, s0
.LBB103_257:
	s_delay_alu instid0(SALU_CYCLE_1)
	s_or_b32 exec_lo, exec_lo, s4
	v_mov_b32_e32 v92, 0
	ds_load_b64 v[92:93], v92 offset:104
	s_waitcnt lgkmcnt(0)
	v_mul_f64 v[81:82], v[81:82], v[92:93]
	scratch_store_b64 off, v[81:82], off offset:104
.LBB103_258:
	s_or_b32 exec_lo, exec_lo, s3
	scratch_load_b64 v[81:82], off, off offset:96
	v_cmp_lt_u32_e64 s0, 12, v0
	s_waitcnt vmcnt(0)
	ds_store_b64 v84, v[81:82]
	s_waitcnt lgkmcnt(0)
	s_waitcnt_vscnt null, 0x0
	s_barrier
	buffer_gl0_inv
	s_and_saveexec_b32 s3, s0
	s_cbranch_execz .LBB103_268
; %bb.259:
	s_and_not1_b32 vcc_lo, exec_lo, s2
	s_cbranch_vccnz .LBB103_261
; %bb.260:
	scratch_load_b64 v[81:82], v85, off
	ds_load_b64 v[92:93], v84
	s_waitcnt vmcnt(0) lgkmcnt(0)
	v_mul_f64 v[81:82], v[81:82], v[92:93]
	s_cbranch_execz .LBB103_262
	s_branch .LBB103_263
.LBB103_261:
                                        ; implicit-def: $vgpr81_vgpr82
.LBB103_262:
	ds_load_b64 v[81:82], v84
.LBB103_263:
	s_and_saveexec_b32 s4, s1
	s_cbranch_execz .LBB103_267
; %bb.264:
	v_dual_mov_b32 v92, 0 :: v_dual_add_nc_u32 v93, -13, v0
	s_movk_i32 s5, 0x1a8
	s_mov_b32 s1, 0
	s_delay_alu instid0(VALU_DEP_1)
	v_add_nc_u32_e32 v92, 0x68, v92
.LBB103_265:                            ; =>This Inner Loop Header: Depth=1
	scratch_load_b64 v[94:95], v92, off
	v_dual_mov_b32 v96, s5 :: v_dual_add_nc_u32 v93, -1, v93
	v_add_nc_u32_e32 v92, 8, v92
	s_add_i32 s5, s5, 8
	ds_load_b64 v[96:97], v96
	v_cmp_eq_u32_e32 vcc_lo, 0, v93
	s_or_b32 s1, vcc_lo, s1
	s_waitcnt vmcnt(0) lgkmcnt(0)
	v_fma_f64 v[81:82], v[94:95], v[96:97], v[81:82]
	s_and_not1_b32 exec_lo, exec_lo, s1
	s_cbranch_execnz .LBB103_265
; %bb.266:
	s_or_b32 exec_lo, exec_lo, s1
.LBB103_267:
	s_delay_alu instid0(SALU_CYCLE_1)
	s_or_b32 exec_lo, exec_lo, s4
	v_mov_b32_e32 v92, 0
	ds_load_b64 v[92:93], v92 offset:96
	s_waitcnt lgkmcnt(0)
	v_mul_f64 v[81:82], v[81:82], v[92:93]
	scratch_store_b64 off, v[81:82], off offset:96
.LBB103_268:
	s_or_b32 exec_lo, exec_lo, s3
	scratch_load_b64 v[81:82], off, off offset:88
	v_cmp_lt_u32_e64 s1, 11, v0
	s_waitcnt vmcnt(0)
	ds_store_b64 v84, v[81:82]
	s_waitcnt lgkmcnt(0)
	s_waitcnt_vscnt null, 0x0
	s_barrier
	buffer_gl0_inv
	s_and_saveexec_b32 s3, s1
	s_cbranch_execz .LBB103_278
; %bb.269:
	s_and_not1_b32 vcc_lo, exec_lo, s2
	s_cbranch_vccnz .LBB103_271
; %bb.270:
	scratch_load_b64 v[81:82], v85, off
	ds_load_b64 v[92:93], v84
	s_waitcnt vmcnt(0) lgkmcnt(0)
	v_mul_f64 v[81:82], v[81:82], v[92:93]
	s_cbranch_execz .LBB103_272
	s_branch .LBB103_273
.LBB103_271:
                                        ; implicit-def: $vgpr81_vgpr82
.LBB103_272:
	ds_load_b64 v[81:82], v84
.LBB103_273:
	s_and_saveexec_b32 s4, s0
	s_cbranch_execz .LBB103_277
; %bb.274:
	v_add_nc_u32_e32 v92, -12, v0
	s_movk_i32 s5, 0x1a0
	s_mov_b32 s0, 0
.LBB103_275:                            ; =>This Inner Loop Header: Depth=1
	scratch_load_b64 v[93:94], v91, off
	v_dual_mov_b32 v95, s5 :: v_dual_add_nc_u32 v92, -1, v92
	v_add_nc_u32_e32 v91, 8, v91
	s_add_i32 s5, s5, 8
	ds_load_b64 v[95:96], v95
	v_cmp_eq_u32_e32 vcc_lo, 0, v92
	s_or_b32 s0, vcc_lo, s0
	s_waitcnt vmcnt(0) lgkmcnt(0)
	v_fma_f64 v[81:82], v[93:94], v[95:96], v[81:82]
	s_and_not1_b32 exec_lo, exec_lo, s0
	s_cbranch_execnz .LBB103_275
; %bb.276:
	s_or_b32 exec_lo, exec_lo, s0
.LBB103_277:
	s_delay_alu instid0(SALU_CYCLE_1)
	s_or_b32 exec_lo, exec_lo, s4
	v_mov_b32_e32 v91, 0
	ds_load_b64 v[91:92], v91 offset:88
	s_waitcnt lgkmcnt(0)
	v_mul_f64 v[81:82], v[81:82], v[91:92]
	scratch_store_b64 off, v[81:82], off offset:88
.LBB103_278:
	s_or_b32 exec_lo, exec_lo, s3
	scratch_load_b64 v[81:82], off, off offset:80
	v_cmp_lt_u32_e64 s0, 10, v0
	s_waitcnt vmcnt(0)
	ds_store_b64 v84, v[81:82]
	s_waitcnt lgkmcnt(0)
	s_waitcnt_vscnt null, 0x0
	s_barrier
	buffer_gl0_inv
	s_and_saveexec_b32 s3, s0
	s_cbranch_execz .LBB103_288
; %bb.279:
	s_and_not1_b32 vcc_lo, exec_lo, s2
	s_cbranch_vccnz .LBB103_281
; %bb.280:
	scratch_load_b64 v[81:82], v85, off
	ds_load_b64 v[91:92], v84
	s_waitcnt vmcnt(0) lgkmcnt(0)
	v_mul_f64 v[81:82], v[81:82], v[91:92]
	s_cbranch_execz .LBB103_282
	s_branch .LBB103_283
.LBB103_281:
                                        ; implicit-def: $vgpr81_vgpr82
.LBB103_282:
	ds_load_b64 v[81:82], v84
.LBB103_283:
	s_and_saveexec_b32 s4, s1
	s_cbranch_execz .LBB103_287
; %bb.284:
	v_dual_mov_b32 v91, 0 :: v_dual_add_nc_u32 v92, -11, v0
	s_movk_i32 s5, 0x198
	s_mov_b32 s1, 0
	s_delay_alu instid0(VALU_DEP_1)
	v_add_nc_u32_e32 v91, 0x58, v91
.LBB103_285:                            ; =>This Inner Loop Header: Depth=1
	scratch_load_b64 v[93:94], v91, off
	v_dual_mov_b32 v95, s5 :: v_dual_add_nc_u32 v92, -1, v92
	v_add_nc_u32_e32 v91, 8, v91
	s_add_i32 s5, s5, 8
	ds_load_b64 v[95:96], v95
	v_cmp_eq_u32_e32 vcc_lo, 0, v92
	s_or_b32 s1, vcc_lo, s1
	s_waitcnt vmcnt(0) lgkmcnt(0)
	v_fma_f64 v[81:82], v[93:94], v[95:96], v[81:82]
	s_and_not1_b32 exec_lo, exec_lo, s1
	s_cbranch_execnz .LBB103_285
; %bb.286:
	s_or_b32 exec_lo, exec_lo, s1
.LBB103_287:
	s_delay_alu instid0(SALU_CYCLE_1)
	s_or_b32 exec_lo, exec_lo, s4
	v_mov_b32_e32 v91, 0
	ds_load_b64 v[91:92], v91 offset:80
	s_waitcnt lgkmcnt(0)
	v_mul_f64 v[81:82], v[81:82], v[91:92]
	scratch_store_b64 off, v[81:82], off offset:80
.LBB103_288:
	s_or_b32 exec_lo, exec_lo, s3
	scratch_load_b64 v[81:82], off, off offset:72
	v_cmp_lt_u32_e64 s1, 9, v0
	s_waitcnt vmcnt(0)
	ds_store_b64 v84, v[81:82]
	s_waitcnt lgkmcnt(0)
	s_waitcnt_vscnt null, 0x0
	s_barrier
	buffer_gl0_inv
	s_and_saveexec_b32 s3, s1
	s_cbranch_execz .LBB103_298
; %bb.289:
	s_and_not1_b32 vcc_lo, exec_lo, s2
	s_cbranch_vccnz .LBB103_291
; %bb.290:
	scratch_load_b64 v[81:82], v85, off
	ds_load_b64 v[91:92], v84
	s_waitcnt vmcnt(0) lgkmcnt(0)
	v_mul_f64 v[81:82], v[81:82], v[91:92]
	s_cbranch_execz .LBB103_292
	s_branch .LBB103_293
.LBB103_291:
                                        ; implicit-def: $vgpr81_vgpr82
.LBB103_292:
	ds_load_b64 v[81:82], v84
.LBB103_293:
	s_and_saveexec_b32 s4, s0
	s_cbranch_execz .LBB103_297
; %bb.294:
	v_add_nc_u32_e32 v91, -10, v0
	s_movk_i32 s5, 0x190
	s_mov_b32 s0, 0
.LBB103_295:                            ; =>This Inner Loop Header: Depth=1
	scratch_load_b64 v[92:93], v90, off
	v_dual_mov_b32 v94, s5 :: v_dual_add_nc_u32 v91, -1, v91
	v_add_nc_u32_e32 v90, 8, v90
	s_add_i32 s5, s5, 8
	ds_load_b64 v[94:95], v94
	v_cmp_eq_u32_e32 vcc_lo, 0, v91
	s_or_b32 s0, vcc_lo, s0
	s_waitcnt vmcnt(0) lgkmcnt(0)
	v_fma_f64 v[81:82], v[92:93], v[94:95], v[81:82]
	s_and_not1_b32 exec_lo, exec_lo, s0
	s_cbranch_execnz .LBB103_295
; %bb.296:
	s_or_b32 exec_lo, exec_lo, s0
.LBB103_297:
	s_delay_alu instid0(SALU_CYCLE_1)
	s_or_b32 exec_lo, exec_lo, s4
	v_mov_b32_e32 v90, 0
	ds_load_b64 v[90:91], v90 offset:72
	s_waitcnt lgkmcnt(0)
	v_mul_f64 v[81:82], v[81:82], v[90:91]
	scratch_store_b64 off, v[81:82], off offset:72
.LBB103_298:
	s_or_b32 exec_lo, exec_lo, s3
	scratch_load_b64 v[81:82], off, off offset:64
	v_cmp_lt_u32_e64 s0, 8, v0
	s_waitcnt vmcnt(0)
	ds_store_b64 v84, v[81:82]
	s_waitcnt lgkmcnt(0)
	s_waitcnt_vscnt null, 0x0
	s_barrier
	buffer_gl0_inv
	s_and_saveexec_b32 s3, s0
	s_cbranch_execz .LBB103_308
; %bb.299:
	s_and_not1_b32 vcc_lo, exec_lo, s2
	s_cbranch_vccnz .LBB103_301
; %bb.300:
	scratch_load_b64 v[81:82], v85, off
	ds_load_b64 v[90:91], v84
	s_waitcnt vmcnt(0) lgkmcnt(0)
	v_mul_f64 v[81:82], v[81:82], v[90:91]
	s_cbranch_execz .LBB103_302
	s_branch .LBB103_303
.LBB103_301:
                                        ; implicit-def: $vgpr81_vgpr82
.LBB103_302:
	ds_load_b64 v[81:82], v84
.LBB103_303:
	s_and_saveexec_b32 s4, s1
	s_cbranch_execz .LBB103_307
; %bb.304:
	v_dual_mov_b32 v90, 0 :: v_dual_add_nc_u32 v91, -9, v0
	s_movk_i32 s5, 0x188
	s_mov_b32 s1, 0
	s_delay_alu instid0(VALU_DEP_1)
	v_add_nc_u32_e32 v90, 0x48, v90
.LBB103_305:                            ; =>This Inner Loop Header: Depth=1
	scratch_load_b64 v[92:93], v90, off
	v_dual_mov_b32 v94, s5 :: v_dual_add_nc_u32 v91, -1, v91
	v_add_nc_u32_e32 v90, 8, v90
	s_add_i32 s5, s5, 8
	ds_load_b64 v[94:95], v94
	v_cmp_eq_u32_e32 vcc_lo, 0, v91
	s_or_b32 s1, vcc_lo, s1
	s_waitcnt vmcnt(0) lgkmcnt(0)
	v_fma_f64 v[81:82], v[92:93], v[94:95], v[81:82]
	s_and_not1_b32 exec_lo, exec_lo, s1
	s_cbranch_execnz .LBB103_305
; %bb.306:
	s_or_b32 exec_lo, exec_lo, s1
.LBB103_307:
	s_delay_alu instid0(SALU_CYCLE_1)
	s_or_b32 exec_lo, exec_lo, s4
	v_mov_b32_e32 v90, 0
	ds_load_b64 v[90:91], v90 offset:64
	s_waitcnt lgkmcnt(0)
	v_mul_f64 v[81:82], v[81:82], v[90:91]
	scratch_store_b64 off, v[81:82], off offset:64
.LBB103_308:
	s_or_b32 exec_lo, exec_lo, s3
	scratch_load_b64 v[81:82], off, off offset:56
	v_cmp_lt_u32_e64 s1, 7, v0
	s_waitcnt vmcnt(0)
	ds_store_b64 v84, v[81:82]
	s_waitcnt lgkmcnt(0)
	s_waitcnt_vscnt null, 0x0
	s_barrier
	buffer_gl0_inv
	s_and_saveexec_b32 s3, s1
	s_cbranch_execz .LBB103_318
; %bb.309:
	s_and_not1_b32 vcc_lo, exec_lo, s2
	s_cbranch_vccnz .LBB103_311
; %bb.310:
	scratch_load_b64 v[81:82], v85, off
	ds_load_b64 v[90:91], v84
	s_waitcnt vmcnt(0) lgkmcnt(0)
	v_mul_f64 v[81:82], v[81:82], v[90:91]
	s_cbranch_execz .LBB103_312
	s_branch .LBB103_313
.LBB103_311:
                                        ; implicit-def: $vgpr81_vgpr82
.LBB103_312:
	ds_load_b64 v[81:82], v84
.LBB103_313:
	s_and_saveexec_b32 s4, s0
	s_cbranch_execz .LBB103_317
; %bb.314:
	v_add_nc_u32_e32 v90, -8, v0
	s_movk_i32 s5, 0x180
	s_mov_b32 s0, 0
.LBB103_315:                            ; =>This Inner Loop Header: Depth=1
	scratch_load_b64 v[91:92], v89, off
	v_dual_mov_b32 v93, s5 :: v_dual_add_nc_u32 v90, -1, v90
	v_add_nc_u32_e32 v89, 8, v89
	s_add_i32 s5, s5, 8
	ds_load_b64 v[93:94], v93
	v_cmp_eq_u32_e32 vcc_lo, 0, v90
	s_or_b32 s0, vcc_lo, s0
	s_waitcnt vmcnt(0) lgkmcnt(0)
	v_fma_f64 v[81:82], v[91:92], v[93:94], v[81:82]
	s_and_not1_b32 exec_lo, exec_lo, s0
	s_cbranch_execnz .LBB103_315
; %bb.316:
	s_or_b32 exec_lo, exec_lo, s0
.LBB103_317:
	s_delay_alu instid0(SALU_CYCLE_1)
	s_or_b32 exec_lo, exec_lo, s4
	v_mov_b32_e32 v89, 0
	ds_load_b64 v[89:90], v89 offset:56
	s_waitcnt lgkmcnt(0)
	v_mul_f64 v[81:82], v[81:82], v[89:90]
	scratch_store_b64 off, v[81:82], off offset:56
.LBB103_318:
	s_or_b32 exec_lo, exec_lo, s3
	scratch_load_b64 v[81:82], off, off offset:48
	v_cmp_lt_u32_e64 s0, 6, v0
	s_waitcnt vmcnt(0)
	ds_store_b64 v84, v[81:82]
	s_waitcnt lgkmcnt(0)
	s_waitcnt_vscnt null, 0x0
	s_barrier
	buffer_gl0_inv
	s_and_saveexec_b32 s3, s0
	s_cbranch_execz .LBB103_328
; %bb.319:
	s_and_not1_b32 vcc_lo, exec_lo, s2
	s_cbranch_vccnz .LBB103_321
; %bb.320:
	scratch_load_b64 v[81:82], v85, off
	ds_load_b64 v[89:90], v84
	s_waitcnt vmcnt(0) lgkmcnt(0)
	v_mul_f64 v[81:82], v[81:82], v[89:90]
	s_cbranch_execz .LBB103_322
	s_branch .LBB103_323
.LBB103_321:
                                        ; implicit-def: $vgpr81_vgpr82
.LBB103_322:
	ds_load_b64 v[81:82], v84
.LBB103_323:
	s_and_saveexec_b32 s4, s1
	s_cbranch_execz .LBB103_327
; %bb.324:
	v_add_nc_u32_e64 v89, 0, 56
	v_add_nc_u32_e32 v90, -7, v0
	s_movk_i32 s5, 0x178
	s_mov_b32 s1, 0
.LBB103_325:                            ; =>This Inner Loop Header: Depth=1
	scratch_load_b64 v[91:92], v89, off
	v_dual_mov_b32 v93, s5 :: v_dual_add_nc_u32 v90, -1, v90
	v_add_nc_u32_e32 v89, 8, v89
	s_add_i32 s5, s5, 8
	ds_load_b64 v[93:94], v93
	v_cmp_eq_u32_e32 vcc_lo, 0, v90
	s_or_b32 s1, vcc_lo, s1
	s_waitcnt vmcnt(0) lgkmcnt(0)
	v_fma_f64 v[81:82], v[91:92], v[93:94], v[81:82]
	s_and_not1_b32 exec_lo, exec_lo, s1
	s_cbranch_execnz .LBB103_325
; %bb.326:
	s_or_b32 exec_lo, exec_lo, s1
.LBB103_327:
	s_delay_alu instid0(SALU_CYCLE_1)
	s_or_b32 exec_lo, exec_lo, s4
	v_mov_b32_e32 v89, 0
	ds_load_b64 v[89:90], v89 offset:48
	s_waitcnt lgkmcnt(0)
	v_mul_f64 v[81:82], v[81:82], v[89:90]
	scratch_store_b64 off, v[81:82], off offset:48
.LBB103_328:
	s_or_b32 exec_lo, exec_lo, s3
	scratch_load_b64 v[81:82], off, off offset:40
	v_cmp_lt_u32_e64 s1, 5, v0
	s_waitcnt vmcnt(0)
	ds_store_b64 v84, v[81:82]
	s_waitcnt lgkmcnt(0)
	s_waitcnt_vscnt null, 0x0
	s_barrier
	buffer_gl0_inv
	s_and_saveexec_b32 s3, s1
	s_cbranch_execz .LBB103_338
; %bb.329:
	s_and_not1_b32 vcc_lo, exec_lo, s2
	s_cbranch_vccnz .LBB103_331
; %bb.330:
	scratch_load_b64 v[81:82], v85, off
	ds_load_b64 v[89:90], v84
	s_waitcnt vmcnt(0) lgkmcnt(0)
	v_mul_f64 v[81:82], v[81:82], v[89:90]
	s_cbranch_execz .LBB103_332
	s_branch .LBB103_333
.LBB103_331:
                                        ; implicit-def: $vgpr81_vgpr82
.LBB103_332:
	ds_load_b64 v[81:82], v84
.LBB103_333:
	s_and_saveexec_b32 s4, s0
	s_cbranch_execz .LBB103_337
; %bb.334:
	v_add_nc_u32_e32 v89, -6, v0
	s_movk_i32 s5, 0x170
	s_mov_b32 s0, 0
.LBB103_335:                            ; =>This Inner Loop Header: Depth=1
	scratch_load_b64 v[90:91], v88, off
	v_dual_mov_b32 v92, s5 :: v_dual_add_nc_u32 v89, -1, v89
	v_add_nc_u32_e32 v88, 8, v88
	s_add_i32 s5, s5, 8
	ds_load_b64 v[92:93], v92
	v_cmp_eq_u32_e32 vcc_lo, 0, v89
	s_or_b32 s0, vcc_lo, s0
	s_waitcnt vmcnt(0) lgkmcnt(0)
	v_fma_f64 v[81:82], v[90:91], v[92:93], v[81:82]
	s_and_not1_b32 exec_lo, exec_lo, s0
	s_cbranch_execnz .LBB103_335
; %bb.336:
	s_or_b32 exec_lo, exec_lo, s0
.LBB103_337:
	s_delay_alu instid0(SALU_CYCLE_1)
	s_or_b32 exec_lo, exec_lo, s4
	v_mov_b32_e32 v88, 0
	ds_load_b64 v[88:89], v88 offset:40
	s_waitcnt lgkmcnt(0)
	v_mul_f64 v[81:82], v[81:82], v[88:89]
	scratch_store_b64 off, v[81:82], off offset:40
.LBB103_338:
	s_or_b32 exec_lo, exec_lo, s3
	scratch_load_b64 v[81:82], off, off offset:32
	v_cmp_lt_u32_e64 s0, 4, v0
	s_waitcnt vmcnt(0)
	ds_store_b64 v84, v[81:82]
	s_waitcnt lgkmcnt(0)
	s_waitcnt_vscnt null, 0x0
	s_barrier
	buffer_gl0_inv
	s_and_saveexec_b32 s3, s0
	s_cbranch_execz .LBB103_348
; %bb.339:
	s_and_not1_b32 vcc_lo, exec_lo, s2
	s_cbranch_vccnz .LBB103_341
; %bb.340:
	scratch_load_b64 v[81:82], v85, off
	ds_load_b64 v[88:89], v84
	s_waitcnt vmcnt(0) lgkmcnt(0)
	v_mul_f64 v[81:82], v[81:82], v[88:89]
	s_cbranch_execz .LBB103_342
	s_branch .LBB103_343
.LBB103_341:
                                        ; implicit-def: $vgpr81_vgpr82
.LBB103_342:
	ds_load_b64 v[81:82], v84
.LBB103_343:
	s_and_saveexec_b32 s4, s1
	s_cbranch_execz .LBB103_347
; %bb.344:
	v_add_nc_u32_e64 v88, 0, 40
	v_add_nc_u32_e32 v89, -5, v0
	s_movk_i32 s5, 0x168
	s_mov_b32 s1, 0
.LBB103_345:                            ; =>This Inner Loop Header: Depth=1
	scratch_load_b64 v[90:91], v88, off
	v_dual_mov_b32 v92, s5 :: v_dual_add_nc_u32 v89, -1, v89
	v_add_nc_u32_e32 v88, 8, v88
	s_add_i32 s5, s5, 8
	ds_load_b64 v[92:93], v92
	v_cmp_eq_u32_e32 vcc_lo, 0, v89
	s_or_b32 s1, vcc_lo, s1
	s_waitcnt vmcnt(0) lgkmcnt(0)
	v_fma_f64 v[81:82], v[90:91], v[92:93], v[81:82]
	s_and_not1_b32 exec_lo, exec_lo, s1
	s_cbranch_execnz .LBB103_345
; %bb.346:
	s_or_b32 exec_lo, exec_lo, s1
.LBB103_347:
	s_delay_alu instid0(SALU_CYCLE_1)
	s_or_b32 exec_lo, exec_lo, s4
	v_mov_b32_e32 v88, 0
	ds_load_b64 v[88:89], v88 offset:32
	s_waitcnt lgkmcnt(0)
	v_mul_f64 v[81:82], v[81:82], v[88:89]
	scratch_store_b64 off, v[81:82], off offset:32
.LBB103_348:
	s_or_b32 exec_lo, exec_lo, s3
	scratch_load_b64 v[81:82], off, off offset:24
	v_cmp_lt_u32_e64 s1, 3, v0
	s_waitcnt vmcnt(0)
	ds_store_b64 v84, v[81:82]
	s_waitcnt lgkmcnt(0)
	s_waitcnt_vscnt null, 0x0
	s_barrier
	buffer_gl0_inv
	s_and_saveexec_b32 s3, s1
	s_cbranch_execz .LBB103_358
; %bb.349:
	s_and_not1_b32 vcc_lo, exec_lo, s2
	s_cbranch_vccnz .LBB103_351
; %bb.350:
	scratch_load_b64 v[81:82], v85, off
	ds_load_b64 v[88:89], v84
	s_waitcnt vmcnt(0) lgkmcnt(0)
	v_mul_f64 v[81:82], v[81:82], v[88:89]
	s_cbranch_execz .LBB103_352
	s_branch .LBB103_353
.LBB103_351:
                                        ; implicit-def: $vgpr81_vgpr82
.LBB103_352:
	ds_load_b64 v[81:82], v84
.LBB103_353:
	s_and_saveexec_b32 s4, s0
	s_cbranch_execz .LBB103_357
; %bb.354:
	v_add_nc_u32_e32 v88, -4, v0
	s_movk_i32 s5, 0x160
	s_mov_b32 s0, 0
.LBB103_355:                            ; =>This Inner Loop Header: Depth=1
	scratch_load_b64 v[89:90], v87, off
	v_dual_mov_b32 v91, s5 :: v_dual_add_nc_u32 v88, -1, v88
	v_add_nc_u32_e32 v87, 8, v87
	s_add_i32 s5, s5, 8
	ds_load_b64 v[91:92], v91
	v_cmp_eq_u32_e32 vcc_lo, 0, v88
	s_or_b32 s0, vcc_lo, s0
	s_waitcnt vmcnt(0) lgkmcnt(0)
	v_fma_f64 v[81:82], v[89:90], v[91:92], v[81:82]
	s_and_not1_b32 exec_lo, exec_lo, s0
	s_cbranch_execnz .LBB103_355
; %bb.356:
	s_or_b32 exec_lo, exec_lo, s0
.LBB103_357:
	s_delay_alu instid0(SALU_CYCLE_1)
	s_or_b32 exec_lo, exec_lo, s4
	v_mov_b32_e32 v87, 0
	ds_load_b64 v[87:88], v87 offset:24
	s_waitcnt lgkmcnt(0)
	v_mul_f64 v[81:82], v[81:82], v[87:88]
	scratch_store_b64 off, v[81:82], off offset:24
.LBB103_358:
	s_or_b32 exec_lo, exec_lo, s3
	scratch_load_b64 v[81:82], off, off offset:16
	v_cmp_lt_u32_e64 s0, 2, v0
	s_waitcnt vmcnt(0)
	ds_store_b64 v84, v[81:82]
	s_waitcnt lgkmcnt(0)
	s_waitcnt_vscnt null, 0x0
	s_barrier
	buffer_gl0_inv
	s_and_saveexec_b32 s3, s0
	s_cbranch_execz .LBB103_368
; %bb.359:
	s_and_not1_b32 vcc_lo, exec_lo, s2
	s_cbranch_vccnz .LBB103_361
; %bb.360:
	scratch_load_b64 v[81:82], v85, off
	ds_load_b64 v[87:88], v84
	s_waitcnt vmcnt(0) lgkmcnt(0)
	v_mul_f64 v[81:82], v[81:82], v[87:88]
	s_cbranch_execz .LBB103_362
	s_branch .LBB103_363
.LBB103_361:
                                        ; implicit-def: $vgpr81_vgpr82
.LBB103_362:
	ds_load_b64 v[81:82], v84
.LBB103_363:
	s_and_saveexec_b32 s4, s1
	s_cbranch_execz .LBB103_367
; %bb.364:
	v_add_nc_u32_e64 v87, 0, 24
	v_add_nc_u32_e32 v88, -3, v0
	s_movk_i32 s5, 0x158
	s_mov_b32 s1, 0
.LBB103_365:                            ; =>This Inner Loop Header: Depth=1
	scratch_load_b64 v[89:90], v87, off
	v_dual_mov_b32 v91, s5 :: v_dual_add_nc_u32 v88, -1, v88
	v_add_nc_u32_e32 v87, 8, v87
	s_add_i32 s5, s5, 8
	ds_load_b64 v[91:92], v91
	v_cmp_eq_u32_e32 vcc_lo, 0, v88
	s_or_b32 s1, vcc_lo, s1
	s_waitcnt vmcnt(0) lgkmcnt(0)
	v_fma_f64 v[81:82], v[89:90], v[91:92], v[81:82]
	s_and_not1_b32 exec_lo, exec_lo, s1
	s_cbranch_execnz .LBB103_365
; %bb.366:
	s_or_b32 exec_lo, exec_lo, s1
.LBB103_367:
	s_delay_alu instid0(SALU_CYCLE_1)
	s_or_b32 exec_lo, exec_lo, s4
	v_mov_b32_e32 v87, 0
	ds_load_b64 v[87:88], v87 offset:16
	s_waitcnt lgkmcnt(0)
	v_mul_f64 v[81:82], v[81:82], v[87:88]
	scratch_store_b64 off, v[81:82], off offset:16
.LBB103_368:
	s_or_b32 exec_lo, exec_lo, s3
	scratch_load_b64 v[81:82], off, off offset:8
	v_cmp_lt_u32_e64 s1, 1, v0
	s_waitcnt vmcnt(0)
	ds_store_b64 v84, v[81:82]
	s_waitcnt lgkmcnt(0)
	s_waitcnt_vscnt null, 0x0
	s_barrier
	buffer_gl0_inv
	s_and_saveexec_b32 s3, s1
	s_cbranch_execz .LBB103_378
; %bb.369:
	s_and_not1_b32 vcc_lo, exec_lo, s2
	s_cbranch_vccnz .LBB103_371
; %bb.370:
	scratch_load_b64 v[81:82], v85, off
	ds_load_b64 v[87:88], v84
	s_waitcnt vmcnt(0) lgkmcnt(0)
	v_mul_f64 v[81:82], v[81:82], v[87:88]
	s_cbranch_execz .LBB103_372
	s_branch .LBB103_373
.LBB103_371:
                                        ; implicit-def: $vgpr81_vgpr82
.LBB103_372:
	ds_load_b64 v[81:82], v84
.LBB103_373:
	s_and_saveexec_b32 s4, s0
	s_cbranch_execz .LBB103_377
; %bb.374:
	v_add_nc_u32_e32 v87, -2, v0
	s_movk_i32 s5, 0x150
	s_mov_b32 s0, 0
.LBB103_375:                            ; =>This Inner Loop Header: Depth=1
	scratch_load_b64 v[88:89], v86, off
	v_dual_mov_b32 v90, s5 :: v_dual_add_nc_u32 v87, -1, v87
	v_add_nc_u32_e32 v86, 8, v86
	s_add_i32 s5, s5, 8
	ds_load_b64 v[90:91], v90
	v_cmp_eq_u32_e32 vcc_lo, 0, v87
	s_or_b32 s0, vcc_lo, s0
	s_waitcnt vmcnt(0) lgkmcnt(0)
	v_fma_f64 v[81:82], v[88:89], v[90:91], v[81:82]
	s_and_not1_b32 exec_lo, exec_lo, s0
	s_cbranch_execnz .LBB103_375
; %bb.376:
	s_or_b32 exec_lo, exec_lo, s0
.LBB103_377:
	s_delay_alu instid0(SALU_CYCLE_1)
	s_or_b32 exec_lo, exec_lo, s4
	v_mov_b32_e32 v86, 0
	ds_load_b64 v[86:87], v86 offset:8
	s_waitcnt lgkmcnt(0)
	v_mul_f64 v[81:82], v[81:82], v[86:87]
	scratch_store_b64 off, v[81:82], off offset:8
.LBB103_378:
	s_or_b32 exec_lo, exec_lo, s3
	scratch_load_b64 v[81:82], off, off
	s_mov_b32 s0, 0
	s_mov_b32 s3, exec_lo
	s_waitcnt vmcnt(0)
	ds_store_b64 v84, v[81:82]
	s_waitcnt lgkmcnt(0)
	s_waitcnt_vscnt null, 0x0
	s_barrier
	buffer_gl0_inv
	v_cmpx_ne_u32_e32 0, v0
	s_cbranch_execz .LBB103_388
; %bb.379:
	s_and_not1_b32 vcc_lo, exec_lo, s2
	s_cbranch_vccnz .LBB103_381
; %bb.380:
	scratch_load_b64 v[81:82], v85, off
	ds_load_b64 v[86:87], v84
	s_waitcnt vmcnt(0) lgkmcnt(0)
	v_mul_f64 v[81:82], v[81:82], v[86:87]
	s_cbranch_execz .LBB103_382
	s_branch .LBB103_383
.LBB103_381:
                                        ; implicit-def: $vgpr81_vgpr82
.LBB103_382:
	ds_load_b64 v[81:82], v84
.LBB103_383:
	s_and_saveexec_b32 s4, s1
	s_cbranch_execz .LBB103_387
; %bb.384:
	v_or_b32_e64 v86, 0, 8
	v_add_nc_u32_e32 v87, -1, v0
	s_movk_i32 s5, 0x148
	s_mov_b32 s1, 0
.LBB103_385:                            ; =>This Inner Loop Header: Depth=1
	scratch_load_b64 v[88:89], v86, off
	v_dual_mov_b32 v90, s5 :: v_dual_add_nc_u32 v87, -1, v87
	v_add_nc_u32_e32 v86, 8, v86
	s_add_i32 s5, s5, 8
	ds_load_b64 v[90:91], v90
	v_cmp_eq_u32_e32 vcc_lo, 0, v87
	s_or_b32 s1, vcc_lo, s1
	s_waitcnt vmcnt(0) lgkmcnt(0)
	v_fma_f64 v[81:82], v[88:89], v[90:91], v[81:82]
	s_and_not1_b32 exec_lo, exec_lo, s1
	s_cbranch_execnz .LBB103_385
; %bb.386:
	s_or_b32 exec_lo, exec_lo, s1
.LBB103_387:
	s_delay_alu instid0(SALU_CYCLE_1)
	s_or_b32 exec_lo, exec_lo, s4
	v_mov_b32_e32 v86, 0
	ds_load_b64 v[86:87], v86
	s_waitcnt lgkmcnt(0)
	v_mul_f64 v[81:82], v[81:82], v[86:87]
	scratch_store_b64 off, v[81:82], off
.LBB103_388:
	s_or_b32 exec_lo, exec_lo, s3
.LBB103_389:
	s_delay_alu instid0(SALU_CYCLE_1)
	s_and_b32 vcc_lo, exec_lo, s0
	s_cbranch_vccz .LBB103_775
; %bb.390:
	scratch_load_b64 v[81:82], off, off offset:8
	v_cmp_eq_u32_e64 s0, 0, v0
	s_waitcnt vmcnt(0)
	ds_store_b64 v84, v[81:82]
	s_waitcnt lgkmcnt(0)
	s_waitcnt_vscnt null, 0x0
	s_barrier
	buffer_gl0_inv
	s_and_saveexec_b32 s1, s0
	s_cbranch_execz .LBB103_396
; %bb.391:
	s_and_b32 vcc_lo, exec_lo, s2
	s_cbranch_vccz .LBB103_393
; %bb.392:
	scratch_load_b64 v[81:82], v85, off
	ds_load_b64 v[86:87], v84
	s_waitcnt vmcnt(0) lgkmcnt(0)
	v_mul_f64 v[81:82], v[81:82], v[86:87]
	s_cbranch_execz .LBB103_394
	s_branch .LBB103_395
.LBB103_393:
                                        ; implicit-def: $vgpr81_vgpr82
.LBB103_394:
	ds_load_b64 v[81:82], v84
.LBB103_395:
	v_mov_b32_e32 v86, 0
	ds_load_b64 v[86:87], v86 offset:8
	s_waitcnt lgkmcnt(0)
	v_mul_f64 v[81:82], v[81:82], v[86:87]
	scratch_store_b64 off, v[81:82], off offset:8
.LBB103_396:
	s_or_b32 exec_lo, exec_lo, s1
	scratch_load_b64 v[81:82], off, off offset:16
	v_cndmask_b32_e64 v86, 0, 1, s2
	s_mov_b32 s1, exec_lo
	s_waitcnt vmcnt(0)
	ds_store_b64 v84, v[81:82]
	s_waitcnt lgkmcnt(0)
	s_waitcnt_vscnt null, 0x0
	s_barrier
	buffer_gl0_inv
	v_cmpx_gt_u32_e32 2, v0
	s_cbranch_execz .LBB103_404
; %bb.397:
	s_and_not1_b32 vcc_lo, exec_lo, s2
	s_cbranch_vccnz .LBB103_399
; %bb.398:
	scratch_load_b64 v[81:82], v85, off
	ds_load_b64 v[87:88], v84
	s_waitcnt vmcnt(0) lgkmcnt(0)
	v_mul_f64 v[81:82], v[81:82], v[87:88]
	s_cbranch_execz .LBB103_400
	s_branch .LBB103_401
.LBB103_399:
                                        ; implicit-def: $vgpr81_vgpr82
.LBB103_400:
	ds_load_b64 v[81:82], v84
.LBB103_401:
	s_and_saveexec_b32 s2, s0
	s_cbranch_execz .LBB103_403
; %bb.402:
	scratch_load_b64 v[87:88], v85, off offset:8
	ds_load_b64 v[89:90], v84 offset:8
	s_waitcnt vmcnt(0) lgkmcnt(0)
	v_fma_f64 v[81:82], v[87:88], v[89:90], v[81:82]
.LBB103_403:
	s_or_b32 exec_lo, exec_lo, s2
	v_mov_b32_e32 v87, 0
	ds_load_b64 v[87:88], v87 offset:16
	s_waitcnt lgkmcnt(0)
	v_mul_f64 v[81:82], v[81:82], v[87:88]
	scratch_store_b64 off, v[81:82], off offset:16
.LBB103_404:
	s_or_b32 exec_lo, exec_lo, s1
	scratch_load_b64 v[81:82], off, off offset:24
	s_mov_b32 s1, exec_lo
	s_waitcnt vmcnt(0)
	ds_store_b64 v84, v[81:82]
	s_waitcnt lgkmcnt(0)
	s_waitcnt_vscnt null, 0x0
	s_barrier
	buffer_gl0_inv
	v_cmpx_gt_u32_e32 3, v0
	s_cbranch_execz .LBB103_414
; %bb.405:
	v_cmp_ne_u32_e32 vcc_lo, 1, v86
	s_cbranch_vccnz .LBB103_407
; %bb.406:
	scratch_load_b64 v[81:82], v85, off
	ds_load_b64 v[87:88], v84
	s_waitcnt vmcnt(0) lgkmcnt(0)
	v_mul_f64 v[81:82], v[81:82], v[87:88]
	s_cbranch_execz .LBB103_408
	s_branch .LBB103_409
.LBB103_407:
                                        ; implicit-def: $vgpr81_vgpr82
.LBB103_408:
	ds_load_b64 v[81:82], v84
.LBB103_409:
	s_mov_b32 s2, exec_lo
	v_cmpx_ne_u32_e32 2, v0
	s_cbranch_execz .LBB103_413
; %bb.410:
	scratch_load_b64 v[87:88], v85, off offset:8
	ds_load_b64 v[89:90], v84 offset:8
	s_waitcnt vmcnt(0) lgkmcnt(0)
	v_fma_f64 v[81:82], v[87:88], v[89:90], v[81:82]
	s_and_saveexec_b32 s3, s0
	s_cbranch_execz .LBB103_412
; %bb.411:
	scratch_load_b64 v[87:88], off, off offset:16
	v_mov_b32_e32 v89, 0
	ds_load_b64 v[89:90], v89 offset:336
	s_waitcnt vmcnt(0) lgkmcnt(0)
	v_fma_f64 v[81:82], v[87:88], v[89:90], v[81:82]
.LBB103_412:
	s_or_b32 exec_lo, exec_lo, s3
.LBB103_413:
	s_delay_alu instid0(SALU_CYCLE_1)
	s_or_b32 exec_lo, exec_lo, s2
	v_mov_b32_e32 v87, 0
	ds_load_b64 v[87:88], v87 offset:24
	s_waitcnt lgkmcnt(0)
	v_mul_f64 v[81:82], v[81:82], v[87:88]
	scratch_store_b64 off, v[81:82], off offset:24
.LBB103_414:
	s_or_b32 exec_lo, exec_lo, s1
	scratch_load_b64 v[81:82], off, off offset:32
	s_mov_b32 s0, exec_lo
	s_waitcnt vmcnt(0)
	ds_store_b64 v84, v[81:82]
	s_waitcnt lgkmcnt(0)
	s_waitcnt_vscnt null, 0x0
	s_barrier
	buffer_gl0_inv
	v_cmpx_gt_u32_e32 4, v0
	s_cbranch_execz .LBB103_424
; %bb.415:
	v_cmp_ne_u32_e32 vcc_lo, 1, v86
	s_cbranch_vccnz .LBB103_417
; %bb.416:
	scratch_load_b64 v[81:82], v85, off
	ds_load_b64 v[87:88], v84
	s_waitcnt vmcnt(0) lgkmcnt(0)
	v_mul_f64 v[81:82], v[81:82], v[87:88]
	s_cbranch_execz .LBB103_418
	s_branch .LBB103_419
.LBB103_417:
                                        ; implicit-def: $vgpr81_vgpr82
.LBB103_418:
	ds_load_b64 v[81:82], v84
.LBB103_419:
	s_mov_b32 s1, exec_lo
	v_cmpx_ne_u32_e32 3, v0
	s_cbranch_execz .LBB103_423
; %bb.420:
	v_add_nc_u32_e32 v87, 0x148, v83
	v_add3_u32 v88, 0, v83, 8
	v_mov_b32_e32 v89, v0
	s_mov_b32 s2, 0
.LBB103_421:                            ; =>This Inner Loop Header: Depth=1
	scratch_load_b64 v[90:91], v88, off
	ds_load_b64 v[92:93], v87
	v_add_nc_u32_e32 v89, 1, v89
	v_add_nc_u32_e32 v87, 8, v87
	v_add_nc_u32_e32 v88, 8, v88
	s_delay_alu instid0(VALU_DEP_3)
	v_cmp_lt_u32_e32 vcc_lo, 2, v89
	s_or_b32 s2, vcc_lo, s2
	s_waitcnt vmcnt(0) lgkmcnt(0)
	v_fma_f64 v[81:82], v[90:91], v[92:93], v[81:82]
	s_and_not1_b32 exec_lo, exec_lo, s2
	s_cbranch_execnz .LBB103_421
; %bb.422:
	s_or_b32 exec_lo, exec_lo, s2
.LBB103_423:
	s_delay_alu instid0(SALU_CYCLE_1)
	s_or_b32 exec_lo, exec_lo, s1
	v_mov_b32_e32 v87, 0
	ds_load_b64 v[87:88], v87 offset:32
	s_waitcnt lgkmcnt(0)
	v_mul_f64 v[81:82], v[81:82], v[87:88]
	scratch_store_b64 off, v[81:82], off offset:32
.LBB103_424:
	s_or_b32 exec_lo, exec_lo, s0
	scratch_load_b64 v[81:82], off, off offset:40
	s_mov_b32 s0, exec_lo
	s_waitcnt vmcnt(0)
	ds_store_b64 v84, v[81:82]
	s_waitcnt lgkmcnt(0)
	s_waitcnt_vscnt null, 0x0
	s_barrier
	buffer_gl0_inv
	v_cmpx_gt_u32_e32 5, v0
	s_cbranch_execz .LBB103_434
; %bb.425:
	v_cmp_ne_u32_e32 vcc_lo, 1, v86
	s_cbranch_vccnz .LBB103_427
; %bb.426:
	scratch_load_b64 v[81:82], v85, off
	ds_load_b64 v[87:88], v84
	s_waitcnt vmcnt(0) lgkmcnt(0)
	v_mul_f64 v[81:82], v[81:82], v[87:88]
	s_cbranch_execz .LBB103_428
	s_branch .LBB103_429
.LBB103_427:
                                        ; implicit-def: $vgpr81_vgpr82
.LBB103_428:
	ds_load_b64 v[81:82], v84
.LBB103_429:
	s_mov_b32 s1, exec_lo
	v_cmpx_ne_u32_e32 4, v0
	s_cbranch_execz .LBB103_433
; %bb.430:
	v_add_nc_u32_e32 v87, 0x148, v83
	v_add3_u32 v88, 0, v83, 8
	v_mov_b32_e32 v89, v0
	s_mov_b32 s2, 0
.LBB103_431:                            ; =>This Inner Loop Header: Depth=1
	scratch_load_b64 v[90:91], v88, off
	ds_load_b64 v[92:93], v87
	v_add_nc_u32_e32 v89, 1, v89
	v_add_nc_u32_e32 v87, 8, v87
	v_add_nc_u32_e32 v88, 8, v88
	s_delay_alu instid0(VALU_DEP_3)
	v_cmp_lt_u32_e32 vcc_lo, 3, v89
	s_or_b32 s2, vcc_lo, s2
	s_waitcnt vmcnt(0) lgkmcnt(0)
	v_fma_f64 v[81:82], v[90:91], v[92:93], v[81:82]
	s_and_not1_b32 exec_lo, exec_lo, s2
	s_cbranch_execnz .LBB103_431
; %bb.432:
	s_or_b32 exec_lo, exec_lo, s2
.LBB103_433:
	s_delay_alu instid0(SALU_CYCLE_1)
	s_or_b32 exec_lo, exec_lo, s1
	v_mov_b32_e32 v87, 0
	ds_load_b64 v[87:88], v87 offset:40
	s_waitcnt lgkmcnt(0)
	v_mul_f64 v[81:82], v[81:82], v[87:88]
	scratch_store_b64 off, v[81:82], off offset:40
.LBB103_434:
	;; [unrolled: 58-line block ×34, first 2 shown]
	s_or_b32 exec_lo, exec_lo, s0
	scratch_load_b64 v[81:82], off, off offset:304
	v_cmp_gt_u32_e64 s0, 38, v0
	s_waitcnt vmcnt(0)
	ds_store_b64 v84, v[81:82]
	s_waitcnt lgkmcnt(0)
	s_waitcnt_vscnt null, 0x0
	s_barrier
	buffer_gl0_inv
	s_and_saveexec_b32 s1, s0
	s_cbranch_execz .LBB103_764
; %bb.755:
	v_cmp_ne_u32_e32 vcc_lo, 1, v86
	s_cbranch_vccnz .LBB103_757
; %bb.756:
	scratch_load_b64 v[81:82], v85, off
	ds_load_b64 v[87:88], v84
	s_waitcnt vmcnt(0) lgkmcnt(0)
	v_mul_f64 v[81:82], v[81:82], v[87:88]
	s_cbranch_execz .LBB103_758
	s_branch .LBB103_759
.LBB103_757:
                                        ; implicit-def: $vgpr81_vgpr82
.LBB103_758:
	ds_load_b64 v[81:82], v84
.LBB103_759:
	s_mov_b32 s2, exec_lo
	v_cmpx_ne_u32_e32 37, v0
	s_cbranch_execz .LBB103_763
; %bb.760:
	v_add_nc_u32_e32 v87, 0x148, v83
	v_add3_u32 v88, 0, v83, 8
	v_mov_b32_e32 v89, v0
	s_mov_b32 s3, 0
.LBB103_761:                            ; =>This Inner Loop Header: Depth=1
	scratch_load_b64 v[90:91], v88, off
	ds_load_b64 v[92:93], v87
	v_add_nc_u32_e32 v89, 1, v89
	v_add_nc_u32_e32 v87, 8, v87
	;; [unrolled: 1-line block ×3, first 2 shown]
	s_delay_alu instid0(VALU_DEP_3)
	v_cmp_lt_u32_e32 vcc_lo, 36, v89
	s_or_b32 s3, vcc_lo, s3
	s_waitcnt vmcnt(0) lgkmcnt(0)
	v_fma_f64 v[81:82], v[90:91], v[92:93], v[81:82]
	s_and_not1_b32 exec_lo, exec_lo, s3
	s_cbranch_execnz .LBB103_761
; %bb.762:
	s_or_b32 exec_lo, exec_lo, s3
.LBB103_763:
	s_delay_alu instid0(SALU_CYCLE_1)
	s_or_b32 exec_lo, exec_lo, s2
	v_mov_b32_e32 v87, 0
	ds_load_b64 v[87:88], v87 offset:304
	s_waitcnt lgkmcnt(0)
	v_mul_f64 v[81:82], v[81:82], v[87:88]
	scratch_store_b64 off, v[81:82], off offset:304
.LBB103_764:
	s_or_b32 exec_lo, exec_lo, s1
	scratch_load_b64 v[81:82], off, off offset:312
	s_mov_b32 s1, exec_lo
	s_waitcnt vmcnt(0)
	ds_store_b64 v84, v[81:82]
	s_waitcnt lgkmcnt(0)
	s_waitcnt_vscnt null, 0x0
	s_barrier
	buffer_gl0_inv
	v_cmpx_ne_u32_e32 39, v0
	s_cbranch_execz .LBB103_774
; %bb.765:
	v_cmp_ne_u32_e32 vcc_lo, 1, v86
	s_cbranch_vccnz .LBB103_767
; %bb.766:
	scratch_load_b64 v[81:82], v85, off
	ds_load_b64 v[85:86], v84
	s_waitcnt vmcnt(0) lgkmcnt(0)
	v_mul_f64 v[81:82], v[81:82], v[85:86]
	s_cbranch_execz .LBB103_768
	s_branch .LBB103_769
.LBB103_767:
                                        ; implicit-def: $vgpr81_vgpr82
.LBB103_768:
	ds_load_b64 v[81:82], v84
.LBB103_769:
	s_and_saveexec_b32 s2, s0
	s_cbranch_execz .LBB103_773
; %bb.770:
	v_add_nc_u32_e32 v84, 0x148, v83
	v_add3_u32 v83, 0, v83, 8
	s_mov_b32 s0, 0
.LBB103_771:                            ; =>This Inner Loop Header: Depth=1
	scratch_load_b64 v[85:86], v83, off
	ds_load_b64 v[87:88], v84
	v_add_nc_u32_e32 v0, 1, v0
	v_add_nc_u32_e32 v84, 8, v84
	;; [unrolled: 1-line block ×3, first 2 shown]
	s_delay_alu instid0(VALU_DEP_3)
	v_cmp_lt_u32_e32 vcc_lo, 37, v0
	s_or_b32 s0, vcc_lo, s0
	s_waitcnt vmcnt(0) lgkmcnt(0)
	v_fma_f64 v[81:82], v[85:86], v[87:88], v[81:82]
	s_and_not1_b32 exec_lo, exec_lo, s0
	s_cbranch_execnz .LBB103_771
; %bb.772:
	s_or_b32 exec_lo, exec_lo, s0
.LBB103_773:
	s_delay_alu instid0(SALU_CYCLE_1)
	s_or_b32 exec_lo, exec_lo, s2
	v_mov_b32_e32 v0, 0
	ds_load_b64 v[83:84], v0 offset:312
	s_waitcnt lgkmcnt(0)
	v_mul_f64 v[81:82], v[81:82], v[83:84]
	scratch_store_b64 off, v[81:82], off offset:312
.LBB103_774:
	s_or_b32 exec_lo, exec_lo, s1
.LBB103_775:
	s_clause 0x9
	scratch_load_b128 v[81:84], off, off
	scratch_load_b128 v[85:88], off, off offset:16
	scratch_load_b128 v[89:92], off, off offset:32
	;; [unrolled: 1-line block ×9, first 2 shown]
	s_waitcnt vmcnt(9)
	s_clause 0x1
	global_store_b64 v[7:8], v[81:82], off
	global_store_b64 v[5:6], v[83:84], off
	s_clause 0x1
	scratch_load_b128 v[5:8], off, off offset:144
	scratch_load_b128 v[81:84], off, off offset:160
	s_waitcnt vmcnt(10)
	s_clause 0x1
	global_store_b64 v[33:34], v[85:86], off
	global_store_b64 v[23:24], v[87:88], off
	scratch_load_b128 v[85:88], off, off offset:176
	s_waitcnt vmcnt(10)
	global_store_b64 v[21:22], v[89:90], off
	scratch_load_b128 v[21:24], off, off offset:192
	global_store_b64 v[11:12], v[91:92], off
	scratch_load_b128 v[89:92], off, off offset:208
	s_waitcnt vmcnt(11)
	s_clause 0x1
	global_store_b64 v[17:18], v[93:94], off
	global_store_b64 v[13:14], v[95:96], off
	scratch_load_b128 v[11:14], off, off offset:240
	s_waitcnt vmcnt(11)
	global_store_b64 v[15:16], v[97:98], off
	s_clause 0x1
	scratch_load_b128 v[15:18], off, off offset:256
	scratch_load_b128 v[93:96], off, off offset:272
	global_store_b64 v[9:10], v[99:100], off
	s_waitcnt vmcnt(12)
	global_store_b64 v[31:32], v[101:102], off
	s_clause 0x1
	scratch_load_b128 v[31:34], off, off offset:288
	scratch_load_b128 v[97:100], off, off offset:304
	global_store_b64 v[27:28], v[103:104], off
	s_waitcnt vmcnt(13)
	s_clause 0x1
	global_store_b64 v[25:26], v[105:106], off
	global_store_b64 v[29:30], v[107:108], off
	s_waitcnt vmcnt(12)
	s_clause 0x1
	global_store_b64 v[35:36], v[109:110], off
	;; [unrolled: 4-line block ×8, first 2 shown]
	global_store_b64 v[57:58], v[91:92], off
	global_store_b64 v[59:60], v[117:118], off
	;; [unrolled: 1-line block ×3, first 2 shown]
	s_waitcnt vmcnt(4)
	s_clause 0x1
	global_store_b64 v[63:64], v[11:12], off
	global_store_b64 v[65:66], v[13:14], off
	s_waitcnt vmcnt(3)
	s_clause 0x1
	global_store_b64 v[67:68], v[15:16], off
	global_store_b64 v[69:70], v[17:18], off
	s_waitcnt vmcnt(2)
	s_clause 0x1
	global_store_b64 v[71:72], v[93:94], off
	global_store_b64 v[75:76], v[95:96], off
	s_waitcnt vmcnt(1)
	s_clause 0x1
	global_store_b64 v[77:78], v[31:32], off
	global_store_b64 v[79:80], v[33:34], off
	s_waitcnt vmcnt(0)
	s_clause 0x1
	global_store_b64 v[73:74], v[97:98], off
	global_store_b64 v[19:20], v[99:100], off
.LBB103_776:
	s_endpgm
	.section	.rodata,"a",@progbits
	.p2align	6, 0x0
	.amdhsa_kernel _ZN9rocsolver6v33100L18trti2_kernel_smallILi40EdPKPdEEv13rocblas_fill_17rocblas_diagonal_T1_iil
		.amdhsa_group_segment_fixed_size 640
		.amdhsa_private_segment_fixed_size 336
		.amdhsa_kernarg_size 32
		.amdhsa_user_sgpr_count 15
		.amdhsa_user_sgpr_dispatch_ptr 0
		.amdhsa_user_sgpr_queue_ptr 0
		.amdhsa_user_sgpr_kernarg_segment_ptr 1
		.amdhsa_user_sgpr_dispatch_id 0
		.amdhsa_user_sgpr_private_segment_size 0
		.amdhsa_wavefront_size32 1
		.amdhsa_uses_dynamic_stack 0
		.amdhsa_enable_private_segment 1
		.amdhsa_system_sgpr_workgroup_id_x 1
		.amdhsa_system_sgpr_workgroup_id_y 0
		.amdhsa_system_sgpr_workgroup_id_z 0
		.amdhsa_system_sgpr_workgroup_info 0
		.amdhsa_system_vgpr_workitem_id 0
		.amdhsa_next_free_vgpr 126
		.amdhsa_next_free_sgpr 17
		.amdhsa_reserve_vcc 1
		.amdhsa_float_round_mode_32 0
		.amdhsa_float_round_mode_16_64 0
		.amdhsa_float_denorm_mode_32 3
		.amdhsa_float_denorm_mode_16_64 3
		.amdhsa_dx10_clamp 1
		.amdhsa_ieee_mode 1
		.amdhsa_fp16_overflow 0
		.amdhsa_workgroup_processor_mode 1
		.amdhsa_memory_ordered 1
		.amdhsa_forward_progress 0
		.amdhsa_shared_vgpr_count 0
		.amdhsa_exception_fp_ieee_invalid_op 0
		.amdhsa_exception_fp_denorm_src 0
		.amdhsa_exception_fp_ieee_div_zero 0
		.amdhsa_exception_fp_ieee_overflow 0
		.amdhsa_exception_fp_ieee_underflow 0
		.amdhsa_exception_fp_ieee_inexact 0
		.amdhsa_exception_int_div_zero 0
	.end_amdhsa_kernel
	.section	.text._ZN9rocsolver6v33100L18trti2_kernel_smallILi40EdPKPdEEv13rocblas_fill_17rocblas_diagonal_T1_iil,"axG",@progbits,_ZN9rocsolver6v33100L18trti2_kernel_smallILi40EdPKPdEEv13rocblas_fill_17rocblas_diagonal_T1_iil,comdat
.Lfunc_end103:
	.size	_ZN9rocsolver6v33100L18trti2_kernel_smallILi40EdPKPdEEv13rocblas_fill_17rocblas_diagonal_T1_iil, .Lfunc_end103-_ZN9rocsolver6v33100L18trti2_kernel_smallILi40EdPKPdEEv13rocblas_fill_17rocblas_diagonal_T1_iil
                                        ; -- End function
	.section	.AMDGPU.csdata,"",@progbits
; Kernel info:
; codeLenInByte = 21784
; NumSgprs: 19
; NumVgprs: 126
; ScratchSize: 336
; MemoryBound: 0
; FloatMode: 240
; IeeeMode: 1
; LDSByteSize: 640 bytes/workgroup (compile time only)
; SGPRBlocks: 2
; VGPRBlocks: 15
; NumSGPRsForWavesPerEU: 19
; NumVGPRsForWavesPerEU: 126
; Occupancy: 10
; WaveLimiterHint : 1
; COMPUTE_PGM_RSRC2:SCRATCH_EN: 1
; COMPUTE_PGM_RSRC2:USER_SGPR: 15
; COMPUTE_PGM_RSRC2:TRAP_HANDLER: 0
; COMPUTE_PGM_RSRC2:TGID_X_EN: 1
; COMPUTE_PGM_RSRC2:TGID_Y_EN: 0
; COMPUTE_PGM_RSRC2:TGID_Z_EN: 0
; COMPUTE_PGM_RSRC2:TIDIG_COMP_CNT: 0
	.section	.text._ZN9rocsolver6v33100L18trti2_kernel_smallILi41EdPKPdEEv13rocblas_fill_17rocblas_diagonal_T1_iil,"axG",@progbits,_ZN9rocsolver6v33100L18trti2_kernel_smallILi41EdPKPdEEv13rocblas_fill_17rocblas_diagonal_T1_iil,comdat
	.globl	_ZN9rocsolver6v33100L18trti2_kernel_smallILi41EdPKPdEEv13rocblas_fill_17rocblas_diagonal_T1_iil ; -- Begin function _ZN9rocsolver6v33100L18trti2_kernel_smallILi41EdPKPdEEv13rocblas_fill_17rocblas_diagonal_T1_iil
	.p2align	8
	.type	_ZN9rocsolver6v33100L18trti2_kernel_smallILi41EdPKPdEEv13rocblas_fill_17rocblas_diagonal_T1_iil,@function
_ZN9rocsolver6v33100L18trti2_kernel_smallILi41EdPKPdEEv13rocblas_fill_17rocblas_diagonal_T1_iil: ; @_ZN9rocsolver6v33100L18trti2_kernel_smallILi41EdPKPdEEv13rocblas_fill_17rocblas_diagonal_T1_iil
; %bb.0:
	s_mov_b32 s2, exec_lo
	v_cmpx_gt_u32_e32 41, v0
	s_cbranch_execz .LBB104_796
; %bb.1:
	s_clause 0x1
	s_load_b64 s[4:5], s[0:1], 0x10
	s_load_b128 s[0:3], s[0:1], 0x0
	s_mov_b32 s6, s15
	s_ashr_i32 s7, s15, 31
	v_lshlrev_b32_e32 v95, 3, v0
	s_lshl_b64 s[6:7], s[6:7], 3
	s_waitcnt lgkmcnt(0)
	v_add3_u32 v1, s5, s5, v0
	s_ashr_i32 s9, s4, 31
	s_add_u32 s2, s2, s6
	s_addc_u32 s3, s3, s7
	s_mov_b32 s8, s4
	s_load_b64 s[2:3], s[2:3], 0x0
	v_add_nc_u32_e32 v3, s5, v1
	v_ashrrev_i32_e32 v2, 31, v1
	s_lshl_b64 s[8:9], s[8:9], 3
	s_mov_b32 s6, s5
	s_delay_alu instid0(VALU_DEP_2) | instskip(SKIP_2) | instid1(VALU_DEP_3)
	v_add_nc_u32_e32 v5, s5, v3
	v_ashrrev_i32_e32 v4, 31, v3
	v_lshlrev_b64 v[9:10], 3, v[1:2]
	v_add_nc_u32_e32 v7, s5, v5
	v_ashrrev_i32_e32 v6, 31, v5
	s_delay_alu instid0(VALU_DEP_4) | instskip(NEXT) | instid1(VALU_DEP_3)
	v_lshlrev_b64 v[3:4], 3, v[3:4]
	v_add_nc_u32_e32 v11, s5, v7
	s_delay_alu instid0(VALU_DEP_3)
	v_lshlrev_b64 v[5:6], 3, v[5:6]
	v_ashrrev_i32_e32 v8, 31, v7
	s_waitcnt lgkmcnt(0)
	s_add_u32 s2, s2, s8
	v_add_nc_u32_e32 v19, s5, v11
	s_addc_u32 s3, s3, s9
	v_add_co_u32 v21, vcc_lo, s2, v9
	v_add_co_ci_u32_e32 v22, vcc_lo, s3, v10, vcc_lo
	v_add_co_u32 v17, vcc_lo, s2, v3
	v_add_nc_u32_e32 v23, s5, v19
	v_ashrrev_i32_e32 v12, 31, v11
	v_add_co_u32 v31, s4, s2, v95
	s_ashr_i32 s7, s5, 31
	v_add_co_ci_u32_e32 v18, vcc_lo, s3, v4, vcc_lo
	v_lshlrev_b64 v[7:8], 3, v[7:8]
	v_add_co_ci_u32_e64 v32, null, s3, 0, s4
	v_add_co_u32 v13, vcc_lo, s2, v5
	s_lshl_b64 s[6:7], s[6:7], 3
	v_ashrrev_i32_e32 v20, 31, v19
	v_add_co_ci_u32_e32 v14, vcc_lo, s3, v6, vcc_lo
	v_add_nc_u32_e32 v33, s5, v23
	v_add_co_u32 v29, vcc_lo, v31, s6
	v_lshlrev_b64 v[3:4], 3, v[11:12]
	v_ashrrev_i32_e32 v24, 31, v23
	v_add_co_ci_u32_e32 v30, vcc_lo, s7, v32, vcc_lo
	v_add_co_u32 v15, vcc_lo, s2, v7
	v_lshlrev_b64 v[25:26], 3, v[19:20]
	v_ashrrev_i32_e32 v34, 31, v33
	v_add_co_ci_u32_e32 v16, vcc_lo, s3, v8, vcc_lo
	v_add_co_u32 v19, vcc_lo, s2, v3
	v_lshlrev_b64 v[27:28], 3, v[23:24]
	v_add_co_ci_u32_e32 v20, vcc_lo, s3, v4, vcc_lo
	v_add_co_u32 v23, vcc_lo, s2, v25
	v_lshlrev_b64 v[34:35], 3, v[33:34]
	v_add_co_ci_u32_e32 v24, vcc_lo, s3, v26, vcc_lo
	v_add_co_u32 v25, vcc_lo, s2, v27
	s_clause 0x5
	global_load_b64 v[1:2], v95, s[2:3]
	global_load_b64 v[7:8], v[15:16], off
	global_load_b64 v[3:4], v[29:30], off
	;; [unrolled: 1-line block ×5, first 2 shown]
	v_add_co_ci_u32_e32 v26, vcc_lo, s3, v28, vcc_lo
	v_add_co_u32 v27, vcc_lo, s2, v34
	v_add_co_ci_u32_e32 v28, vcc_lo, s3, v35, vcc_lo
	s_clause 0x3
	global_load_b64 v[96:97], v[19:20], off
	global_load_b64 v[98:99], v[23:24], off
	;; [unrolled: 1-line block ×4, first 2 shown]
	v_add_nc_u32_e32 v33, s5, v33
	s_cmpk_lg_i32 s1, 0x84
	s_delay_alu instid0(VALU_DEP_1) | instskip(SKIP_1) | instid1(VALU_DEP_2)
	v_add_nc_u32_e32 v35, s5, v33
	v_ashrrev_i32_e32 v34, 31, v33
	v_add_nc_u32_e32 v37, s5, v35
	v_ashrrev_i32_e32 v36, 31, v35
	s_delay_alu instid0(VALU_DEP_3) | instskip(NEXT) | instid1(VALU_DEP_3)
	v_lshlrev_b64 v[33:34], 3, v[33:34]
	v_ashrrev_i32_e32 v38, 31, v37
	v_add_nc_u32_e32 v39, s5, v37
	s_delay_alu instid0(VALU_DEP_4) | instskip(NEXT) | instid1(VALU_DEP_4)
	v_lshlrev_b64 v[35:36], 3, v[35:36]
	v_add_co_u32 v45, vcc_lo, s2, v33
	v_add_co_ci_u32_e32 v46, vcc_lo, s3, v34, vcc_lo
	v_lshlrev_b64 v[33:34], 3, v[37:38]
	v_ashrrev_i32_e32 v40, 31, v39
	v_add_nc_u32_e32 v37, s5, v39
	v_add_co_u32 v41, vcc_lo, s2, v35
	v_add_co_ci_u32_e32 v42, vcc_lo, s3, v36, vcc_lo
	s_delay_alu instid0(VALU_DEP_4) | instskip(NEXT) | instid1(VALU_DEP_4)
	v_lshlrev_b64 v[35:36], 3, v[39:40]
	v_add_nc_u32_e32 v39, s5, v37
	v_ashrrev_i32_e32 v38, 31, v37
	v_add_co_u32 v33, vcc_lo, s2, v33
	v_add_co_ci_u32_e32 v34, vcc_lo, s3, v34, vcc_lo
	s_delay_alu instid0(VALU_DEP_4) | instskip(SKIP_3) | instid1(VALU_DEP_4)
	v_add_nc_u32_e32 v43, s5, v39
	v_ashrrev_i32_e32 v40, 31, v39
	v_lshlrev_b64 v[37:38], 3, v[37:38]
	v_add_co_u32 v35, vcc_lo, s2, v35
	v_add_nc_u32_e32 v47, s5, v43
	v_ashrrev_i32_e32 v44, 31, v43
	v_lshlrev_b64 v[39:40], 3, v[39:40]
	v_add_co_ci_u32_e32 v36, vcc_lo, s3, v36, vcc_lo
	s_delay_alu instid0(VALU_DEP_4) | instskip(SKIP_3) | instid1(VALU_DEP_4)
	v_add_nc_u32_e32 v49, s5, v47
	v_ashrrev_i32_e32 v48, 31, v47
	v_add_co_u32 v37, vcc_lo, s2, v37
	v_lshlrev_b64 v[43:44], 3, v[43:44]
	v_add_nc_u32_e32 v51, s5, v49
	v_ashrrev_i32_e32 v50, 31, v49
	v_add_co_ci_u32_e32 v38, vcc_lo, s3, v38, vcc_lo
	v_add_co_u32 v39, vcc_lo, s2, v39
	s_delay_alu instid0(VALU_DEP_4) | instskip(SKIP_3) | instid1(VALU_DEP_4)
	v_add_nc_u32_e32 v53, s5, v51
	v_lshlrev_b64 v[47:48], 3, v[47:48]
	v_ashrrev_i32_e32 v52, 31, v51
	v_add_co_ci_u32_e32 v40, vcc_lo, s3, v40, vcc_lo
	v_add_nc_u32_e32 v55, s5, v53
	v_add_co_u32 v43, vcc_lo, s2, v43
	v_lshlrev_b64 v[49:50], 3, v[49:50]
	v_ashrrev_i32_e32 v54, 31, v53
	s_delay_alu instid0(VALU_DEP_4) | instskip(SKIP_2) | instid1(VALU_DEP_3)
	v_add_nc_u32_e32 v57, s5, v55
	v_add_co_ci_u32_e32 v44, vcc_lo, s3, v44, vcc_lo
	v_add_co_u32 v47, vcc_lo, s2, v47
	v_add_nc_u32_e32 v59, s5, v57
	v_lshlrev_b64 v[51:52], 3, v[51:52]
	v_ashrrev_i32_e32 v56, 31, v55
	v_add_co_ci_u32_e32 v48, vcc_lo, s3, v48, vcc_lo
	v_add_co_u32 v49, vcc_lo, s2, v49
	v_lshlrev_b64 v[53:54], 3, v[53:54]
	v_add_nc_u32_e32 v61, s5, v59
	v_ashrrev_i32_e32 v58, 31, v57
	v_add_co_ci_u32_e32 v50, vcc_lo, s3, v50, vcc_lo
	v_add_co_u32 v51, vcc_lo, s2, v51
	v_lshlrev_b64 v[55:56], 3, v[55:56]
	v_ashrrev_i32_e32 v60, 31, v59
	v_add_co_ci_u32_e32 v52, vcc_lo, s3, v52, vcc_lo
	v_add_nc_u32_e32 v63, s5, v61
	v_add_co_u32 v53, vcc_lo, s2, v53
	v_lshlrev_b64 v[57:58], 3, v[57:58]
	v_ashrrev_i32_e32 v62, 31, v61
	v_add_co_ci_u32_e32 v54, vcc_lo, s3, v54, vcc_lo
	v_add_co_u32 v55, vcc_lo, s2, v55
	v_lshlrev_b64 v[59:60], 3, v[59:60]
	v_ashrrev_i32_e32 v64, 31, v63
	v_add_co_ci_u32_e32 v56, vcc_lo, s3, v56, vcc_lo
	v_add_co_u32 v57, vcc_lo, s2, v57
	v_lshlrev_b64 v[61:62], 3, v[61:62]
	v_add_co_ci_u32_e32 v58, vcc_lo, s3, v58, vcc_lo
	v_add_nc_u32_e32 v65, s5, v63
	v_add_co_u32 v59, vcc_lo, s2, v59
	v_lshlrev_b64 v[63:64], 3, v[63:64]
	v_add_co_ci_u32_e32 v60, vcc_lo, s3, v60, vcc_lo
	s_clause 0x2
	global_load_b64 v[104:105], v[45:46], off
	global_load_b64 v[106:107], v[41:42], off
	;; [unrolled: 1-line block ×3, first 2 shown]
	v_add_co_u32 v61, vcc_lo, s2, v61
	global_load_b64 v[110:111], v[35:36], off
	v_add_co_ci_u32_e32 v62, vcc_lo, s3, v62, vcc_lo
	v_add_co_u32 v63, vcc_lo, s2, v63
	v_add_co_ci_u32_e32 v64, vcc_lo, s3, v64, vcc_lo
	v_add_nc_u32_e32 v67, s5, v65
	v_ashrrev_i32_e32 v66, 31, v65
	s_delay_alu instid0(VALU_DEP_2) | instskip(SKIP_1) | instid1(VALU_DEP_3)
	v_add_nc_u32_e32 v69, s5, v67
	v_ashrrev_i32_e32 v68, 31, v67
	v_lshlrev_b64 v[65:66], 3, v[65:66]
	s_delay_alu instid0(VALU_DEP_3) | instskip(SKIP_1) | instid1(VALU_DEP_4)
	v_add_nc_u32_e32 v71, s5, v69
	v_ashrrev_i32_e32 v70, 31, v69
	v_lshlrev_b64 v[67:68], 3, v[67:68]
	s_delay_alu instid0(VALU_DEP_4) | instskip(NEXT) | instid1(VALU_DEP_4)
	v_add_co_u32 v65, vcc_lo, s2, v65
	v_add_nc_u32_e32 v73, s5, v71
	v_ashrrev_i32_e32 v72, 31, v71
	v_lshlrev_b64 v[69:70], 3, v[69:70]
	v_add_co_ci_u32_e32 v66, vcc_lo, s3, v66, vcc_lo
	s_delay_alu instid0(VALU_DEP_4) | instskip(SKIP_3) | instid1(VALU_DEP_4)
	v_add_nc_u32_e32 v75, s5, v73
	v_ashrrev_i32_e32 v74, 31, v73
	v_add_co_u32 v67, vcc_lo, s2, v67
	v_lshlrev_b64 v[71:72], 3, v[71:72]
	v_add_nc_u32_e32 v77, s5, v75
	v_ashrrev_i32_e32 v76, 31, v75
	v_add_co_ci_u32_e32 v68, vcc_lo, s3, v68, vcc_lo
	v_add_co_u32 v69, vcc_lo, s2, v69
	s_delay_alu instid0(VALU_DEP_4) | instskip(SKIP_3) | instid1(VALU_DEP_4)
	v_add_nc_u32_e32 v79, s5, v77
	v_lshlrev_b64 v[73:74], 3, v[73:74]
	v_ashrrev_i32_e32 v78, 31, v77
	v_add_co_ci_u32_e32 v70, vcc_lo, s3, v70, vcc_lo
	v_add_nc_u32_e32 v81, s5, v79
	v_add_co_u32 v71, vcc_lo, s2, v71
	v_lshlrev_b64 v[75:76], 3, v[75:76]
	v_ashrrev_i32_e32 v80, 31, v79
	s_delay_alu instid0(VALU_DEP_4) | instskip(SKIP_2) | instid1(VALU_DEP_3)
	v_add_nc_u32_e32 v83, s5, v81
	v_add_co_ci_u32_e32 v72, vcc_lo, s3, v72, vcc_lo
	v_add_co_u32 v73, vcc_lo, s2, v73
	v_add_nc_u32_e32 v85, s5, v83
	v_lshlrev_b64 v[77:78], 3, v[77:78]
	v_ashrrev_i32_e32 v82, 31, v81
	v_add_co_ci_u32_e32 v74, vcc_lo, s3, v74, vcc_lo
	s_delay_alu instid0(VALU_DEP_4) | instskip(SKIP_3) | instid1(VALU_DEP_4)
	v_add_nc_u32_e32 v87, s5, v85
	v_add_co_u32 v75, vcc_lo, s2, v75
	v_lshlrev_b64 v[79:80], 3, v[79:80]
	v_ashrrev_i32_e32 v84, 31, v83
	v_add_nc_u32_e32 v89, s5, v87
	v_add_co_ci_u32_e32 v76, vcc_lo, s3, v76, vcc_lo
	v_add_co_u32 v77, vcc_lo, s2, v77
	v_lshlrev_b64 v[81:82], 3, v[81:82]
	v_ashrrev_i32_e32 v86, 31, v85
	v_add_co_ci_u32_e32 v78, vcc_lo, s3, v78, vcc_lo
	v_add_co_u32 v79, vcc_lo, s2, v79
	v_lshlrev_b64 v[83:84], 3, v[83:84]
	v_add_nc_u32_e32 v91, s5, v89
	v_ashrrev_i32_e32 v88, 31, v87
	v_add_co_ci_u32_e32 v80, vcc_lo, s3, v80, vcc_lo
	v_add_co_u32 v81, vcc_lo, s2, v81
	v_lshlrev_b64 v[85:86], 3, v[85:86]
	v_ashrrev_i32_e32 v90, 31, v89
	v_add_co_ci_u32_e32 v82, vcc_lo, s3, v82, vcc_lo
	v_add_nc_u32_e32 v93, s5, v91
	v_add_co_u32 v83, vcc_lo, s2, v83
	v_lshlrev_b64 v[87:88], 3, v[87:88]
	v_ashrrev_i32_e32 v92, 31, v91
	v_add_co_ci_u32_e32 v84, vcc_lo, s3, v84, vcc_lo
	v_add_co_u32 v85, vcc_lo, s2, v85
	v_lshlrev_b64 v[89:90], 3, v[89:90]
	v_ashrrev_i32_e32 v94, 31, v93
	v_add_co_ci_u32_e32 v86, vcc_lo, s3, v86, vcc_lo
	v_add_co_u32 v87, vcc_lo, s2, v87
	v_lshlrev_b64 v[91:92], 3, v[91:92]
	v_add_co_ci_u32_e32 v88, vcc_lo, s3, v88, vcc_lo
	v_add_co_u32 v89, vcc_lo, s2, v89
	v_lshlrev_b64 v[93:94], 3, v[93:94]
	v_add_co_ci_u32_e32 v90, vcc_lo, s3, v90, vcc_lo
	v_add_co_u32 v91, vcc_lo, s2, v91
	v_add_co_ci_u32_e32 v92, vcc_lo, s3, v92, vcc_lo
	s_delay_alu instid0(VALU_DEP_4)
	v_add_co_u32 v93, vcc_lo, s2, v93
	v_add_co_ci_u32_e32 v94, vcc_lo, s3, v94, vcc_lo
	s_cselect_b32 s3, -1, 0
	s_cmpk_eq_i32 s1, 0x84
	s_waitcnt vmcnt(11)
	scratch_store_b128 off, v[1:4], off
	s_clause 0x3
	global_load_b64 v[1:2], v[37:38], off
	global_load_b64 v[3:4], v[39:40], off
	global_load_b64 v[112:113], v[43:44], off
	global_load_b64 v[114:115], v[47:48], off
	s_waitcnt vmcnt(13)
	scratch_store_b128 off, v[9:12], off offset:16
	s_waitcnt vmcnt(12)
	scratch_store_b128 off, v[5:8], off offset:32
	s_clause 0x3
	global_load_b64 v[5:6], v[49:50], off
	global_load_b64 v[7:8], v[51:52], off
	global_load_b64 v[9:10], v[53:54], off
	global_load_b64 v[11:12], v[55:56], off
	s_waitcnt vmcnt(14)
	scratch_store_b128 off, v[96:99], off offset:48
	s_waitcnt vmcnt(12)
	scratch_store_b128 off, v[100:103], off offset:64
	s_clause 0x3
	global_load_b64 v[96:97], v[57:58], off
	global_load_b64 v[98:99], v[59:60], off
	global_load_b64 v[100:101], v[61:62], off
	global_load_b64 v[102:103], v[63:64], off
	s_waitcnt vmcnt(14)
	scratch_store_b128 off, v[104:107], off offset:80
	s_waitcnt vmcnt(12)
	scratch_store_b128 off, v[108:111], off offset:96
	s_clause 0x2
	global_load_b64 v[104:105], v[65:66], off
	global_load_b64 v[106:107], v[67:68], off
	global_load_b64 v[108:109], v[69:70], off
	s_waitcnt vmcnt(13)
	scratch_store_b128 off, v[1:4], off offset:112
	s_waitcnt vmcnt(11)
	scratch_store_b128 off, v[112:115], off offset:128
	s_clause 0x3
	global_load_b64 v[110:111], v[71:72], off
	global_load_b64 v[1:2], v[73:74], off
	global_load_b64 v[3:4], v[75:76], off
	global_load_b64 v[112:113], v[77:78], off
	s_waitcnt vmcnt(13)
	scratch_store_b128 off, v[5:8], off offset:144
	s_waitcnt vmcnt(11)
	scratch_store_b128 off, v[9:12], off offset:160
	s_clause 0x3
	global_load_b64 v[114:115], v[79:80], off
	;; [unrolled: 9-line block ×3, first 2 shown]
	global_load_b64 v[96:97], v[89:90], off
	global_load_b64 v[98:99], v[91:92], off
	;; [unrolled: 1-line block ×3, first 2 shown]
	s_waitcnt vmcnt(13)
	scratch_store_b128 off, v[104:107], off offset:208
	s_waitcnt vmcnt(11)
	scratch_store_b128 off, v[108:111], off offset:224
	;; [unrolled: 2-line block ×5, first 2 shown]
	v_mov_b32_e32 v1, 0
	v_mov_b32_e32 v2, 0xbff00000
	s_waitcnt vmcnt(3)
	scratch_store_b128 off, v[9:12], off offset:288
	s_waitcnt vmcnt(1)
	scratch_store_b128 off, v[96:99], off offset:304
	s_waitcnt vmcnt(0)
	scratch_store_b64 off, v[100:101], off offset:320
	s_cbranch_scc1 .LBB104_3
; %bb.2:
	scratch_load_b64 v[1:2], v95, off
	s_waitcnt vmcnt(0)
	v_div_scale_f64 v[3:4], null, v[1:2], v[1:2], 1.0
	v_div_scale_f64 v[9:10], vcc_lo, 1.0, v[1:2], 1.0
	s_delay_alu instid0(VALU_DEP_2) | instskip(SKIP_2) | instid1(VALU_DEP_1)
	v_rcp_f64_e32 v[5:6], v[3:4]
	s_waitcnt_depctr 0xfff
	v_fma_f64 v[7:8], -v[3:4], v[5:6], 1.0
	v_fma_f64 v[5:6], v[5:6], v[7:8], v[5:6]
	s_delay_alu instid0(VALU_DEP_1) | instskip(NEXT) | instid1(VALU_DEP_1)
	v_fma_f64 v[7:8], -v[3:4], v[5:6], 1.0
	v_fma_f64 v[5:6], v[5:6], v[7:8], v[5:6]
	s_delay_alu instid0(VALU_DEP_1) | instskip(NEXT) | instid1(VALU_DEP_1)
	v_mul_f64 v[7:8], v[9:10], v[5:6]
	v_fma_f64 v[3:4], -v[3:4], v[7:8], v[9:10]
	s_delay_alu instid0(VALU_DEP_1) | instskip(NEXT) | instid1(VALU_DEP_1)
	v_div_fmas_f64 v[3:4], v[3:4], v[5:6], v[7:8]
	v_div_fixup_f64 v[1:2], v[3:4], v[1:2], 1.0
	scratch_store_b64 v95, v[1:2], off
	v_xor_b32_e32 v2, 0x80000000, v2
.LBB104_3:
	v_add_nc_u32_e32 v3, 0x150, v95
	v_add_nc_u32_e32 v4, 0, v95
	s_cmpk_eq_i32 s0, 0x79
	s_mov_b32 s0, -1
	ds_store_b64 v95, v[1:2]
	s_cbranch_scc1 .LBB104_399
; %bb.4:
	scratch_load_b64 v[1:2], off, off offset:312
	v_cmp_eq_u32_e64 s0, 40, v0
	s_movk_i32 s1, 0x50
	s_movk_i32 s2, 0x60
	;; [unrolled: 1-line block ×15, first 2 shown]
	s_waitcnt vmcnt(0)
	ds_store_b64 v3, v[1:2]
	s_waitcnt lgkmcnt(0)
	s_waitcnt_vscnt null, 0x0
	s_barrier
	buffer_gl0_inv
	s_and_saveexec_b32 s17, s0
	s_cbranch_execz .LBB104_10
; %bb.5:
	s_and_b32 vcc_lo, exec_lo, s3
	s_cbranch_vccz .LBB104_7
; %bb.6:
	scratch_load_b64 v[1:2], v4, off
	ds_load_b64 v[5:6], v3
	s_waitcnt vmcnt(0) lgkmcnt(0)
	v_mul_f64 v[1:2], v[1:2], v[5:6]
	s_cbranch_execz .LBB104_8
	s_branch .LBB104_9
.LBB104_7:
                                        ; implicit-def: $vgpr1_vgpr2
.LBB104_8:
	ds_load_b64 v[1:2], v3
.LBB104_9:
	v_mov_b32_e32 v5, 0
	ds_load_b64 v[5:6], v5 offset:312
	s_waitcnt lgkmcnt(0)
	v_mul_f64 v[1:2], v[1:2], v[5:6]
	scratch_store_b64 off, v[1:2], off offset:312
.LBB104_10:
	s_or_b32 exec_lo, exec_lo, s17
	scratch_load_b64 v[1:2], off, off offset:304
	v_add_nc_u32_e64 v5, 0, 16
	v_add_nc_u32_e64 v6, 0, 32
	;; [unrolled: 1-line block ×19, first 2 shown]
	v_cmp_lt_u32_e64 s2, 38, v0
	s_waitcnt vmcnt(0)
	ds_store_b64 v3, v[1:2]
	s_waitcnt lgkmcnt(0)
	s_waitcnt_vscnt null, 0x0
	s_barrier
	buffer_gl0_inv
	s_and_saveexec_b32 s1, s2
	s_cbranch_execz .LBB104_18
; %bb.11:
	s_and_not1_b32 vcc_lo, exec_lo, s3
	s_cbranch_vccnz .LBB104_13
; %bb.12:
	scratch_load_b64 v[1:2], v4, off
	ds_load_b64 v[107:108], v3
	s_waitcnt vmcnt(0) lgkmcnt(0)
	v_mul_f64 v[1:2], v[1:2], v[107:108]
	s_cbranch_execz .LBB104_14
	s_branch .LBB104_15
.LBB104_13:
                                        ; implicit-def: $vgpr1_vgpr2
.LBB104_14:
	ds_load_b64 v[1:2], v3
.LBB104_15:
	s_and_saveexec_b32 s4, s0
	s_cbranch_execz .LBB104_17
; %bb.16:
	scratch_load_b64 v[107:108], off, off offset:312
	v_mov_b32_e32 v109, 0
	ds_load_b64 v[109:110], v109 offset:648
	s_waitcnt vmcnt(0) lgkmcnt(0)
	v_fma_f64 v[1:2], v[107:108], v[109:110], v[1:2]
.LBB104_17:
	s_or_b32 exec_lo, exec_lo, s4
	v_mov_b32_e32 v107, 0
	ds_load_b64 v[107:108], v107 offset:304
	s_waitcnt lgkmcnt(0)
	v_mul_f64 v[1:2], v[1:2], v[107:108]
	scratch_store_b64 off, v[1:2], off offset:304
.LBB104_18:
	s_or_b32 exec_lo, exec_lo, s1
	scratch_load_b64 v[1:2], off, off offset:296
	v_cmp_lt_u32_e64 s1, 37, v0
	s_waitcnt vmcnt(0)
	ds_store_b64 v3, v[1:2]
	s_waitcnt lgkmcnt(0)
	s_waitcnt_vscnt null, 0x0
	s_barrier
	buffer_gl0_inv
	s_and_saveexec_b32 s0, s1
	s_cbranch_execz .LBB104_28
; %bb.19:
	s_and_not1_b32 vcc_lo, exec_lo, s3
	s_cbranch_vccnz .LBB104_21
; %bb.20:
	scratch_load_b64 v[1:2], v4, off
	ds_load_b64 v[107:108], v3
	s_waitcnt vmcnt(0) lgkmcnt(0)
	v_mul_f64 v[1:2], v[1:2], v[107:108]
	s_cbranch_execz .LBB104_22
	s_branch .LBB104_23
.LBB104_21:
                                        ; implicit-def: $vgpr1_vgpr2
.LBB104_22:
	ds_load_b64 v[1:2], v3
.LBB104_23:
	s_and_saveexec_b32 s4, s2
	s_cbranch_execz .LBB104_27
; %bb.24:
	v_subrev_nc_u32_e32 v107, 38, v0
	s_movk_i32 s5, 0x280
	s_mov_b32 s2, 0
.LBB104_25:                             ; =>This Inner Loop Header: Depth=1
	scratch_load_b64 v[108:109], v106, off
	v_dual_mov_b32 v110, s5 :: v_dual_add_nc_u32 v107, -1, v107
	v_add_nc_u32_e32 v106, 8, v106
	s_add_i32 s5, s5, 8
	ds_load_b64 v[110:111], v110
	v_cmp_eq_u32_e32 vcc_lo, 0, v107
	s_or_b32 s2, vcc_lo, s2
	s_waitcnt vmcnt(0) lgkmcnt(0)
	v_fma_f64 v[1:2], v[108:109], v[110:111], v[1:2]
	s_and_not1_b32 exec_lo, exec_lo, s2
	s_cbranch_execnz .LBB104_25
; %bb.26:
	s_or_b32 exec_lo, exec_lo, s2
.LBB104_27:
	s_delay_alu instid0(SALU_CYCLE_1)
	s_or_b32 exec_lo, exec_lo, s4
	v_mov_b32_e32 v106, 0
	ds_load_b64 v[106:107], v106 offset:296
	s_waitcnt lgkmcnt(0)
	v_mul_f64 v[1:2], v[1:2], v[106:107]
	scratch_store_b64 off, v[1:2], off offset:296
.LBB104_28:
	s_or_b32 exec_lo, exec_lo, s0
	scratch_load_b64 v[1:2], off, off offset:288
	v_cmp_lt_u32_e64 s0, 36, v0
	s_waitcnt vmcnt(0)
	ds_store_b64 v3, v[1:2]
	s_waitcnt lgkmcnt(0)
	s_waitcnt_vscnt null, 0x0
	s_barrier
	buffer_gl0_inv
	s_and_saveexec_b32 s2, s0
	s_cbranch_execz .LBB104_38
; %bb.29:
	s_and_not1_b32 vcc_lo, exec_lo, s3
	s_cbranch_vccnz .LBB104_31
; %bb.30:
	scratch_load_b64 v[1:2], v4, off
	ds_load_b64 v[106:107], v3
	s_waitcnt vmcnt(0) lgkmcnt(0)
	v_mul_f64 v[1:2], v[1:2], v[106:107]
	s_cbranch_execz .LBB104_32
	s_branch .LBB104_33
.LBB104_31:
                                        ; implicit-def: $vgpr1_vgpr2
.LBB104_32:
	ds_load_b64 v[1:2], v3
.LBB104_33:
	s_and_saveexec_b32 s4, s1
	s_cbranch_execz .LBB104_37
; %bb.34:
	v_mov_b32_e32 v106, 0
	v_subrev_nc_u32_e32 v107, 37, v0
	s_movk_i32 s5, 0x278
	s_mov_b32 s1, 0
	s_delay_alu instid0(VALU_DEP_2)
	v_add_nc_u32_e32 v106, 0x128, v106
.LBB104_35:                             ; =>This Inner Loop Header: Depth=1
	scratch_load_b64 v[108:109], v106, off
	v_dual_mov_b32 v110, s5 :: v_dual_add_nc_u32 v107, -1, v107
	v_add_nc_u32_e32 v106, 8, v106
	s_add_i32 s5, s5, 8
	ds_load_b64 v[110:111], v110
	v_cmp_eq_u32_e32 vcc_lo, 0, v107
	s_or_b32 s1, vcc_lo, s1
	s_waitcnt vmcnt(0) lgkmcnt(0)
	v_fma_f64 v[1:2], v[108:109], v[110:111], v[1:2]
	s_and_not1_b32 exec_lo, exec_lo, s1
	s_cbranch_execnz .LBB104_35
; %bb.36:
	s_or_b32 exec_lo, exec_lo, s1
.LBB104_37:
	s_delay_alu instid0(SALU_CYCLE_1)
	s_or_b32 exec_lo, exec_lo, s4
	v_mov_b32_e32 v106, 0
	ds_load_b64 v[106:107], v106 offset:288
	s_waitcnt lgkmcnt(0)
	v_mul_f64 v[1:2], v[1:2], v[106:107]
	scratch_store_b64 off, v[1:2], off offset:288
.LBB104_38:
	s_or_b32 exec_lo, exec_lo, s2
	scratch_load_b64 v[1:2], off, off offset:280
	v_cmp_lt_u32_e64 s1, 35, v0
	s_waitcnt vmcnt(0)
	ds_store_b64 v3, v[1:2]
	s_waitcnt lgkmcnt(0)
	s_waitcnt_vscnt null, 0x0
	s_barrier
	buffer_gl0_inv
	s_and_saveexec_b32 s2, s1
	s_cbranch_execz .LBB104_48
; %bb.39:
	s_and_not1_b32 vcc_lo, exec_lo, s3
	s_cbranch_vccnz .LBB104_41
; %bb.40:
	scratch_load_b64 v[1:2], v4, off
	ds_load_b64 v[106:107], v3
	s_waitcnt vmcnt(0) lgkmcnt(0)
	v_mul_f64 v[1:2], v[1:2], v[106:107]
	s_cbranch_execz .LBB104_42
	s_branch .LBB104_43
.LBB104_41:
                                        ; implicit-def: $vgpr1_vgpr2
.LBB104_42:
	ds_load_b64 v[1:2], v3
.LBB104_43:
	s_and_saveexec_b32 s4, s0
	s_cbranch_execz .LBB104_47
; %bb.44:
	v_subrev_nc_u32_e32 v106, 36, v0
	s_movk_i32 s5, 0x270
	s_mov_b32 s0, 0
.LBB104_45:                             ; =>This Inner Loop Header: Depth=1
	scratch_load_b64 v[107:108], v105, off
	v_dual_mov_b32 v109, s5 :: v_dual_add_nc_u32 v106, -1, v106
	v_add_nc_u32_e32 v105, 8, v105
	s_add_i32 s5, s5, 8
	ds_load_b64 v[109:110], v109
	v_cmp_eq_u32_e32 vcc_lo, 0, v106
	s_or_b32 s0, vcc_lo, s0
	s_waitcnt vmcnt(0) lgkmcnt(0)
	v_fma_f64 v[1:2], v[107:108], v[109:110], v[1:2]
	s_and_not1_b32 exec_lo, exec_lo, s0
	s_cbranch_execnz .LBB104_45
; %bb.46:
	s_or_b32 exec_lo, exec_lo, s0
.LBB104_47:
	s_delay_alu instid0(SALU_CYCLE_1)
	s_or_b32 exec_lo, exec_lo, s4
	v_mov_b32_e32 v105, 0
	ds_load_b64 v[105:106], v105 offset:280
	s_waitcnt lgkmcnt(0)
	v_mul_f64 v[1:2], v[1:2], v[105:106]
	scratch_store_b64 off, v[1:2], off offset:280
.LBB104_48:
	s_or_b32 exec_lo, exec_lo, s2
	scratch_load_b64 v[1:2], off, off offset:272
	v_cmp_lt_u32_e64 s0, 34, v0
	s_waitcnt vmcnt(0)
	ds_store_b64 v3, v[1:2]
	s_waitcnt lgkmcnt(0)
	s_waitcnt_vscnt null, 0x0
	s_barrier
	buffer_gl0_inv
	s_and_saveexec_b32 s2, s0
	s_cbranch_execz .LBB104_58
; %bb.49:
	s_and_not1_b32 vcc_lo, exec_lo, s3
	s_cbranch_vccnz .LBB104_51
; %bb.50:
	scratch_load_b64 v[1:2], v4, off
	ds_load_b64 v[105:106], v3
	s_waitcnt vmcnt(0) lgkmcnt(0)
	v_mul_f64 v[1:2], v[1:2], v[105:106]
	s_cbranch_execz .LBB104_52
	s_branch .LBB104_53
.LBB104_51:
                                        ; implicit-def: $vgpr1_vgpr2
.LBB104_52:
	ds_load_b64 v[1:2], v3
.LBB104_53:
	s_and_saveexec_b32 s4, s1
	s_cbranch_execz .LBB104_57
; %bb.54:
	v_mov_b32_e32 v105, 0
	v_subrev_nc_u32_e32 v106, 35, v0
	s_movk_i32 s5, 0x268
	s_mov_b32 s1, 0
	s_delay_alu instid0(VALU_DEP_2)
	v_add_nc_u32_e32 v105, 0x118, v105
.LBB104_55:                             ; =>This Inner Loop Header: Depth=1
	scratch_load_b64 v[107:108], v105, off
	v_dual_mov_b32 v109, s5 :: v_dual_add_nc_u32 v106, -1, v106
	v_add_nc_u32_e32 v105, 8, v105
	s_add_i32 s5, s5, 8
	ds_load_b64 v[109:110], v109
	v_cmp_eq_u32_e32 vcc_lo, 0, v106
	s_or_b32 s1, vcc_lo, s1
	s_waitcnt vmcnt(0) lgkmcnt(0)
	v_fma_f64 v[1:2], v[107:108], v[109:110], v[1:2]
	s_and_not1_b32 exec_lo, exec_lo, s1
	s_cbranch_execnz .LBB104_55
; %bb.56:
	s_or_b32 exec_lo, exec_lo, s1
.LBB104_57:
	s_delay_alu instid0(SALU_CYCLE_1)
	s_or_b32 exec_lo, exec_lo, s4
	v_mov_b32_e32 v105, 0
	ds_load_b64 v[105:106], v105 offset:272
	s_waitcnt lgkmcnt(0)
	v_mul_f64 v[1:2], v[1:2], v[105:106]
	scratch_store_b64 off, v[1:2], off offset:272
.LBB104_58:
	s_or_b32 exec_lo, exec_lo, s2
	scratch_load_b64 v[1:2], off, off offset:264
	v_cmp_lt_u32_e64 s1, 33, v0
	s_waitcnt vmcnt(0)
	ds_store_b64 v3, v[1:2]
	s_waitcnt lgkmcnt(0)
	s_waitcnt_vscnt null, 0x0
	s_barrier
	buffer_gl0_inv
	s_and_saveexec_b32 s2, s1
	s_cbranch_execz .LBB104_68
; %bb.59:
	s_and_not1_b32 vcc_lo, exec_lo, s3
	s_cbranch_vccnz .LBB104_61
; %bb.60:
	scratch_load_b64 v[1:2], v4, off
	ds_load_b64 v[105:106], v3
	s_waitcnt vmcnt(0) lgkmcnt(0)
	v_mul_f64 v[1:2], v[1:2], v[105:106]
	s_cbranch_execz .LBB104_62
	s_branch .LBB104_63
.LBB104_61:
                                        ; implicit-def: $vgpr1_vgpr2
.LBB104_62:
	ds_load_b64 v[1:2], v3
.LBB104_63:
	s_and_saveexec_b32 s4, s0
	s_cbranch_execz .LBB104_67
; %bb.64:
	v_subrev_nc_u32_e32 v105, 34, v0
	s_movk_i32 s5, 0x260
	s_mov_b32 s0, 0
.LBB104_65:                             ; =>This Inner Loop Header: Depth=1
	scratch_load_b64 v[106:107], v104, off
	v_dual_mov_b32 v108, s5 :: v_dual_add_nc_u32 v105, -1, v105
	v_add_nc_u32_e32 v104, 8, v104
	s_add_i32 s5, s5, 8
	ds_load_b64 v[108:109], v108
	v_cmp_eq_u32_e32 vcc_lo, 0, v105
	s_or_b32 s0, vcc_lo, s0
	s_waitcnt vmcnt(0) lgkmcnt(0)
	v_fma_f64 v[1:2], v[106:107], v[108:109], v[1:2]
	s_and_not1_b32 exec_lo, exec_lo, s0
	s_cbranch_execnz .LBB104_65
; %bb.66:
	s_or_b32 exec_lo, exec_lo, s0
.LBB104_67:
	s_delay_alu instid0(SALU_CYCLE_1)
	s_or_b32 exec_lo, exec_lo, s4
	v_mov_b32_e32 v104, 0
	ds_load_b64 v[104:105], v104 offset:264
	s_waitcnt lgkmcnt(0)
	v_mul_f64 v[1:2], v[1:2], v[104:105]
	scratch_store_b64 off, v[1:2], off offset:264
.LBB104_68:
	s_or_b32 exec_lo, exec_lo, s2
	scratch_load_b64 v[1:2], off, off offset:256
	v_cmp_lt_u32_e64 s0, 32, v0
	s_waitcnt vmcnt(0)
	ds_store_b64 v3, v[1:2]
	s_waitcnt lgkmcnt(0)
	s_waitcnt_vscnt null, 0x0
	s_barrier
	buffer_gl0_inv
	s_and_saveexec_b32 s2, s0
	s_cbranch_execz .LBB104_78
; %bb.69:
	s_and_not1_b32 vcc_lo, exec_lo, s3
	s_cbranch_vccnz .LBB104_71
; %bb.70:
	scratch_load_b64 v[1:2], v4, off
	ds_load_b64 v[104:105], v3
	s_waitcnt vmcnt(0) lgkmcnt(0)
	v_mul_f64 v[1:2], v[1:2], v[104:105]
	s_cbranch_execz .LBB104_72
	s_branch .LBB104_73
.LBB104_71:
                                        ; implicit-def: $vgpr1_vgpr2
.LBB104_72:
	ds_load_b64 v[1:2], v3
.LBB104_73:
	s_and_saveexec_b32 s4, s1
	s_cbranch_execz .LBB104_77
; %bb.74:
	v_mov_b32_e32 v104, 0
	v_subrev_nc_u32_e32 v105, 33, v0
	s_movk_i32 s5, 0x258
	s_mov_b32 s1, 0
	s_delay_alu instid0(VALU_DEP_2)
	v_add_nc_u32_e32 v104, 0x108, v104
.LBB104_75:                             ; =>This Inner Loop Header: Depth=1
	scratch_load_b64 v[106:107], v104, off
	v_dual_mov_b32 v108, s5 :: v_dual_add_nc_u32 v105, -1, v105
	v_add_nc_u32_e32 v104, 8, v104
	s_add_i32 s5, s5, 8
	ds_load_b64 v[108:109], v108
	v_cmp_eq_u32_e32 vcc_lo, 0, v105
	s_or_b32 s1, vcc_lo, s1
	s_waitcnt vmcnt(0) lgkmcnt(0)
	v_fma_f64 v[1:2], v[106:107], v[108:109], v[1:2]
	s_and_not1_b32 exec_lo, exec_lo, s1
	s_cbranch_execnz .LBB104_75
; %bb.76:
	s_or_b32 exec_lo, exec_lo, s1
.LBB104_77:
	s_delay_alu instid0(SALU_CYCLE_1)
	s_or_b32 exec_lo, exec_lo, s4
	v_mov_b32_e32 v104, 0
	ds_load_b64 v[104:105], v104 offset:256
	s_waitcnt lgkmcnt(0)
	v_mul_f64 v[1:2], v[1:2], v[104:105]
	scratch_store_b64 off, v[1:2], off offset:256
.LBB104_78:
	s_or_b32 exec_lo, exec_lo, s2
	scratch_load_b64 v[1:2], off, off offset:248
	v_cmp_lt_u32_e64 s1, 31, v0
	s_waitcnt vmcnt(0)
	ds_store_b64 v3, v[1:2]
	s_waitcnt lgkmcnt(0)
	s_waitcnt_vscnt null, 0x0
	s_barrier
	buffer_gl0_inv
	s_and_saveexec_b32 s2, s1
	s_cbranch_execz .LBB104_88
; %bb.79:
	s_and_not1_b32 vcc_lo, exec_lo, s3
	s_cbranch_vccnz .LBB104_81
; %bb.80:
	scratch_load_b64 v[1:2], v4, off
	ds_load_b64 v[104:105], v3
	s_waitcnt vmcnt(0) lgkmcnt(0)
	v_mul_f64 v[1:2], v[1:2], v[104:105]
	s_cbranch_execz .LBB104_82
	s_branch .LBB104_83
.LBB104_81:
                                        ; implicit-def: $vgpr1_vgpr2
.LBB104_82:
	ds_load_b64 v[1:2], v3
.LBB104_83:
	s_and_saveexec_b32 s4, s0
	s_cbranch_execz .LBB104_87
; %bb.84:
	v_subrev_nc_u32_e32 v104, 32, v0
	s_movk_i32 s5, 0x250
	s_mov_b32 s0, 0
.LBB104_85:                             ; =>This Inner Loop Header: Depth=1
	scratch_load_b64 v[105:106], v103, off
	v_dual_mov_b32 v107, s5 :: v_dual_add_nc_u32 v104, -1, v104
	v_add_nc_u32_e32 v103, 8, v103
	s_add_i32 s5, s5, 8
	ds_load_b64 v[107:108], v107
	v_cmp_eq_u32_e32 vcc_lo, 0, v104
	s_or_b32 s0, vcc_lo, s0
	s_waitcnt vmcnt(0) lgkmcnt(0)
	v_fma_f64 v[1:2], v[105:106], v[107:108], v[1:2]
	s_and_not1_b32 exec_lo, exec_lo, s0
	s_cbranch_execnz .LBB104_85
; %bb.86:
	s_or_b32 exec_lo, exec_lo, s0
.LBB104_87:
	s_delay_alu instid0(SALU_CYCLE_1)
	s_or_b32 exec_lo, exec_lo, s4
	v_mov_b32_e32 v103, 0
	ds_load_b64 v[103:104], v103 offset:248
	s_waitcnt lgkmcnt(0)
	v_mul_f64 v[1:2], v[1:2], v[103:104]
	scratch_store_b64 off, v[1:2], off offset:248
.LBB104_88:
	s_or_b32 exec_lo, exec_lo, s2
	scratch_load_b64 v[1:2], off, off offset:240
	v_cmp_lt_u32_e64 s0, 30, v0
	s_waitcnt vmcnt(0)
	ds_store_b64 v3, v[1:2]
	s_waitcnt lgkmcnt(0)
	s_waitcnt_vscnt null, 0x0
	s_barrier
	buffer_gl0_inv
	s_and_saveexec_b32 s2, s0
	s_cbranch_execz .LBB104_98
; %bb.89:
	s_and_not1_b32 vcc_lo, exec_lo, s3
	s_cbranch_vccnz .LBB104_91
; %bb.90:
	scratch_load_b64 v[1:2], v4, off
	ds_load_b64 v[103:104], v3
	s_waitcnt vmcnt(0) lgkmcnt(0)
	v_mul_f64 v[1:2], v[1:2], v[103:104]
	s_cbranch_execz .LBB104_92
	s_branch .LBB104_93
.LBB104_91:
                                        ; implicit-def: $vgpr1_vgpr2
.LBB104_92:
	ds_load_b64 v[1:2], v3
.LBB104_93:
	s_and_saveexec_b32 s4, s1
	s_cbranch_execz .LBB104_97
; %bb.94:
	v_mov_b32_e32 v103, 0
	v_subrev_nc_u32_e32 v104, 31, v0
	s_movk_i32 s5, 0x248
	s_mov_b32 s1, 0
	s_delay_alu instid0(VALU_DEP_2)
	v_add_nc_u32_e32 v103, 0xf8, v103
.LBB104_95:                             ; =>This Inner Loop Header: Depth=1
	scratch_load_b64 v[105:106], v103, off
	v_dual_mov_b32 v107, s5 :: v_dual_add_nc_u32 v104, -1, v104
	v_add_nc_u32_e32 v103, 8, v103
	s_add_i32 s5, s5, 8
	ds_load_b64 v[107:108], v107
	v_cmp_eq_u32_e32 vcc_lo, 0, v104
	s_or_b32 s1, vcc_lo, s1
	s_waitcnt vmcnt(0) lgkmcnt(0)
	v_fma_f64 v[1:2], v[105:106], v[107:108], v[1:2]
	s_and_not1_b32 exec_lo, exec_lo, s1
	s_cbranch_execnz .LBB104_95
; %bb.96:
	s_or_b32 exec_lo, exec_lo, s1
.LBB104_97:
	s_delay_alu instid0(SALU_CYCLE_1)
	s_or_b32 exec_lo, exec_lo, s4
	v_mov_b32_e32 v103, 0
	ds_load_b64 v[103:104], v103 offset:240
	s_waitcnt lgkmcnt(0)
	v_mul_f64 v[1:2], v[1:2], v[103:104]
	scratch_store_b64 off, v[1:2], off offset:240
.LBB104_98:
	s_or_b32 exec_lo, exec_lo, s2
	scratch_load_b64 v[1:2], off, off offset:232
	v_cmp_lt_u32_e64 s1, 29, v0
	s_waitcnt vmcnt(0)
	ds_store_b64 v3, v[1:2]
	s_waitcnt lgkmcnt(0)
	s_waitcnt_vscnt null, 0x0
	s_barrier
	buffer_gl0_inv
	s_and_saveexec_b32 s2, s1
	s_cbranch_execz .LBB104_108
; %bb.99:
	s_and_not1_b32 vcc_lo, exec_lo, s3
	s_cbranch_vccnz .LBB104_101
; %bb.100:
	scratch_load_b64 v[1:2], v4, off
	ds_load_b64 v[103:104], v3
	s_waitcnt vmcnt(0) lgkmcnt(0)
	v_mul_f64 v[1:2], v[1:2], v[103:104]
	s_cbranch_execz .LBB104_102
	s_branch .LBB104_103
.LBB104_101:
                                        ; implicit-def: $vgpr1_vgpr2
.LBB104_102:
	ds_load_b64 v[1:2], v3
.LBB104_103:
	s_and_saveexec_b32 s4, s0
	s_cbranch_execz .LBB104_107
; %bb.104:
	v_subrev_nc_u32_e32 v103, 30, v0
	s_movk_i32 s5, 0x240
	s_mov_b32 s0, 0
.LBB104_105:                            ; =>This Inner Loop Header: Depth=1
	scratch_load_b64 v[104:105], v102, off
	v_dual_mov_b32 v106, s5 :: v_dual_add_nc_u32 v103, -1, v103
	v_add_nc_u32_e32 v102, 8, v102
	s_add_i32 s5, s5, 8
	ds_load_b64 v[106:107], v106
	v_cmp_eq_u32_e32 vcc_lo, 0, v103
	s_or_b32 s0, vcc_lo, s0
	s_waitcnt vmcnt(0) lgkmcnt(0)
	v_fma_f64 v[1:2], v[104:105], v[106:107], v[1:2]
	s_and_not1_b32 exec_lo, exec_lo, s0
	s_cbranch_execnz .LBB104_105
; %bb.106:
	s_or_b32 exec_lo, exec_lo, s0
.LBB104_107:
	s_delay_alu instid0(SALU_CYCLE_1)
	s_or_b32 exec_lo, exec_lo, s4
	v_mov_b32_e32 v102, 0
	ds_load_b64 v[102:103], v102 offset:232
	s_waitcnt lgkmcnt(0)
	v_mul_f64 v[1:2], v[1:2], v[102:103]
	scratch_store_b64 off, v[1:2], off offset:232
.LBB104_108:
	s_or_b32 exec_lo, exec_lo, s2
	scratch_load_b64 v[1:2], off, off offset:224
	v_cmp_lt_u32_e64 s0, 28, v0
	s_waitcnt vmcnt(0)
	ds_store_b64 v3, v[1:2]
	s_waitcnt lgkmcnt(0)
	s_waitcnt_vscnt null, 0x0
	s_barrier
	buffer_gl0_inv
	s_and_saveexec_b32 s2, s0
	s_cbranch_execz .LBB104_118
; %bb.109:
	s_and_not1_b32 vcc_lo, exec_lo, s3
	s_cbranch_vccnz .LBB104_111
; %bb.110:
	scratch_load_b64 v[1:2], v4, off
	ds_load_b64 v[102:103], v3
	s_waitcnt vmcnt(0) lgkmcnt(0)
	v_mul_f64 v[1:2], v[1:2], v[102:103]
	s_cbranch_execz .LBB104_112
	s_branch .LBB104_113
.LBB104_111:
                                        ; implicit-def: $vgpr1_vgpr2
.LBB104_112:
	ds_load_b64 v[1:2], v3
.LBB104_113:
	s_and_saveexec_b32 s4, s1
	s_cbranch_execz .LBB104_117
; %bb.114:
	v_mov_b32_e32 v102, 0
	v_subrev_nc_u32_e32 v103, 29, v0
	s_movk_i32 s5, 0x238
	s_mov_b32 s1, 0
	s_delay_alu instid0(VALU_DEP_2)
	v_add_nc_u32_e32 v102, 0xe8, v102
.LBB104_115:                            ; =>This Inner Loop Header: Depth=1
	scratch_load_b64 v[104:105], v102, off
	v_dual_mov_b32 v106, s5 :: v_dual_add_nc_u32 v103, -1, v103
	v_add_nc_u32_e32 v102, 8, v102
	s_add_i32 s5, s5, 8
	ds_load_b64 v[106:107], v106
	v_cmp_eq_u32_e32 vcc_lo, 0, v103
	s_or_b32 s1, vcc_lo, s1
	s_waitcnt vmcnt(0) lgkmcnt(0)
	v_fma_f64 v[1:2], v[104:105], v[106:107], v[1:2]
	s_and_not1_b32 exec_lo, exec_lo, s1
	s_cbranch_execnz .LBB104_115
; %bb.116:
	s_or_b32 exec_lo, exec_lo, s1
.LBB104_117:
	s_delay_alu instid0(SALU_CYCLE_1)
	s_or_b32 exec_lo, exec_lo, s4
	v_mov_b32_e32 v102, 0
	ds_load_b64 v[102:103], v102 offset:224
	s_waitcnt lgkmcnt(0)
	v_mul_f64 v[1:2], v[1:2], v[102:103]
	scratch_store_b64 off, v[1:2], off offset:224
.LBB104_118:
	s_or_b32 exec_lo, exec_lo, s2
	scratch_load_b64 v[1:2], off, off offset:216
	v_cmp_lt_u32_e64 s1, 27, v0
	s_waitcnt vmcnt(0)
	ds_store_b64 v3, v[1:2]
	s_waitcnt lgkmcnt(0)
	s_waitcnt_vscnt null, 0x0
	s_barrier
	buffer_gl0_inv
	s_and_saveexec_b32 s2, s1
	s_cbranch_execz .LBB104_128
; %bb.119:
	s_and_not1_b32 vcc_lo, exec_lo, s3
	s_cbranch_vccnz .LBB104_121
; %bb.120:
	scratch_load_b64 v[1:2], v4, off
	ds_load_b64 v[102:103], v3
	s_waitcnt vmcnt(0) lgkmcnt(0)
	v_mul_f64 v[1:2], v[1:2], v[102:103]
	s_cbranch_execz .LBB104_122
	s_branch .LBB104_123
.LBB104_121:
                                        ; implicit-def: $vgpr1_vgpr2
.LBB104_122:
	ds_load_b64 v[1:2], v3
.LBB104_123:
	s_and_saveexec_b32 s4, s0
	s_cbranch_execz .LBB104_127
; %bb.124:
	v_subrev_nc_u32_e32 v102, 28, v0
	s_movk_i32 s5, 0x230
	s_mov_b32 s0, 0
.LBB104_125:                            ; =>This Inner Loop Header: Depth=1
	scratch_load_b64 v[103:104], v101, off
	v_dual_mov_b32 v105, s5 :: v_dual_add_nc_u32 v102, -1, v102
	v_add_nc_u32_e32 v101, 8, v101
	s_add_i32 s5, s5, 8
	ds_load_b64 v[105:106], v105
	v_cmp_eq_u32_e32 vcc_lo, 0, v102
	s_or_b32 s0, vcc_lo, s0
	s_waitcnt vmcnt(0) lgkmcnt(0)
	v_fma_f64 v[1:2], v[103:104], v[105:106], v[1:2]
	s_and_not1_b32 exec_lo, exec_lo, s0
	s_cbranch_execnz .LBB104_125
; %bb.126:
	s_or_b32 exec_lo, exec_lo, s0
.LBB104_127:
	s_delay_alu instid0(SALU_CYCLE_1)
	s_or_b32 exec_lo, exec_lo, s4
	v_mov_b32_e32 v101, 0
	ds_load_b64 v[101:102], v101 offset:216
	s_waitcnt lgkmcnt(0)
	v_mul_f64 v[1:2], v[1:2], v[101:102]
	scratch_store_b64 off, v[1:2], off offset:216
.LBB104_128:
	s_or_b32 exec_lo, exec_lo, s2
	scratch_load_b64 v[1:2], off, off offset:208
	v_cmp_lt_u32_e64 s0, 26, v0
	s_waitcnt vmcnt(0)
	ds_store_b64 v3, v[1:2]
	s_waitcnt lgkmcnt(0)
	s_waitcnt_vscnt null, 0x0
	s_barrier
	buffer_gl0_inv
	s_and_saveexec_b32 s2, s0
	s_cbranch_execz .LBB104_138
; %bb.129:
	s_and_not1_b32 vcc_lo, exec_lo, s3
	s_cbranch_vccnz .LBB104_131
; %bb.130:
	scratch_load_b64 v[1:2], v4, off
	ds_load_b64 v[101:102], v3
	s_waitcnt vmcnt(0) lgkmcnt(0)
	v_mul_f64 v[1:2], v[1:2], v[101:102]
	s_cbranch_execz .LBB104_132
	s_branch .LBB104_133
.LBB104_131:
                                        ; implicit-def: $vgpr1_vgpr2
.LBB104_132:
	ds_load_b64 v[1:2], v3
.LBB104_133:
	s_and_saveexec_b32 s4, s1
	s_cbranch_execz .LBB104_137
; %bb.134:
	v_mov_b32_e32 v101, 0
	v_subrev_nc_u32_e32 v102, 27, v0
	s_movk_i32 s5, 0x228
	s_mov_b32 s1, 0
	s_delay_alu instid0(VALU_DEP_2)
	v_add_nc_u32_e32 v101, 0xd8, v101
.LBB104_135:                            ; =>This Inner Loop Header: Depth=1
	scratch_load_b64 v[103:104], v101, off
	v_dual_mov_b32 v105, s5 :: v_dual_add_nc_u32 v102, -1, v102
	v_add_nc_u32_e32 v101, 8, v101
	s_add_i32 s5, s5, 8
	ds_load_b64 v[105:106], v105
	v_cmp_eq_u32_e32 vcc_lo, 0, v102
	s_or_b32 s1, vcc_lo, s1
	s_waitcnt vmcnt(0) lgkmcnt(0)
	v_fma_f64 v[1:2], v[103:104], v[105:106], v[1:2]
	s_and_not1_b32 exec_lo, exec_lo, s1
	s_cbranch_execnz .LBB104_135
; %bb.136:
	s_or_b32 exec_lo, exec_lo, s1
.LBB104_137:
	s_delay_alu instid0(SALU_CYCLE_1)
	s_or_b32 exec_lo, exec_lo, s4
	v_mov_b32_e32 v101, 0
	ds_load_b64 v[101:102], v101 offset:208
	s_waitcnt lgkmcnt(0)
	v_mul_f64 v[1:2], v[1:2], v[101:102]
	scratch_store_b64 off, v[1:2], off offset:208
.LBB104_138:
	s_or_b32 exec_lo, exec_lo, s2
	scratch_load_b64 v[1:2], off, off offset:200
	v_cmp_lt_u32_e64 s1, 25, v0
	s_waitcnt vmcnt(0)
	ds_store_b64 v3, v[1:2]
	s_waitcnt lgkmcnt(0)
	s_waitcnt_vscnt null, 0x0
	s_barrier
	buffer_gl0_inv
	s_and_saveexec_b32 s2, s1
	s_cbranch_execz .LBB104_148
; %bb.139:
	s_and_not1_b32 vcc_lo, exec_lo, s3
	s_cbranch_vccnz .LBB104_141
; %bb.140:
	scratch_load_b64 v[1:2], v4, off
	ds_load_b64 v[101:102], v3
	s_waitcnt vmcnt(0) lgkmcnt(0)
	v_mul_f64 v[1:2], v[1:2], v[101:102]
	s_cbranch_execz .LBB104_142
	s_branch .LBB104_143
.LBB104_141:
                                        ; implicit-def: $vgpr1_vgpr2
.LBB104_142:
	ds_load_b64 v[1:2], v3
.LBB104_143:
	s_and_saveexec_b32 s4, s0
	s_cbranch_execz .LBB104_147
; %bb.144:
	v_subrev_nc_u32_e32 v101, 26, v0
	s_movk_i32 s5, 0x220
	s_mov_b32 s0, 0
.LBB104_145:                            ; =>This Inner Loop Header: Depth=1
	scratch_load_b64 v[102:103], v100, off
	v_dual_mov_b32 v104, s5 :: v_dual_add_nc_u32 v101, -1, v101
	v_add_nc_u32_e32 v100, 8, v100
	s_add_i32 s5, s5, 8
	ds_load_b64 v[104:105], v104
	v_cmp_eq_u32_e32 vcc_lo, 0, v101
	s_or_b32 s0, vcc_lo, s0
	s_waitcnt vmcnt(0) lgkmcnt(0)
	v_fma_f64 v[1:2], v[102:103], v[104:105], v[1:2]
	s_and_not1_b32 exec_lo, exec_lo, s0
	s_cbranch_execnz .LBB104_145
; %bb.146:
	s_or_b32 exec_lo, exec_lo, s0
.LBB104_147:
	s_delay_alu instid0(SALU_CYCLE_1)
	s_or_b32 exec_lo, exec_lo, s4
	v_mov_b32_e32 v100, 0
	ds_load_b64 v[100:101], v100 offset:200
	s_waitcnt lgkmcnt(0)
	v_mul_f64 v[1:2], v[1:2], v[100:101]
	scratch_store_b64 off, v[1:2], off offset:200
.LBB104_148:
	s_or_b32 exec_lo, exec_lo, s2
	scratch_load_b64 v[1:2], off, off offset:192
	v_cmp_lt_u32_e64 s0, 24, v0
	s_waitcnt vmcnt(0)
	ds_store_b64 v3, v[1:2]
	s_waitcnt lgkmcnt(0)
	s_waitcnt_vscnt null, 0x0
	s_barrier
	buffer_gl0_inv
	s_and_saveexec_b32 s2, s0
	s_cbranch_execz .LBB104_158
; %bb.149:
	s_and_not1_b32 vcc_lo, exec_lo, s3
	s_cbranch_vccnz .LBB104_151
; %bb.150:
	scratch_load_b64 v[1:2], v4, off
	ds_load_b64 v[100:101], v3
	s_waitcnt vmcnt(0) lgkmcnt(0)
	v_mul_f64 v[1:2], v[1:2], v[100:101]
	s_cbranch_execz .LBB104_152
	s_branch .LBB104_153
.LBB104_151:
                                        ; implicit-def: $vgpr1_vgpr2
.LBB104_152:
	ds_load_b64 v[1:2], v3
.LBB104_153:
	s_and_saveexec_b32 s4, s1
	s_cbranch_execz .LBB104_157
; %bb.154:
	v_mov_b32_e32 v100, 0
	v_subrev_nc_u32_e32 v101, 25, v0
	s_movk_i32 s5, 0x218
	s_mov_b32 s1, 0
	s_delay_alu instid0(VALU_DEP_2)
	v_add_nc_u32_e32 v100, 0xc8, v100
.LBB104_155:                            ; =>This Inner Loop Header: Depth=1
	scratch_load_b64 v[102:103], v100, off
	v_dual_mov_b32 v104, s5 :: v_dual_add_nc_u32 v101, -1, v101
	v_add_nc_u32_e32 v100, 8, v100
	s_add_i32 s5, s5, 8
	ds_load_b64 v[104:105], v104
	v_cmp_eq_u32_e32 vcc_lo, 0, v101
	s_or_b32 s1, vcc_lo, s1
	s_waitcnt vmcnt(0) lgkmcnt(0)
	v_fma_f64 v[1:2], v[102:103], v[104:105], v[1:2]
	s_and_not1_b32 exec_lo, exec_lo, s1
	s_cbranch_execnz .LBB104_155
; %bb.156:
	s_or_b32 exec_lo, exec_lo, s1
.LBB104_157:
	s_delay_alu instid0(SALU_CYCLE_1)
	s_or_b32 exec_lo, exec_lo, s4
	v_mov_b32_e32 v100, 0
	ds_load_b64 v[100:101], v100 offset:192
	s_waitcnt lgkmcnt(0)
	v_mul_f64 v[1:2], v[1:2], v[100:101]
	scratch_store_b64 off, v[1:2], off offset:192
.LBB104_158:
	s_or_b32 exec_lo, exec_lo, s2
	scratch_load_b64 v[1:2], off, off offset:184
	v_cmp_lt_u32_e64 s1, 23, v0
	s_waitcnt vmcnt(0)
	ds_store_b64 v3, v[1:2]
	s_waitcnt lgkmcnt(0)
	s_waitcnt_vscnt null, 0x0
	s_barrier
	buffer_gl0_inv
	s_and_saveexec_b32 s2, s1
	s_cbranch_execz .LBB104_168
; %bb.159:
	s_and_not1_b32 vcc_lo, exec_lo, s3
	s_cbranch_vccnz .LBB104_161
; %bb.160:
	scratch_load_b64 v[1:2], v4, off
	ds_load_b64 v[100:101], v3
	s_waitcnt vmcnt(0) lgkmcnt(0)
	v_mul_f64 v[1:2], v[1:2], v[100:101]
	s_cbranch_execz .LBB104_162
	s_branch .LBB104_163
.LBB104_161:
                                        ; implicit-def: $vgpr1_vgpr2
.LBB104_162:
	ds_load_b64 v[1:2], v3
.LBB104_163:
	s_and_saveexec_b32 s4, s0
	s_cbranch_execz .LBB104_167
; %bb.164:
	v_subrev_nc_u32_e32 v100, 24, v0
	s_movk_i32 s5, 0x210
	s_mov_b32 s0, 0
.LBB104_165:                            ; =>This Inner Loop Header: Depth=1
	scratch_load_b64 v[101:102], v99, off
	v_dual_mov_b32 v103, s5 :: v_dual_add_nc_u32 v100, -1, v100
	v_add_nc_u32_e32 v99, 8, v99
	s_add_i32 s5, s5, 8
	ds_load_b64 v[103:104], v103
	v_cmp_eq_u32_e32 vcc_lo, 0, v100
	s_or_b32 s0, vcc_lo, s0
	s_waitcnt vmcnt(0) lgkmcnt(0)
	v_fma_f64 v[1:2], v[101:102], v[103:104], v[1:2]
	s_and_not1_b32 exec_lo, exec_lo, s0
	s_cbranch_execnz .LBB104_165
; %bb.166:
	s_or_b32 exec_lo, exec_lo, s0
.LBB104_167:
	s_delay_alu instid0(SALU_CYCLE_1)
	s_or_b32 exec_lo, exec_lo, s4
	v_mov_b32_e32 v99, 0
	ds_load_b64 v[99:100], v99 offset:184
	s_waitcnt lgkmcnt(0)
	v_mul_f64 v[1:2], v[1:2], v[99:100]
	scratch_store_b64 off, v[1:2], off offset:184
.LBB104_168:
	s_or_b32 exec_lo, exec_lo, s2
	scratch_load_b64 v[1:2], off, off offset:176
	v_cmp_lt_u32_e64 s0, 22, v0
	s_waitcnt vmcnt(0)
	ds_store_b64 v3, v[1:2]
	s_waitcnt lgkmcnt(0)
	s_waitcnt_vscnt null, 0x0
	s_barrier
	buffer_gl0_inv
	s_and_saveexec_b32 s2, s0
	s_cbranch_execz .LBB104_178
; %bb.169:
	s_and_not1_b32 vcc_lo, exec_lo, s3
	s_cbranch_vccnz .LBB104_171
; %bb.170:
	scratch_load_b64 v[1:2], v4, off
	ds_load_b64 v[99:100], v3
	s_waitcnt vmcnt(0) lgkmcnt(0)
	v_mul_f64 v[1:2], v[1:2], v[99:100]
	s_cbranch_execz .LBB104_172
	s_branch .LBB104_173
.LBB104_171:
                                        ; implicit-def: $vgpr1_vgpr2
.LBB104_172:
	ds_load_b64 v[1:2], v3
.LBB104_173:
	s_and_saveexec_b32 s4, s1
	s_cbranch_execz .LBB104_177
; %bb.174:
	v_mov_b32_e32 v99, 0
	v_subrev_nc_u32_e32 v100, 23, v0
	s_movk_i32 s5, 0x208
	s_mov_b32 s1, 0
	s_delay_alu instid0(VALU_DEP_2)
	v_add_nc_u32_e32 v99, 0xb8, v99
.LBB104_175:                            ; =>This Inner Loop Header: Depth=1
	scratch_load_b64 v[101:102], v99, off
	v_dual_mov_b32 v103, s5 :: v_dual_add_nc_u32 v100, -1, v100
	v_add_nc_u32_e32 v99, 8, v99
	s_add_i32 s5, s5, 8
	ds_load_b64 v[103:104], v103
	v_cmp_eq_u32_e32 vcc_lo, 0, v100
	s_or_b32 s1, vcc_lo, s1
	s_waitcnt vmcnt(0) lgkmcnt(0)
	v_fma_f64 v[1:2], v[101:102], v[103:104], v[1:2]
	s_and_not1_b32 exec_lo, exec_lo, s1
	s_cbranch_execnz .LBB104_175
; %bb.176:
	s_or_b32 exec_lo, exec_lo, s1
.LBB104_177:
	s_delay_alu instid0(SALU_CYCLE_1)
	s_or_b32 exec_lo, exec_lo, s4
	v_mov_b32_e32 v99, 0
	ds_load_b64 v[99:100], v99 offset:176
	s_waitcnt lgkmcnt(0)
	v_mul_f64 v[1:2], v[1:2], v[99:100]
	scratch_store_b64 off, v[1:2], off offset:176
.LBB104_178:
	s_or_b32 exec_lo, exec_lo, s2
	scratch_load_b64 v[1:2], off, off offset:168
	v_cmp_lt_u32_e64 s1, 21, v0
	s_waitcnt vmcnt(0)
	ds_store_b64 v3, v[1:2]
	s_waitcnt lgkmcnt(0)
	s_waitcnt_vscnt null, 0x0
	s_barrier
	buffer_gl0_inv
	s_and_saveexec_b32 s2, s1
	s_cbranch_execz .LBB104_188
; %bb.179:
	s_and_not1_b32 vcc_lo, exec_lo, s3
	s_cbranch_vccnz .LBB104_181
; %bb.180:
	scratch_load_b64 v[1:2], v4, off
	ds_load_b64 v[99:100], v3
	s_waitcnt vmcnt(0) lgkmcnt(0)
	v_mul_f64 v[1:2], v[1:2], v[99:100]
	s_cbranch_execz .LBB104_182
	s_branch .LBB104_183
.LBB104_181:
                                        ; implicit-def: $vgpr1_vgpr2
.LBB104_182:
	ds_load_b64 v[1:2], v3
.LBB104_183:
	s_and_saveexec_b32 s4, s0
	s_cbranch_execz .LBB104_187
; %bb.184:
	v_subrev_nc_u32_e32 v99, 22, v0
	s_movk_i32 s5, 0x200
	s_mov_b32 s0, 0
.LBB104_185:                            ; =>This Inner Loop Header: Depth=1
	scratch_load_b64 v[100:101], v98, off
	v_dual_mov_b32 v102, s5 :: v_dual_add_nc_u32 v99, -1, v99
	v_add_nc_u32_e32 v98, 8, v98
	s_add_i32 s5, s5, 8
	ds_load_b64 v[102:103], v102
	v_cmp_eq_u32_e32 vcc_lo, 0, v99
	s_or_b32 s0, vcc_lo, s0
	s_waitcnt vmcnt(0) lgkmcnt(0)
	v_fma_f64 v[1:2], v[100:101], v[102:103], v[1:2]
	s_and_not1_b32 exec_lo, exec_lo, s0
	s_cbranch_execnz .LBB104_185
; %bb.186:
	s_or_b32 exec_lo, exec_lo, s0
.LBB104_187:
	s_delay_alu instid0(SALU_CYCLE_1)
	s_or_b32 exec_lo, exec_lo, s4
	v_mov_b32_e32 v98, 0
	ds_load_b64 v[98:99], v98 offset:168
	s_waitcnt lgkmcnt(0)
	v_mul_f64 v[1:2], v[1:2], v[98:99]
	scratch_store_b64 off, v[1:2], off offset:168
.LBB104_188:
	s_or_b32 exec_lo, exec_lo, s2
	scratch_load_b64 v[1:2], off, off offset:160
	v_cmp_lt_u32_e64 s0, 20, v0
	s_waitcnt vmcnt(0)
	ds_store_b64 v3, v[1:2]
	s_waitcnt lgkmcnt(0)
	s_waitcnt_vscnt null, 0x0
	s_barrier
	buffer_gl0_inv
	s_and_saveexec_b32 s2, s0
	s_cbranch_execz .LBB104_198
; %bb.189:
	s_and_not1_b32 vcc_lo, exec_lo, s3
	s_cbranch_vccnz .LBB104_191
; %bb.190:
	scratch_load_b64 v[1:2], v4, off
	ds_load_b64 v[98:99], v3
	s_waitcnt vmcnt(0) lgkmcnt(0)
	v_mul_f64 v[1:2], v[1:2], v[98:99]
	s_cbranch_execz .LBB104_192
	s_branch .LBB104_193
.LBB104_191:
                                        ; implicit-def: $vgpr1_vgpr2
.LBB104_192:
	ds_load_b64 v[1:2], v3
.LBB104_193:
	s_and_saveexec_b32 s4, s1
	s_cbranch_execz .LBB104_197
; %bb.194:
	v_mov_b32_e32 v98, 0
	v_subrev_nc_u32_e32 v99, 21, v0
	s_movk_i32 s5, 0x1f8
	s_mov_b32 s1, 0
	s_delay_alu instid0(VALU_DEP_2)
	v_add_nc_u32_e32 v98, 0xa8, v98
.LBB104_195:                            ; =>This Inner Loop Header: Depth=1
	scratch_load_b64 v[100:101], v98, off
	v_dual_mov_b32 v102, s5 :: v_dual_add_nc_u32 v99, -1, v99
	v_add_nc_u32_e32 v98, 8, v98
	s_add_i32 s5, s5, 8
	ds_load_b64 v[102:103], v102
	v_cmp_eq_u32_e32 vcc_lo, 0, v99
	s_or_b32 s1, vcc_lo, s1
	s_waitcnt vmcnt(0) lgkmcnt(0)
	v_fma_f64 v[1:2], v[100:101], v[102:103], v[1:2]
	s_and_not1_b32 exec_lo, exec_lo, s1
	s_cbranch_execnz .LBB104_195
; %bb.196:
	s_or_b32 exec_lo, exec_lo, s1
.LBB104_197:
	s_delay_alu instid0(SALU_CYCLE_1)
	s_or_b32 exec_lo, exec_lo, s4
	v_mov_b32_e32 v98, 0
	ds_load_b64 v[98:99], v98 offset:160
	s_waitcnt lgkmcnt(0)
	v_mul_f64 v[1:2], v[1:2], v[98:99]
	scratch_store_b64 off, v[1:2], off offset:160
.LBB104_198:
	s_or_b32 exec_lo, exec_lo, s2
	scratch_load_b64 v[1:2], off, off offset:152
	v_cmp_lt_u32_e64 s1, 19, v0
	s_waitcnt vmcnt(0)
	ds_store_b64 v3, v[1:2]
	s_waitcnt lgkmcnt(0)
	s_waitcnt_vscnt null, 0x0
	s_barrier
	buffer_gl0_inv
	s_and_saveexec_b32 s2, s1
	s_cbranch_execz .LBB104_208
; %bb.199:
	s_and_not1_b32 vcc_lo, exec_lo, s3
	s_cbranch_vccnz .LBB104_201
; %bb.200:
	scratch_load_b64 v[1:2], v4, off
	ds_load_b64 v[98:99], v3
	s_waitcnt vmcnt(0) lgkmcnt(0)
	v_mul_f64 v[1:2], v[1:2], v[98:99]
	s_cbranch_execz .LBB104_202
	s_branch .LBB104_203
.LBB104_201:
                                        ; implicit-def: $vgpr1_vgpr2
.LBB104_202:
	ds_load_b64 v[1:2], v3
.LBB104_203:
	s_and_saveexec_b32 s4, s0
	s_cbranch_execz .LBB104_207
; %bb.204:
	v_subrev_nc_u32_e32 v98, 20, v0
	s_movk_i32 s5, 0x1f0
	s_mov_b32 s0, 0
.LBB104_205:                            ; =>This Inner Loop Header: Depth=1
	scratch_load_b64 v[99:100], v97, off
	v_dual_mov_b32 v101, s5 :: v_dual_add_nc_u32 v98, -1, v98
	v_add_nc_u32_e32 v97, 8, v97
	s_add_i32 s5, s5, 8
	ds_load_b64 v[101:102], v101
	v_cmp_eq_u32_e32 vcc_lo, 0, v98
	s_or_b32 s0, vcc_lo, s0
	s_waitcnt vmcnt(0) lgkmcnt(0)
	v_fma_f64 v[1:2], v[99:100], v[101:102], v[1:2]
	s_and_not1_b32 exec_lo, exec_lo, s0
	s_cbranch_execnz .LBB104_205
; %bb.206:
	s_or_b32 exec_lo, exec_lo, s0
.LBB104_207:
	s_delay_alu instid0(SALU_CYCLE_1)
	s_or_b32 exec_lo, exec_lo, s4
	v_mov_b32_e32 v97, 0
	ds_load_b64 v[97:98], v97 offset:152
	s_waitcnt lgkmcnt(0)
	v_mul_f64 v[1:2], v[1:2], v[97:98]
	scratch_store_b64 off, v[1:2], off offset:152
.LBB104_208:
	s_or_b32 exec_lo, exec_lo, s2
	scratch_load_b64 v[1:2], off, off offset:144
	v_cmp_lt_u32_e64 s0, 18, v0
	s_waitcnt vmcnt(0)
	ds_store_b64 v3, v[1:2]
	s_waitcnt lgkmcnt(0)
	s_waitcnt_vscnt null, 0x0
	s_barrier
	buffer_gl0_inv
	s_and_saveexec_b32 s2, s0
	s_cbranch_execz .LBB104_218
; %bb.209:
	s_and_not1_b32 vcc_lo, exec_lo, s3
	s_cbranch_vccnz .LBB104_211
; %bb.210:
	scratch_load_b64 v[1:2], v4, off
	ds_load_b64 v[97:98], v3
	s_waitcnt vmcnt(0) lgkmcnt(0)
	v_mul_f64 v[1:2], v[1:2], v[97:98]
	s_cbranch_execz .LBB104_212
	s_branch .LBB104_213
.LBB104_211:
                                        ; implicit-def: $vgpr1_vgpr2
.LBB104_212:
	ds_load_b64 v[1:2], v3
.LBB104_213:
	s_and_saveexec_b32 s4, s1
	s_cbranch_execz .LBB104_217
; %bb.214:
	v_mov_b32_e32 v97, 0
	v_subrev_nc_u32_e32 v98, 19, v0
	s_movk_i32 s5, 0x1e8
	s_mov_b32 s1, 0
	s_delay_alu instid0(VALU_DEP_2)
	v_add_nc_u32_e32 v97, 0x98, v97
.LBB104_215:                            ; =>This Inner Loop Header: Depth=1
	scratch_load_b64 v[99:100], v97, off
	v_dual_mov_b32 v101, s5 :: v_dual_add_nc_u32 v98, -1, v98
	v_add_nc_u32_e32 v97, 8, v97
	s_add_i32 s5, s5, 8
	ds_load_b64 v[101:102], v101
	v_cmp_eq_u32_e32 vcc_lo, 0, v98
	s_or_b32 s1, vcc_lo, s1
	s_waitcnt vmcnt(0) lgkmcnt(0)
	v_fma_f64 v[1:2], v[99:100], v[101:102], v[1:2]
	s_and_not1_b32 exec_lo, exec_lo, s1
	s_cbranch_execnz .LBB104_215
; %bb.216:
	s_or_b32 exec_lo, exec_lo, s1
.LBB104_217:
	s_delay_alu instid0(SALU_CYCLE_1)
	s_or_b32 exec_lo, exec_lo, s4
	v_mov_b32_e32 v97, 0
	ds_load_b64 v[97:98], v97 offset:144
	s_waitcnt lgkmcnt(0)
	v_mul_f64 v[1:2], v[1:2], v[97:98]
	scratch_store_b64 off, v[1:2], off offset:144
.LBB104_218:
	s_or_b32 exec_lo, exec_lo, s2
	scratch_load_b64 v[1:2], off, off offset:136
	v_cmp_lt_u32_e64 s1, 17, v0
	s_waitcnt vmcnt(0)
	ds_store_b64 v3, v[1:2]
	s_waitcnt lgkmcnt(0)
	s_waitcnt_vscnt null, 0x0
	s_barrier
	buffer_gl0_inv
	s_and_saveexec_b32 s2, s1
	s_cbranch_execz .LBB104_228
; %bb.219:
	s_and_not1_b32 vcc_lo, exec_lo, s3
	s_cbranch_vccnz .LBB104_221
; %bb.220:
	scratch_load_b64 v[1:2], v4, off
	ds_load_b64 v[97:98], v3
	s_waitcnt vmcnt(0) lgkmcnt(0)
	v_mul_f64 v[1:2], v[1:2], v[97:98]
	s_cbranch_execz .LBB104_222
	s_branch .LBB104_223
.LBB104_221:
                                        ; implicit-def: $vgpr1_vgpr2
.LBB104_222:
	ds_load_b64 v[1:2], v3
.LBB104_223:
	s_and_saveexec_b32 s4, s0
	s_cbranch_execz .LBB104_227
; %bb.224:
	v_subrev_nc_u32_e32 v97, 18, v0
	s_movk_i32 s5, 0x1e0
	s_mov_b32 s0, 0
.LBB104_225:                            ; =>This Inner Loop Header: Depth=1
	scratch_load_b64 v[98:99], v96, off
	v_dual_mov_b32 v100, s5 :: v_dual_add_nc_u32 v97, -1, v97
	v_add_nc_u32_e32 v96, 8, v96
	s_add_i32 s5, s5, 8
	ds_load_b64 v[100:101], v100
	v_cmp_eq_u32_e32 vcc_lo, 0, v97
	s_or_b32 s0, vcc_lo, s0
	s_waitcnt vmcnt(0) lgkmcnt(0)
	v_fma_f64 v[1:2], v[98:99], v[100:101], v[1:2]
	s_and_not1_b32 exec_lo, exec_lo, s0
	s_cbranch_execnz .LBB104_225
; %bb.226:
	s_or_b32 exec_lo, exec_lo, s0
.LBB104_227:
	s_delay_alu instid0(SALU_CYCLE_1)
	s_or_b32 exec_lo, exec_lo, s4
	v_mov_b32_e32 v96, 0
	ds_load_b64 v[96:97], v96 offset:136
	s_waitcnt lgkmcnt(0)
	v_mul_f64 v[1:2], v[1:2], v[96:97]
	scratch_store_b64 off, v[1:2], off offset:136
.LBB104_228:
	s_or_b32 exec_lo, exec_lo, s2
	scratch_load_b64 v[1:2], off, off offset:128
	v_cmp_lt_u32_e64 s0, 16, v0
	s_waitcnt vmcnt(0)
	ds_store_b64 v3, v[1:2]
	s_waitcnt lgkmcnt(0)
	s_waitcnt_vscnt null, 0x0
	s_barrier
	buffer_gl0_inv
	s_and_saveexec_b32 s2, s0
	s_cbranch_execz .LBB104_238
; %bb.229:
	s_and_not1_b32 vcc_lo, exec_lo, s3
	s_cbranch_vccnz .LBB104_231
; %bb.230:
	scratch_load_b64 v[1:2], v4, off
	ds_load_b64 v[96:97], v3
	s_waitcnt vmcnt(0) lgkmcnt(0)
	v_mul_f64 v[1:2], v[1:2], v[96:97]
	s_cbranch_execz .LBB104_232
	s_branch .LBB104_233
.LBB104_231:
                                        ; implicit-def: $vgpr1_vgpr2
.LBB104_232:
	ds_load_b64 v[1:2], v3
.LBB104_233:
	s_and_saveexec_b32 s4, s1
	s_cbranch_execz .LBB104_237
; %bb.234:
	v_mov_b32_e32 v96, 0
	v_subrev_nc_u32_e32 v97, 17, v0
	s_movk_i32 s5, 0x1d8
	s_mov_b32 s1, 0
	s_delay_alu instid0(VALU_DEP_2)
	v_add_nc_u32_e32 v96, 0x88, v96
.LBB104_235:                            ; =>This Inner Loop Header: Depth=1
	scratch_load_b64 v[98:99], v96, off
	v_dual_mov_b32 v100, s5 :: v_dual_add_nc_u32 v97, -1, v97
	v_add_nc_u32_e32 v96, 8, v96
	s_add_i32 s5, s5, 8
	ds_load_b64 v[100:101], v100
	v_cmp_eq_u32_e32 vcc_lo, 0, v97
	s_or_b32 s1, vcc_lo, s1
	s_waitcnt vmcnt(0) lgkmcnt(0)
	v_fma_f64 v[1:2], v[98:99], v[100:101], v[1:2]
	s_and_not1_b32 exec_lo, exec_lo, s1
	s_cbranch_execnz .LBB104_235
; %bb.236:
	s_or_b32 exec_lo, exec_lo, s1
.LBB104_237:
	s_delay_alu instid0(SALU_CYCLE_1)
	s_or_b32 exec_lo, exec_lo, s4
	v_mov_b32_e32 v96, 0
	ds_load_b64 v[96:97], v96 offset:128
	s_waitcnt lgkmcnt(0)
	v_mul_f64 v[1:2], v[1:2], v[96:97]
	scratch_store_b64 off, v[1:2], off offset:128
.LBB104_238:
	s_or_b32 exec_lo, exec_lo, s2
	scratch_load_b64 v[1:2], off, off offset:120
	v_cmp_lt_u32_e64 s1, 15, v0
	s_waitcnt vmcnt(0)
	ds_store_b64 v3, v[1:2]
	s_waitcnt lgkmcnt(0)
	s_waitcnt_vscnt null, 0x0
	s_barrier
	buffer_gl0_inv
	s_and_saveexec_b32 s2, s1
	s_cbranch_execz .LBB104_248
; %bb.239:
	s_and_not1_b32 vcc_lo, exec_lo, s3
	s_cbranch_vccnz .LBB104_241
; %bb.240:
	scratch_load_b64 v[1:2], v4, off
	ds_load_b64 v[96:97], v3
	s_waitcnt vmcnt(0) lgkmcnt(0)
	v_mul_f64 v[1:2], v[1:2], v[96:97]
	s_cbranch_execz .LBB104_242
	s_branch .LBB104_243
.LBB104_241:
                                        ; implicit-def: $vgpr1_vgpr2
.LBB104_242:
	ds_load_b64 v[1:2], v3
.LBB104_243:
	s_and_saveexec_b32 s4, s0
	s_cbranch_execz .LBB104_247
; %bb.244:
	v_add_nc_u32_e32 v96, -16, v0
	s_movk_i32 s5, 0x1d0
	s_mov_b32 s0, 0
.LBB104_245:                            ; =>This Inner Loop Header: Depth=1
	scratch_load_b64 v[97:98], v12, off
	v_dual_mov_b32 v99, s5 :: v_dual_add_nc_u32 v96, -1, v96
	v_add_nc_u32_e32 v12, 8, v12
	s_add_i32 s5, s5, 8
	ds_load_b64 v[99:100], v99
	v_cmp_eq_u32_e32 vcc_lo, 0, v96
	s_or_b32 s0, vcc_lo, s0
	s_waitcnt vmcnt(0) lgkmcnt(0)
	v_fma_f64 v[1:2], v[97:98], v[99:100], v[1:2]
	s_and_not1_b32 exec_lo, exec_lo, s0
	s_cbranch_execnz .LBB104_245
; %bb.246:
	s_or_b32 exec_lo, exec_lo, s0
.LBB104_247:
	s_delay_alu instid0(SALU_CYCLE_1)
	s_or_b32 exec_lo, exec_lo, s4
	v_mov_b32_e32 v12, 0
	ds_load_b64 v[96:97], v12 offset:120
	s_waitcnt lgkmcnt(0)
	v_mul_f64 v[1:2], v[1:2], v[96:97]
	scratch_store_b64 off, v[1:2], off offset:120
.LBB104_248:
	s_or_b32 exec_lo, exec_lo, s2
	scratch_load_b64 v[1:2], off, off offset:112
	v_cmp_lt_u32_e64 s0, 14, v0
	s_waitcnt vmcnt(0)
	ds_store_b64 v3, v[1:2]
	s_waitcnt lgkmcnt(0)
	s_waitcnt_vscnt null, 0x0
	s_barrier
	buffer_gl0_inv
	s_and_saveexec_b32 s2, s0
	s_cbranch_execz .LBB104_258
; %bb.249:
	s_and_not1_b32 vcc_lo, exec_lo, s3
	s_cbranch_vccnz .LBB104_251
; %bb.250:
	scratch_load_b64 v[1:2], v4, off
	ds_load_b64 v[96:97], v3
	s_waitcnt vmcnt(0) lgkmcnt(0)
	v_mul_f64 v[1:2], v[1:2], v[96:97]
	s_cbranch_execz .LBB104_252
	s_branch .LBB104_253
.LBB104_251:
                                        ; implicit-def: $vgpr1_vgpr2
.LBB104_252:
	ds_load_b64 v[1:2], v3
.LBB104_253:
	s_and_saveexec_b32 s4, s1
	s_cbranch_execz .LBB104_257
; %bb.254:
	v_mov_b32_e32 v12, 0
	v_add_nc_u32_e32 v96, -15, v0
	s_movk_i32 s5, 0x1c8
	s_mov_b32 s1, 0
	s_delay_alu instid0(VALU_DEP_2)
	v_add_nc_u32_e32 v12, 0x78, v12
.LBB104_255:                            ; =>This Inner Loop Header: Depth=1
	scratch_load_b64 v[97:98], v12, off
	v_dual_mov_b32 v99, s5 :: v_dual_add_nc_u32 v96, -1, v96
	v_add_nc_u32_e32 v12, 8, v12
	s_add_i32 s5, s5, 8
	ds_load_b64 v[99:100], v99
	v_cmp_eq_u32_e32 vcc_lo, 0, v96
	s_or_b32 s1, vcc_lo, s1
	s_waitcnt vmcnt(0) lgkmcnt(0)
	v_fma_f64 v[1:2], v[97:98], v[99:100], v[1:2]
	s_and_not1_b32 exec_lo, exec_lo, s1
	s_cbranch_execnz .LBB104_255
; %bb.256:
	s_or_b32 exec_lo, exec_lo, s1
.LBB104_257:
	s_delay_alu instid0(SALU_CYCLE_1)
	s_or_b32 exec_lo, exec_lo, s4
	v_mov_b32_e32 v12, 0
	ds_load_b64 v[96:97], v12 offset:112
	s_waitcnt lgkmcnt(0)
	v_mul_f64 v[1:2], v[1:2], v[96:97]
	scratch_store_b64 off, v[1:2], off offset:112
.LBB104_258:
	s_or_b32 exec_lo, exec_lo, s2
	scratch_load_b64 v[1:2], off, off offset:104
	v_cmp_lt_u32_e64 s1, 13, v0
	s_waitcnt vmcnt(0)
	ds_store_b64 v3, v[1:2]
	s_waitcnt lgkmcnt(0)
	s_waitcnt_vscnt null, 0x0
	s_barrier
	buffer_gl0_inv
	s_and_saveexec_b32 s2, s1
	s_cbranch_execz .LBB104_268
; %bb.259:
	s_and_not1_b32 vcc_lo, exec_lo, s3
	s_cbranch_vccnz .LBB104_261
; %bb.260:
	scratch_load_b64 v[1:2], v4, off
	ds_load_b64 v[96:97], v3
	s_waitcnt vmcnt(0) lgkmcnt(0)
	v_mul_f64 v[1:2], v[1:2], v[96:97]
	s_cbranch_execz .LBB104_262
	s_branch .LBB104_263
.LBB104_261:
                                        ; implicit-def: $vgpr1_vgpr2
.LBB104_262:
	ds_load_b64 v[1:2], v3
.LBB104_263:
	s_and_saveexec_b32 s4, s0
	s_cbranch_execz .LBB104_267
; %bb.264:
	v_add_nc_u32_e32 v12, -14, v0
	s_movk_i32 s5, 0x1c0
	s_mov_b32 s0, 0
.LBB104_265:                            ; =>This Inner Loop Header: Depth=1
	scratch_load_b64 v[96:97], v11, off
	v_dual_mov_b32 v98, s5 :: v_dual_add_nc_u32 v11, 8, v11
	v_add_nc_u32_e32 v12, -1, v12
	s_add_i32 s5, s5, 8
	ds_load_b64 v[98:99], v98
	v_cmp_eq_u32_e32 vcc_lo, 0, v12
	s_or_b32 s0, vcc_lo, s0
	s_waitcnt vmcnt(0) lgkmcnt(0)
	v_fma_f64 v[1:2], v[96:97], v[98:99], v[1:2]
	s_and_not1_b32 exec_lo, exec_lo, s0
	s_cbranch_execnz .LBB104_265
; %bb.266:
	s_or_b32 exec_lo, exec_lo, s0
.LBB104_267:
	s_delay_alu instid0(SALU_CYCLE_1)
	s_or_b32 exec_lo, exec_lo, s4
	v_mov_b32_e32 v11, 0
	ds_load_b64 v[11:12], v11 offset:104
	s_waitcnt lgkmcnt(0)
	v_mul_f64 v[1:2], v[1:2], v[11:12]
	scratch_store_b64 off, v[1:2], off offset:104
.LBB104_268:
	s_or_b32 exec_lo, exec_lo, s2
	scratch_load_b64 v[1:2], off, off offset:96
	v_cmp_lt_u32_e64 s0, 12, v0
	s_waitcnt vmcnt(0)
	ds_store_b64 v3, v[1:2]
	s_waitcnt lgkmcnt(0)
	s_waitcnt_vscnt null, 0x0
	s_barrier
	buffer_gl0_inv
	s_and_saveexec_b32 s2, s0
	s_cbranch_execz .LBB104_278
; %bb.269:
	s_and_not1_b32 vcc_lo, exec_lo, s3
	s_cbranch_vccnz .LBB104_271
; %bb.270:
	scratch_load_b64 v[1:2], v4, off
	ds_load_b64 v[11:12], v3
	s_waitcnt vmcnt(0) lgkmcnt(0)
	v_mul_f64 v[1:2], v[1:2], v[11:12]
	s_cbranch_execz .LBB104_272
	s_branch .LBB104_273
.LBB104_271:
                                        ; implicit-def: $vgpr1_vgpr2
.LBB104_272:
	ds_load_b64 v[1:2], v3
.LBB104_273:
	s_and_saveexec_b32 s4, s1
	s_cbranch_execz .LBB104_277
; %bb.274:
	v_dual_mov_b32 v11, 0 :: v_dual_add_nc_u32 v12, -13, v0
	s_movk_i32 s5, 0x1b8
	s_mov_b32 s1, 0
	s_delay_alu instid0(VALU_DEP_1)
	v_add_nc_u32_e32 v11, 0x68, v11
.LBB104_275:                            ; =>This Inner Loop Header: Depth=1
	scratch_load_b64 v[96:97], v11, off
	v_dual_mov_b32 v98, s5 :: v_dual_add_nc_u32 v11, 8, v11
	v_add_nc_u32_e32 v12, -1, v12
	s_add_i32 s5, s5, 8
	ds_load_b64 v[98:99], v98
	v_cmp_eq_u32_e32 vcc_lo, 0, v12
	s_or_b32 s1, vcc_lo, s1
	s_waitcnt vmcnt(0) lgkmcnt(0)
	v_fma_f64 v[1:2], v[96:97], v[98:99], v[1:2]
	s_and_not1_b32 exec_lo, exec_lo, s1
	s_cbranch_execnz .LBB104_275
; %bb.276:
	s_or_b32 exec_lo, exec_lo, s1
.LBB104_277:
	s_delay_alu instid0(SALU_CYCLE_1)
	s_or_b32 exec_lo, exec_lo, s4
	v_mov_b32_e32 v11, 0
	ds_load_b64 v[11:12], v11 offset:96
	s_waitcnt lgkmcnt(0)
	v_mul_f64 v[1:2], v[1:2], v[11:12]
	scratch_store_b64 off, v[1:2], off offset:96
.LBB104_278:
	s_or_b32 exec_lo, exec_lo, s2
	scratch_load_b64 v[1:2], off, off offset:88
	v_cmp_lt_u32_e64 s1, 11, v0
	s_waitcnt vmcnt(0)
	ds_store_b64 v3, v[1:2]
	s_waitcnt lgkmcnt(0)
	s_waitcnt_vscnt null, 0x0
	s_barrier
	buffer_gl0_inv
	s_and_saveexec_b32 s2, s1
	s_cbranch_execz .LBB104_288
; %bb.279:
	s_and_not1_b32 vcc_lo, exec_lo, s3
	s_cbranch_vccnz .LBB104_281
; %bb.280:
	scratch_load_b64 v[1:2], v4, off
	ds_load_b64 v[11:12], v3
	s_waitcnt vmcnt(0) lgkmcnt(0)
	v_mul_f64 v[1:2], v[1:2], v[11:12]
	s_cbranch_execz .LBB104_282
	s_branch .LBB104_283
.LBB104_281:
                                        ; implicit-def: $vgpr1_vgpr2
.LBB104_282:
	ds_load_b64 v[1:2], v3
.LBB104_283:
	s_and_saveexec_b32 s4, s0
	s_cbranch_execz .LBB104_287
; %bb.284:
	v_add_nc_u32_e32 v11, -12, v0
	s_movk_i32 s5, 0x1b0
	s_mov_b32 s0, 0
.LBB104_285:                            ; =>This Inner Loop Header: Depth=1
	scratch_load_b64 v[96:97], v10, off
	v_dual_mov_b32 v12, s5 :: v_dual_add_nc_u32 v11, -1, v11
	v_add_nc_u32_e32 v10, 8, v10
	s_add_i32 s5, s5, 8
	ds_load_b64 v[98:99], v12
	v_cmp_eq_u32_e32 vcc_lo, 0, v11
	s_or_b32 s0, vcc_lo, s0
	s_waitcnt vmcnt(0) lgkmcnt(0)
	v_fma_f64 v[1:2], v[96:97], v[98:99], v[1:2]
	s_and_not1_b32 exec_lo, exec_lo, s0
	s_cbranch_execnz .LBB104_285
; %bb.286:
	s_or_b32 exec_lo, exec_lo, s0
.LBB104_287:
	s_delay_alu instid0(SALU_CYCLE_1)
	s_or_b32 exec_lo, exec_lo, s4
	v_mov_b32_e32 v10, 0
	ds_load_b64 v[10:11], v10 offset:88
	s_waitcnt lgkmcnt(0)
	v_mul_f64 v[1:2], v[1:2], v[10:11]
	scratch_store_b64 off, v[1:2], off offset:88
.LBB104_288:
	s_or_b32 exec_lo, exec_lo, s2
	scratch_load_b64 v[1:2], off, off offset:80
	v_cmp_lt_u32_e64 s0, 10, v0
	s_waitcnt vmcnt(0)
	ds_store_b64 v3, v[1:2]
	s_waitcnt lgkmcnt(0)
	s_waitcnt_vscnt null, 0x0
	s_barrier
	buffer_gl0_inv
	s_and_saveexec_b32 s2, s0
	s_cbranch_execz .LBB104_298
; %bb.289:
	s_and_not1_b32 vcc_lo, exec_lo, s3
	s_cbranch_vccnz .LBB104_291
; %bb.290:
	scratch_load_b64 v[1:2], v4, off
	ds_load_b64 v[10:11], v3
	s_waitcnt vmcnt(0) lgkmcnt(0)
	v_mul_f64 v[1:2], v[1:2], v[10:11]
	s_cbranch_execz .LBB104_292
	s_branch .LBB104_293
.LBB104_291:
                                        ; implicit-def: $vgpr1_vgpr2
.LBB104_292:
	ds_load_b64 v[1:2], v3
.LBB104_293:
	s_and_saveexec_b32 s4, s1
	s_cbranch_execz .LBB104_297
; %bb.294:
	v_dual_mov_b32 v10, 0 :: v_dual_add_nc_u32 v11, -11, v0
	s_movk_i32 s5, 0x1a8
	s_mov_b32 s1, 0
	s_delay_alu instid0(VALU_DEP_1)
	v_add_nc_u32_e32 v10, 0x58, v10
.LBB104_295:                            ; =>This Inner Loop Header: Depth=1
	scratch_load_b64 v[96:97], v10, off
	v_dual_mov_b32 v12, s5 :: v_dual_add_nc_u32 v11, -1, v11
	v_add_nc_u32_e32 v10, 8, v10
	s_add_i32 s5, s5, 8
	ds_load_b64 v[98:99], v12
	v_cmp_eq_u32_e32 vcc_lo, 0, v11
	s_or_b32 s1, vcc_lo, s1
	s_waitcnt vmcnt(0) lgkmcnt(0)
	v_fma_f64 v[1:2], v[96:97], v[98:99], v[1:2]
	s_and_not1_b32 exec_lo, exec_lo, s1
	s_cbranch_execnz .LBB104_295
; %bb.296:
	s_or_b32 exec_lo, exec_lo, s1
.LBB104_297:
	s_delay_alu instid0(SALU_CYCLE_1)
	s_or_b32 exec_lo, exec_lo, s4
	v_mov_b32_e32 v10, 0
	ds_load_b64 v[10:11], v10 offset:80
	s_waitcnt lgkmcnt(0)
	v_mul_f64 v[1:2], v[1:2], v[10:11]
	scratch_store_b64 off, v[1:2], off offset:80
.LBB104_298:
	s_or_b32 exec_lo, exec_lo, s2
	scratch_load_b64 v[1:2], off, off offset:72
	v_cmp_lt_u32_e64 s1, 9, v0
	s_waitcnt vmcnt(0)
	ds_store_b64 v3, v[1:2]
	s_waitcnt lgkmcnt(0)
	s_waitcnt_vscnt null, 0x0
	s_barrier
	buffer_gl0_inv
	s_and_saveexec_b32 s2, s1
	s_cbranch_execz .LBB104_308
; %bb.299:
	s_and_not1_b32 vcc_lo, exec_lo, s3
	s_cbranch_vccnz .LBB104_301
; %bb.300:
	scratch_load_b64 v[1:2], v4, off
	ds_load_b64 v[10:11], v3
	s_waitcnt vmcnt(0) lgkmcnt(0)
	v_mul_f64 v[1:2], v[1:2], v[10:11]
	s_cbranch_execz .LBB104_302
	s_branch .LBB104_303
.LBB104_301:
                                        ; implicit-def: $vgpr1_vgpr2
.LBB104_302:
	ds_load_b64 v[1:2], v3
.LBB104_303:
	s_and_saveexec_b32 s4, s0
	s_cbranch_execz .LBB104_307
; %bb.304:
	v_add_nc_u32_e32 v10, -10, v0
	s_movk_i32 s5, 0x1a0
	s_mov_b32 s0, 0
.LBB104_305:                            ; =>This Inner Loop Header: Depth=1
	scratch_load_b64 v[11:12], v9, off
	v_dual_mov_b32 v96, s5 :: v_dual_add_nc_u32 v9, 8, v9
	v_add_nc_u32_e32 v10, -1, v10
	s_add_i32 s5, s5, 8
	ds_load_b64 v[96:97], v96
	v_cmp_eq_u32_e32 vcc_lo, 0, v10
	s_or_b32 s0, vcc_lo, s0
	s_waitcnt vmcnt(0) lgkmcnt(0)
	v_fma_f64 v[1:2], v[11:12], v[96:97], v[1:2]
	s_and_not1_b32 exec_lo, exec_lo, s0
	s_cbranch_execnz .LBB104_305
; %bb.306:
	s_or_b32 exec_lo, exec_lo, s0
.LBB104_307:
	s_delay_alu instid0(SALU_CYCLE_1)
	s_or_b32 exec_lo, exec_lo, s4
	v_mov_b32_e32 v9, 0
	ds_load_b64 v[9:10], v9 offset:72
	s_waitcnt lgkmcnt(0)
	v_mul_f64 v[1:2], v[1:2], v[9:10]
	scratch_store_b64 off, v[1:2], off offset:72
.LBB104_308:
	s_or_b32 exec_lo, exec_lo, s2
	scratch_load_b64 v[1:2], off, off offset:64
	v_cmp_lt_u32_e64 s0, 8, v0
	s_waitcnt vmcnt(0)
	ds_store_b64 v3, v[1:2]
	s_waitcnt lgkmcnt(0)
	s_waitcnt_vscnt null, 0x0
	s_barrier
	buffer_gl0_inv
	s_and_saveexec_b32 s2, s0
	s_cbranch_execz .LBB104_318
; %bb.309:
	s_and_not1_b32 vcc_lo, exec_lo, s3
	s_cbranch_vccnz .LBB104_311
; %bb.310:
	scratch_load_b64 v[1:2], v4, off
	ds_load_b64 v[9:10], v3
	s_waitcnt vmcnt(0) lgkmcnt(0)
	v_mul_f64 v[1:2], v[1:2], v[9:10]
	s_cbranch_execz .LBB104_312
	s_branch .LBB104_313
.LBB104_311:
                                        ; implicit-def: $vgpr1_vgpr2
.LBB104_312:
	ds_load_b64 v[1:2], v3
.LBB104_313:
	s_and_saveexec_b32 s4, s1
	s_cbranch_execz .LBB104_317
; %bb.314:
	v_dual_mov_b32 v9, 0 :: v_dual_add_nc_u32 v10, -9, v0
	s_movk_i32 s5, 0x198
	s_mov_b32 s1, 0
	s_delay_alu instid0(VALU_DEP_1)
	v_add_nc_u32_e32 v9, 0x48, v9
.LBB104_315:                            ; =>This Inner Loop Header: Depth=1
	scratch_load_b64 v[11:12], v9, off
	v_dual_mov_b32 v96, s5 :: v_dual_add_nc_u32 v9, 8, v9
	v_add_nc_u32_e32 v10, -1, v10
	s_add_i32 s5, s5, 8
	ds_load_b64 v[96:97], v96
	v_cmp_eq_u32_e32 vcc_lo, 0, v10
	s_or_b32 s1, vcc_lo, s1
	s_waitcnt vmcnt(0) lgkmcnt(0)
	v_fma_f64 v[1:2], v[11:12], v[96:97], v[1:2]
	s_and_not1_b32 exec_lo, exec_lo, s1
	s_cbranch_execnz .LBB104_315
; %bb.316:
	s_or_b32 exec_lo, exec_lo, s1
.LBB104_317:
	s_delay_alu instid0(SALU_CYCLE_1)
	s_or_b32 exec_lo, exec_lo, s4
	v_mov_b32_e32 v9, 0
	ds_load_b64 v[9:10], v9 offset:64
	s_waitcnt lgkmcnt(0)
	v_mul_f64 v[1:2], v[1:2], v[9:10]
	scratch_store_b64 off, v[1:2], off offset:64
.LBB104_318:
	s_or_b32 exec_lo, exec_lo, s2
	scratch_load_b64 v[1:2], off, off offset:56
	v_cmp_lt_u32_e64 s1, 7, v0
	s_waitcnt vmcnt(0)
	ds_store_b64 v3, v[1:2]
	s_waitcnt lgkmcnt(0)
	s_waitcnt_vscnt null, 0x0
	s_barrier
	buffer_gl0_inv
	s_and_saveexec_b32 s2, s1
	s_cbranch_execz .LBB104_328
; %bb.319:
	s_and_not1_b32 vcc_lo, exec_lo, s3
	s_cbranch_vccnz .LBB104_321
; %bb.320:
	scratch_load_b64 v[1:2], v4, off
	ds_load_b64 v[9:10], v3
	s_waitcnt vmcnt(0) lgkmcnt(0)
	v_mul_f64 v[1:2], v[1:2], v[9:10]
	s_cbranch_execz .LBB104_322
	s_branch .LBB104_323
.LBB104_321:
                                        ; implicit-def: $vgpr1_vgpr2
.LBB104_322:
	ds_load_b64 v[1:2], v3
.LBB104_323:
	s_and_saveexec_b32 s4, s0
	s_cbranch_execz .LBB104_327
; %bb.324:
	v_add_nc_u32_e32 v9, -8, v0
	s_movk_i32 s5, 0x190
	s_mov_b32 s0, 0
.LBB104_325:                            ; =>This Inner Loop Header: Depth=1
	scratch_load_b64 v[10:11], v8, off
	v_dual_mov_b32 v12, s5 :: v_dual_add_nc_u32 v9, -1, v9
	v_add_nc_u32_e32 v8, 8, v8
	s_add_i32 s5, s5, 8
	ds_load_b64 v[96:97], v12
	v_cmp_eq_u32_e32 vcc_lo, 0, v9
	s_or_b32 s0, vcc_lo, s0
	s_waitcnt vmcnt(0) lgkmcnt(0)
	v_fma_f64 v[1:2], v[10:11], v[96:97], v[1:2]
	s_and_not1_b32 exec_lo, exec_lo, s0
	s_cbranch_execnz .LBB104_325
; %bb.326:
	s_or_b32 exec_lo, exec_lo, s0
.LBB104_327:
	s_delay_alu instid0(SALU_CYCLE_1)
	s_or_b32 exec_lo, exec_lo, s4
	v_mov_b32_e32 v8, 0
	ds_load_b64 v[8:9], v8 offset:56
	s_waitcnt lgkmcnt(0)
	v_mul_f64 v[1:2], v[1:2], v[8:9]
	scratch_store_b64 off, v[1:2], off offset:56
.LBB104_328:
	s_or_b32 exec_lo, exec_lo, s2
	scratch_load_b64 v[1:2], off, off offset:48
	v_cmp_lt_u32_e64 s0, 6, v0
	s_waitcnt vmcnt(0)
	ds_store_b64 v3, v[1:2]
	s_waitcnt lgkmcnt(0)
	s_waitcnt_vscnt null, 0x0
	s_barrier
	buffer_gl0_inv
	s_and_saveexec_b32 s2, s0
	s_cbranch_execz .LBB104_338
; %bb.329:
	s_and_not1_b32 vcc_lo, exec_lo, s3
	s_cbranch_vccnz .LBB104_331
; %bb.330:
	scratch_load_b64 v[1:2], v4, off
	ds_load_b64 v[8:9], v3
	s_waitcnt vmcnt(0) lgkmcnt(0)
	v_mul_f64 v[1:2], v[1:2], v[8:9]
	s_cbranch_execz .LBB104_332
	s_branch .LBB104_333
.LBB104_331:
                                        ; implicit-def: $vgpr1_vgpr2
.LBB104_332:
	ds_load_b64 v[1:2], v3
.LBB104_333:
	s_and_saveexec_b32 s4, s1
	s_cbranch_execz .LBB104_337
; %bb.334:
	v_add_nc_u32_e64 v8, 0, 56
	v_add_nc_u32_e32 v9, -7, v0
	s_movk_i32 s5, 0x188
	s_mov_b32 s1, 0
.LBB104_335:                            ; =>This Inner Loop Header: Depth=1
	scratch_load_b64 v[10:11], v8, off
	v_dual_mov_b32 v12, s5 :: v_dual_add_nc_u32 v9, -1, v9
	v_add_nc_u32_e32 v8, 8, v8
	s_add_i32 s5, s5, 8
	ds_load_b64 v[96:97], v12
	v_cmp_eq_u32_e32 vcc_lo, 0, v9
	s_or_b32 s1, vcc_lo, s1
	s_waitcnt vmcnt(0) lgkmcnt(0)
	v_fma_f64 v[1:2], v[10:11], v[96:97], v[1:2]
	s_and_not1_b32 exec_lo, exec_lo, s1
	s_cbranch_execnz .LBB104_335
; %bb.336:
	s_or_b32 exec_lo, exec_lo, s1
.LBB104_337:
	s_delay_alu instid0(SALU_CYCLE_1)
	s_or_b32 exec_lo, exec_lo, s4
	v_mov_b32_e32 v8, 0
	ds_load_b64 v[8:9], v8 offset:48
	s_waitcnt lgkmcnt(0)
	v_mul_f64 v[1:2], v[1:2], v[8:9]
	scratch_store_b64 off, v[1:2], off offset:48
.LBB104_338:
	s_or_b32 exec_lo, exec_lo, s2
	scratch_load_b64 v[1:2], off, off offset:40
	v_cmp_lt_u32_e64 s1, 5, v0
	s_waitcnt vmcnt(0)
	ds_store_b64 v3, v[1:2]
	s_waitcnt lgkmcnt(0)
	s_waitcnt_vscnt null, 0x0
	s_barrier
	buffer_gl0_inv
	s_and_saveexec_b32 s2, s1
	s_cbranch_execz .LBB104_348
; %bb.339:
	s_and_not1_b32 vcc_lo, exec_lo, s3
	s_cbranch_vccnz .LBB104_341
; %bb.340:
	scratch_load_b64 v[1:2], v4, off
	ds_load_b64 v[8:9], v3
	s_waitcnt vmcnt(0) lgkmcnt(0)
	v_mul_f64 v[1:2], v[1:2], v[8:9]
	s_cbranch_execz .LBB104_342
	s_branch .LBB104_343
.LBB104_341:
                                        ; implicit-def: $vgpr1_vgpr2
.LBB104_342:
	ds_load_b64 v[1:2], v3
.LBB104_343:
	s_and_saveexec_b32 s4, s0
	s_cbranch_execz .LBB104_347
; %bb.344:
	v_add_nc_u32_e32 v8, -6, v0
	s_movk_i32 s5, 0x180
	s_mov_b32 s0, 0
.LBB104_345:                            ; =>This Inner Loop Header: Depth=1
	scratch_load_b64 v[9:10], v7, off
	v_dual_mov_b32 v11, s5 :: v_dual_add_nc_u32 v8, -1, v8
	v_add_nc_u32_e32 v7, 8, v7
	s_add_i32 s5, s5, 8
	ds_load_b64 v[11:12], v11
	v_cmp_eq_u32_e32 vcc_lo, 0, v8
	s_or_b32 s0, vcc_lo, s0
	s_waitcnt vmcnt(0) lgkmcnt(0)
	v_fma_f64 v[1:2], v[9:10], v[11:12], v[1:2]
	s_and_not1_b32 exec_lo, exec_lo, s0
	s_cbranch_execnz .LBB104_345
; %bb.346:
	s_or_b32 exec_lo, exec_lo, s0
.LBB104_347:
	s_delay_alu instid0(SALU_CYCLE_1)
	s_or_b32 exec_lo, exec_lo, s4
	v_mov_b32_e32 v7, 0
	ds_load_b64 v[7:8], v7 offset:40
	s_waitcnt lgkmcnt(0)
	v_mul_f64 v[1:2], v[1:2], v[7:8]
	scratch_store_b64 off, v[1:2], off offset:40
.LBB104_348:
	s_or_b32 exec_lo, exec_lo, s2
	scratch_load_b64 v[1:2], off, off offset:32
	v_cmp_lt_u32_e64 s0, 4, v0
	s_waitcnt vmcnt(0)
	ds_store_b64 v3, v[1:2]
	s_waitcnt lgkmcnt(0)
	s_waitcnt_vscnt null, 0x0
	s_barrier
	buffer_gl0_inv
	s_and_saveexec_b32 s2, s0
	s_cbranch_execz .LBB104_358
; %bb.349:
	s_and_not1_b32 vcc_lo, exec_lo, s3
	s_cbranch_vccnz .LBB104_351
; %bb.350:
	scratch_load_b64 v[1:2], v4, off
	ds_load_b64 v[7:8], v3
	s_waitcnt vmcnt(0) lgkmcnt(0)
	v_mul_f64 v[1:2], v[1:2], v[7:8]
	s_cbranch_execz .LBB104_352
	s_branch .LBB104_353
.LBB104_351:
                                        ; implicit-def: $vgpr1_vgpr2
.LBB104_352:
	ds_load_b64 v[1:2], v3
.LBB104_353:
	s_and_saveexec_b32 s4, s1
	s_cbranch_execz .LBB104_357
; %bb.354:
	v_add_nc_u32_e64 v7, 0, 40
	v_add_nc_u32_e32 v8, -5, v0
	s_movk_i32 s5, 0x178
	s_mov_b32 s1, 0
.LBB104_355:                            ; =>This Inner Loop Header: Depth=1
	scratch_load_b64 v[9:10], v7, off
	v_dual_mov_b32 v11, s5 :: v_dual_add_nc_u32 v8, -1, v8
	v_add_nc_u32_e32 v7, 8, v7
	s_add_i32 s5, s5, 8
	ds_load_b64 v[11:12], v11
	v_cmp_eq_u32_e32 vcc_lo, 0, v8
	s_or_b32 s1, vcc_lo, s1
	s_waitcnt vmcnt(0) lgkmcnt(0)
	v_fma_f64 v[1:2], v[9:10], v[11:12], v[1:2]
	s_and_not1_b32 exec_lo, exec_lo, s1
	s_cbranch_execnz .LBB104_355
; %bb.356:
	s_or_b32 exec_lo, exec_lo, s1
.LBB104_357:
	s_delay_alu instid0(SALU_CYCLE_1)
	s_or_b32 exec_lo, exec_lo, s4
	v_mov_b32_e32 v7, 0
	ds_load_b64 v[7:8], v7 offset:32
	s_waitcnt lgkmcnt(0)
	v_mul_f64 v[1:2], v[1:2], v[7:8]
	scratch_store_b64 off, v[1:2], off offset:32
.LBB104_358:
	s_or_b32 exec_lo, exec_lo, s2
	scratch_load_b64 v[1:2], off, off offset:24
	v_cmp_lt_u32_e64 s1, 3, v0
	s_waitcnt vmcnt(0)
	ds_store_b64 v3, v[1:2]
	s_waitcnt lgkmcnt(0)
	s_waitcnt_vscnt null, 0x0
	s_barrier
	buffer_gl0_inv
	s_and_saveexec_b32 s2, s1
	s_cbranch_execz .LBB104_368
; %bb.359:
	s_and_not1_b32 vcc_lo, exec_lo, s3
	s_cbranch_vccnz .LBB104_361
; %bb.360:
	scratch_load_b64 v[1:2], v4, off
	ds_load_b64 v[7:8], v3
	s_waitcnt vmcnt(0) lgkmcnt(0)
	v_mul_f64 v[1:2], v[1:2], v[7:8]
	s_cbranch_execz .LBB104_362
	s_branch .LBB104_363
.LBB104_361:
                                        ; implicit-def: $vgpr1_vgpr2
.LBB104_362:
	ds_load_b64 v[1:2], v3
.LBB104_363:
	s_and_saveexec_b32 s4, s0
	s_cbranch_execz .LBB104_367
; %bb.364:
	v_add_nc_u32_e32 v7, -4, v0
	s_movk_i32 s5, 0x170
	s_mov_b32 s0, 0
.LBB104_365:                            ; =>This Inner Loop Header: Depth=1
	scratch_load_b64 v[8:9], v6, off
	v_dual_mov_b32 v10, s5 :: v_dual_add_nc_u32 v7, -1, v7
	v_add_nc_u32_e32 v6, 8, v6
	s_add_i32 s5, s5, 8
	ds_load_b64 v[10:11], v10
	v_cmp_eq_u32_e32 vcc_lo, 0, v7
	s_or_b32 s0, vcc_lo, s0
	s_waitcnt vmcnt(0) lgkmcnt(0)
	v_fma_f64 v[1:2], v[8:9], v[10:11], v[1:2]
	s_and_not1_b32 exec_lo, exec_lo, s0
	s_cbranch_execnz .LBB104_365
; %bb.366:
	s_or_b32 exec_lo, exec_lo, s0
.LBB104_367:
	s_delay_alu instid0(SALU_CYCLE_1)
	s_or_b32 exec_lo, exec_lo, s4
	v_mov_b32_e32 v6, 0
	ds_load_b64 v[6:7], v6 offset:24
	s_waitcnt lgkmcnt(0)
	v_mul_f64 v[1:2], v[1:2], v[6:7]
	scratch_store_b64 off, v[1:2], off offset:24
.LBB104_368:
	s_or_b32 exec_lo, exec_lo, s2
	scratch_load_b64 v[1:2], off, off offset:16
	v_cmp_lt_u32_e64 s0, 2, v0
	s_waitcnt vmcnt(0)
	ds_store_b64 v3, v[1:2]
	s_waitcnt lgkmcnt(0)
	s_waitcnt_vscnt null, 0x0
	s_barrier
	buffer_gl0_inv
	s_and_saveexec_b32 s2, s0
	s_cbranch_execz .LBB104_378
; %bb.369:
	s_and_not1_b32 vcc_lo, exec_lo, s3
	s_cbranch_vccnz .LBB104_371
; %bb.370:
	scratch_load_b64 v[1:2], v4, off
	ds_load_b64 v[6:7], v3
	s_waitcnt vmcnt(0) lgkmcnt(0)
	v_mul_f64 v[1:2], v[1:2], v[6:7]
	s_cbranch_execz .LBB104_372
	s_branch .LBB104_373
.LBB104_371:
                                        ; implicit-def: $vgpr1_vgpr2
.LBB104_372:
	ds_load_b64 v[1:2], v3
.LBB104_373:
	s_and_saveexec_b32 s4, s1
	s_cbranch_execz .LBB104_377
; %bb.374:
	v_add_nc_u32_e64 v6, 0, 24
	v_add_nc_u32_e32 v7, -3, v0
	s_movk_i32 s5, 0x168
	s_mov_b32 s1, 0
.LBB104_375:                            ; =>This Inner Loop Header: Depth=1
	scratch_load_b64 v[8:9], v6, off
	v_dual_mov_b32 v10, s5 :: v_dual_add_nc_u32 v7, -1, v7
	v_add_nc_u32_e32 v6, 8, v6
	s_add_i32 s5, s5, 8
	ds_load_b64 v[10:11], v10
	v_cmp_eq_u32_e32 vcc_lo, 0, v7
	s_or_b32 s1, vcc_lo, s1
	s_waitcnt vmcnt(0) lgkmcnt(0)
	v_fma_f64 v[1:2], v[8:9], v[10:11], v[1:2]
	s_and_not1_b32 exec_lo, exec_lo, s1
	s_cbranch_execnz .LBB104_375
; %bb.376:
	s_or_b32 exec_lo, exec_lo, s1
.LBB104_377:
	s_delay_alu instid0(SALU_CYCLE_1)
	s_or_b32 exec_lo, exec_lo, s4
	v_mov_b32_e32 v6, 0
	ds_load_b64 v[6:7], v6 offset:16
	s_waitcnt lgkmcnt(0)
	v_mul_f64 v[1:2], v[1:2], v[6:7]
	scratch_store_b64 off, v[1:2], off offset:16
.LBB104_378:
	s_or_b32 exec_lo, exec_lo, s2
	scratch_load_b64 v[1:2], off, off offset:8
	v_cmp_lt_u32_e64 s1, 1, v0
	s_waitcnt vmcnt(0)
	ds_store_b64 v3, v[1:2]
	s_waitcnt lgkmcnt(0)
	s_waitcnt_vscnt null, 0x0
	s_barrier
	buffer_gl0_inv
	s_and_saveexec_b32 s2, s1
	s_cbranch_execz .LBB104_388
; %bb.379:
	s_and_not1_b32 vcc_lo, exec_lo, s3
	s_cbranch_vccnz .LBB104_381
; %bb.380:
	scratch_load_b64 v[1:2], v4, off
	ds_load_b64 v[6:7], v3
	s_waitcnt vmcnt(0) lgkmcnt(0)
	v_mul_f64 v[1:2], v[1:2], v[6:7]
	s_cbranch_execz .LBB104_382
	s_branch .LBB104_383
.LBB104_381:
                                        ; implicit-def: $vgpr1_vgpr2
.LBB104_382:
	ds_load_b64 v[1:2], v3
.LBB104_383:
	s_and_saveexec_b32 s4, s0
	s_cbranch_execz .LBB104_387
; %bb.384:
	v_add_nc_u32_e32 v6, -2, v0
	s_movk_i32 s5, 0x160
	s_mov_b32 s0, 0
.LBB104_385:                            ; =>This Inner Loop Header: Depth=1
	scratch_load_b64 v[7:8], v5, off
	v_dual_mov_b32 v9, s5 :: v_dual_add_nc_u32 v6, -1, v6
	v_add_nc_u32_e32 v5, 8, v5
	s_add_i32 s5, s5, 8
	ds_load_b64 v[9:10], v9
	v_cmp_eq_u32_e32 vcc_lo, 0, v6
	s_or_b32 s0, vcc_lo, s0
	s_waitcnt vmcnt(0) lgkmcnt(0)
	v_fma_f64 v[1:2], v[7:8], v[9:10], v[1:2]
	s_and_not1_b32 exec_lo, exec_lo, s0
	s_cbranch_execnz .LBB104_385
; %bb.386:
	s_or_b32 exec_lo, exec_lo, s0
.LBB104_387:
	s_delay_alu instid0(SALU_CYCLE_1)
	s_or_b32 exec_lo, exec_lo, s4
	v_mov_b32_e32 v5, 0
	ds_load_b64 v[5:6], v5 offset:8
	s_waitcnt lgkmcnt(0)
	v_mul_f64 v[1:2], v[1:2], v[5:6]
	scratch_store_b64 off, v[1:2], off offset:8
.LBB104_388:
	s_or_b32 exec_lo, exec_lo, s2
	scratch_load_b64 v[1:2], off, off
	s_mov_b32 s0, 0
	s_mov_b32 s2, exec_lo
	s_waitcnt vmcnt(0)
	ds_store_b64 v3, v[1:2]
	s_waitcnt lgkmcnt(0)
	s_waitcnt_vscnt null, 0x0
	s_barrier
	buffer_gl0_inv
	v_cmpx_ne_u32_e32 0, v0
	s_cbranch_execz .LBB104_398
; %bb.389:
	s_and_not1_b32 vcc_lo, exec_lo, s3
	s_cbranch_vccnz .LBB104_391
; %bb.390:
	scratch_load_b64 v[1:2], v4, off
	ds_load_b64 v[5:6], v3
	s_waitcnt vmcnt(0) lgkmcnt(0)
	v_mul_f64 v[1:2], v[1:2], v[5:6]
	s_cbranch_execz .LBB104_392
	s_branch .LBB104_393
.LBB104_391:
                                        ; implicit-def: $vgpr1_vgpr2
.LBB104_392:
	ds_load_b64 v[1:2], v3
.LBB104_393:
	s_and_saveexec_b32 s4, s1
	s_cbranch_execz .LBB104_397
; %bb.394:
	v_or_b32_e64 v5, 0, 8
	v_add_nc_u32_e32 v6, -1, v0
	s_movk_i32 s5, 0x158
	s_mov_b32 s1, 0
.LBB104_395:                            ; =>This Inner Loop Header: Depth=1
	scratch_load_b64 v[7:8], v5, off
	v_dual_mov_b32 v9, s5 :: v_dual_add_nc_u32 v6, -1, v6
	v_add_nc_u32_e32 v5, 8, v5
	s_add_i32 s5, s5, 8
	ds_load_b64 v[9:10], v9
	v_cmp_eq_u32_e32 vcc_lo, 0, v6
	s_or_b32 s1, vcc_lo, s1
	s_waitcnt vmcnt(0) lgkmcnt(0)
	v_fma_f64 v[1:2], v[7:8], v[9:10], v[1:2]
	s_and_not1_b32 exec_lo, exec_lo, s1
	s_cbranch_execnz .LBB104_395
; %bb.396:
	s_or_b32 exec_lo, exec_lo, s1
.LBB104_397:
	s_delay_alu instid0(SALU_CYCLE_1)
	s_or_b32 exec_lo, exec_lo, s4
	v_mov_b32_e32 v5, 0
	ds_load_b64 v[5:6], v5
	s_waitcnt lgkmcnt(0)
	v_mul_f64 v[1:2], v[1:2], v[5:6]
	scratch_store_b64 off, v[1:2], off
.LBB104_398:
	s_or_b32 exec_lo, exec_lo, s2
.LBB104_399:
	s_delay_alu instid0(SALU_CYCLE_1)
	s_and_b32 vcc_lo, exec_lo, s0
	s_cbranch_vccz .LBB104_795
; %bb.400:
	scratch_load_b64 v[1:2], off, off offset:8
	v_cmp_eq_u32_e64 s0, 0, v0
	s_waitcnt vmcnt(0)
	ds_store_b64 v3, v[1:2]
	s_waitcnt lgkmcnt(0)
	s_waitcnt_vscnt null, 0x0
	s_barrier
	buffer_gl0_inv
	s_and_saveexec_b32 s1, s0
	s_cbranch_execz .LBB104_406
; %bb.401:
	s_and_b32 vcc_lo, exec_lo, s3
	s_cbranch_vccz .LBB104_403
; %bb.402:
	scratch_load_b64 v[1:2], v4, off
	ds_load_b64 v[5:6], v3
	s_waitcnt vmcnt(0) lgkmcnt(0)
	v_mul_f64 v[1:2], v[1:2], v[5:6]
	s_cbranch_execz .LBB104_404
	s_branch .LBB104_405
.LBB104_403:
                                        ; implicit-def: $vgpr1_vgpr2
.LBB104_404:
	ds_load_b64 v[1:2], v3
.LBB104_405:
	v_mov_b32_e32 v5, 0
	ds_load_b64 v[5:6], v5 offset:8
	s_waitcnt lgkmcnt(0)
	v_mul_f64 v[1:2], v[1:2], v[5:6]
	scratch_store_b64 off, v[1:2], off offset:8
.LBB104_406:
	s_or_b32 exec_lo, exec_lo, s1
	scratch_load_b64 v[1:2], off, off offset:16
	v_cndmask_b32_e64 v5, 0, 1, s3
	s_mov_b32 s1, exec_lo
	s_waitcnt vmcnt(0)
	ds_store_b64 v3, v[1:2]
	s_waitcnt lgkmcnt(0)
	s_waitcnt_vscnt null, 0x0
	s_barrier
	buffer_gl0_inv
	v_cmpx_gt_u32_e32 2, v0
	s_cbranch_execz .LBB104_414
; %bb.407:
	s_and_not1_b32 vcc_lo, exec_lo, s3
	s_cbranch_vccnz .LBB104_409
; %bb.408:
	scratch_load_b64 v[1:2], v4, off
	ds_load_b64 v[6:7], v3
	s_waitcnt vmcnt(0) lgkmcnt(0)
	v_mul_f64 v[1:2], v[1:2], v[6:7]
	s_cbranch_execz .LBB104_410
	s_branch .LBB104_411
.LBB104_409:
                                        ; implicit-def: $vgpr1_vgpr2
.LBB104_410:
	ds_load_b64 v[1:2], v3
.LBB104_411:
	s_and_saveexec_b32 s2, s0
	s_cbranch_execz .LBB104_413
; %bb.412:
	scratch_load_b64 v[6:7], v4, off offset:8
	ds_load_b64 v[8:9], v3 offset:8
	s_waitcnt vmcnt(0) lgkmcnt(0)
	v_fma_f64 v[1:2], v[6:7], v[8:9], v[1:2]
.LBB104_413:
	s_or_b32 exec_lo, exec_lo, s2
	v_mov_b32_e32 v6, 0
	ds_load_b64 v[6:7], v6 offset:16
	s_waitcnt lgkmcnt(0)
	v_mul_f64 v[1:2], v[1:2], v[6:7]
	scratch_store_b64 off, v[1:2], off offset:16
.LBB104_414:
	s_or_b32 exec_lo, exec_lo, s1
	scratch_load_b64 v[1:2], off, off offset:24
	s_mov_b32 s1, exec_lo
	s_waitcnt vmcnt(0)
	ds_store_b64 v3, v[1:2]
	s_waitcnt lgkmcnt(0)
	s_waitcnt_vscnt null, 0x0
	s_barrier
	buffer_gl0_inv
	v_cmpx_gt_u32_e32 3, v0
	s_cbranch_execz .LBB104_424
; %bb.415:
	v_cmp_ne_u32_e32 vcc_lo, 1, v5
	s_cbranch_vccnz .LBB104_417
; %bb.416:
	scratch_load_b64 v[1:2], v4, off
	ds_load_b64 v[6:7], v3
	s_waitcnt vmcnt(0) lgkmcnt(0)
	v_mul_f64 v[1:2], v[1:2], v[6:7]
	s_cbranch_execz .LBB104_418
	s_branch .LBB104_419
.LBB104_417:
                                        ; implicit-def: $vgpr1_vgpr2
.LBB104_418:
	ds_load_b64 v[1:2], v3
.LBB104_419:
	s_mov_b32 s2, exec_lo
	v_cmpx_ne_u32_e32 2, v0
	s_cbranch_execz .LBB104_423
; %bb.420:
	scratch_load_b64 v[6:7], v4, off offset:8
	ds_load_b64 v[8:9], v3 offset:8
	s_waitcnt vmcnt(0) lgkmcnt(0)
	v_fma_f64 v[1:2], v[6:7], v[8:9], v[1:2]
	s_and_saveexec_b32 s3, s0
	s_cbranch_execz .LBB104_422
; %bb.421:
	scratch_load_b64 v[6:7], off, off offset:16
	v_mov_b32_e32 v8, 0
	ds_load_b64 v[8:9], v8 offset:352
	s_waitcnt vmcnt(0) lgkmcnt(0)
	v_fma_f64 v[1:2], v[6:7], v[8:9], v[1:2]
.LBB104_422:
	s_or_b32 exec_lo, exec_lo, s3
.LBB104_423:
	s_delay_alu instid0(SALU_CYCLE_1)
	s_or_b32 exec_lo, exec_lo, s2
	v_mov_b32_e32 v6, 0
	ds_load_b64 v[6:7], v6 offset:24
	s_waitcnt lgkmcnt(0)
	v_mul_f64 v[1:2], v[1:2], v[6:7]
	scratch_store_b64 off, v[1:2], off offset:24
.LBB104_424:
	s_or_b32 exec_lo, exec_lo, s1
	scratch_load_b64 v[1:2], off, off offset:32
	s_mov_b32 s0, exec_lo
	s_waitcnt vmcnt(0)
	ds_store_b64 v3, v[1:2]
	s_waitcnt lgkmcnt(0)
	s_waitcnt_vscnt null, 0x0
	s_barrier
	buffer_gl0_inv
	v_cmpx_gt_u32_e32 4, v0
	s_cbranch_execz .LBB104_434
; %bb.425:
	v_cmp_ne_u32_e32 vcc_lo, 1, v5
	s_cbranch_vccnz .LBB104_427
; %bb.426:
	scratch_load_b64 v[1:2], v4, off
	ds_load_b64 v[6:7], v3
	s_waitcnt vmcnt(0) lgkmcnt(0)
	v_mul_f64 v[1:2], v[1:2], v[6:7]
	s_cbranch_execz .LBB104_428
	s_branch .LBB104_429
.LBB104_427:
                                        ; implicit-def: $vgpr1_vgpr2
.LBB104_428:
	ds_load_b64 v[1:2], v3
.LBB104_429:
	s_mov_b32 s1, exec_lo
	v_cmpx_ne_u32_e32 3, v0
	s_cbranch_execz .LBB104_433
; %bb.430:
	v_add_nc_u32_e32 v6, 0x158, v95
	v_add3_u32 v7, 0, v95, 8
	v_mov_b32_e32 v8, v0
	s_mov_b32 s2, 0
.LBB104_431:                            ; =>This Inner Loop Header: Depth=1
	scratch_load_b64 v[9:10], v7, off
	ds_load_b64 v[11:12], v6
	v_add_nc_u32_e32 v8, 1, v8
	v_add_nc_u32_e32 v6, 8, v6
	v_add_nc_u32_e32 v7, 8, v7
	s_delay_alu instid0(VALU_DEP_3)
	v_cmp_lt_u32_e32 vcc_lo, 2, v8
	s_or_b32 s2, vcc_lo, s2
	s_waitcnt vmcnt(0) lgkmcnt(0)
	v_fma_f64 v[1:2], v[9:10], v[11:12], v[1:2]
	s_and_not1_b32 exec_lo, exec_lo, s2
	s_cbranch_execnz .LBB104_431
; %bb.432:
	s_or_b32 exec_lo, exec_lo, s2
.LBB104_433:
	s_delay_alu instid0(SALU_CYCLE_1)
	s_or_b32 exec_lo, exec_lo, s1
	v_mov_b32_e32 v6, 0
	ds_load_b64 v[6:7], v6 offset:32
	s_waitcnt lgkmcnt(0)
	v_mul_f64 v[1:2], v[1:2], v[6:7]
	scratch_store_b64 off, v[1:2], off offset:32
.LBB104_434:
	s_or_b32 exec_lo, exec_lo, s0
	scratch_load_b64 v[1:2], off, off offset:40
	s_mov_b32 s0, exec_lo
	s_waitcnt vmcnt(0)
	ds_store_b64 v3, v[1:2]
	s_waitcnt lgkmcnt(0)
	s_waitcnt_vscnt null, 0x0
	s_barrier
	buffer_gl0_inv
	v_cmpx_gt_u32_e32 5, v0
	s_cbranch_execz .LBB104_444
; %bb.435:
	v_cmp_ne_u32_e32 vcc_lo, 1, v5
	s_cbranch_vccnz .LBB104_437
; %bb.436:
	scratch_load_b64 v[1:2], v4, off
	ds_load_b64 v[6:7], v3
	s_waitcnt vmcnt(0) lgkmcnt(0)
	v_mul_f64 v[1:2], v[1:2], v[6:7]
	s_cbranch_execz .LBB104_438
	s_branch .LBB104_439
.LBB104_437:
                                        ; implicit-def: $vgpr1_vgpr2
.LBB104_438:
	ds_load_b64 v[1:2], v3
.LBB104_439:
	s_mov_b32 s1, exec_lo
	v_cmpx_ne_u32_e32 4, v0
	s_cbranch_execz .LBB104_443
; %bb.440:
	v_add_nc_u32_e32 v6, 0x158, v95
	v_add3_u32 v7, 0, v95, 8
	v_mov_b32_e32 v8, v0
	s_mov_b32 s2, 0
.LBB104_441:                            ; =>This Inner Loop Header: Depth=1
	scratch_load_b64 v[9:10], v7, off
	ds_load_b64 v[11:12], v6
	v_add_nc_u32_e32 v8, 1, v8
	v_add_nc_u32_e32 v6, 8, v6
	v_add_nc_u32_e32 v7, 8, v7
	s_delay_alu instid0(VALU_DEP_3)
	v_cmp_lt_u32_e32 vcc_lo, 3, v8
	s_or_b32 s2, vcc_lo, s2
	s_waitcnt vmcnt(0) lgkmcnt(0)
	v_fma_f64 v[1:2], v[9:10], v[11:12], v[1:2]
	s_and_not1_b32 exec_lo, exec_lo, s2
	s_cbranch_execnz .LBB104_441
; %bb.442:
	s_or_b32 exec_lo, exec_lo, s2
.LBB104_443:
	s_delay_alu instid0(SALU_CYCLE_1)
	s_or_b32 exec_lo, exec_lo, s1
	v_mov_b32_e32 v6, 0
	ds_load_b64 v[6:7], v6 offset:40
	s_waitcnt lgkmcnt(0)
	v_mul_f64 v[1:2], v[1:2], v[6:7]
	scratch_store_b64 off, v[1:2], off offset:40
.LBB104_444:
	;; [unrolled: 58-line block ×35, first 2 shown]
	s_or_b32 exec_lo, exec_lo, s0
	scratch_load_b64 v[1:2], off, off offset:312
	v_cmp_gt_u32_e64 s0, 39, v0
	s_waitcnt vmcnt(0)
	ds_store_b64 v3, v[1:2]
	s_waitcnt lgkmcnt(0)
	s_waitcnt_vscnt null, 0x0
	s_barrier
	buffer_gl0_inv
	s_and_saveexec_b32 s1, s0
	s_cbranch_execz .LBB104_784
; %bb.775:
	v_cmp_ne_u32_e32 vcc_lo, 1, v5
	s_cbranch_vccnz .LBB104_777
; %bb.776:
	scratch_load_b64 v[1:2], v4, off
	ds_load_b64 v[6:7], v3
	s_waitcnt vmcnt(0) lgkmcnt(0)
	v_mul_f64 v[1:2], v[1:2], v[6:7]
	s_cbranch_execz .LBB104_778
	s_branch .LBB104_779
.LBB104_777:
                                        ; implicit-def: $vgpr1_vgpr2
.LBB104_778:
	ds_load_b64 v[1:2], v3
.LBB104_779:
	s_mov_b32 s2, exec_lo
	v_cmpx_ne_u32_e32 38, v0
	s_cbranch_execz .LBB104_783
; %bb.780:
	v_add_nc_u32_e32 v6, 0x158, v95
	v_add3_u32 v7, 0, v95, 8
	v_mov_b32_e32 v8, v0
	s_mov_b32 s3, 0
.LBB104_781:                            ; =>This Inner Loop Header: Depth=1
	scratch_load_b64 v[9:10], v7, off
	ds_load_b64 v[11:12], v6
	v_add_nc_u32_e32 v8, 1, v8
	v_add_nc_u32_e32 v6, 8, v6
	;; [unrolled: 1-line block ×3, first 2 shown]
	s_delay_alu instid0(VALU_DEP_3)
	v_cmp_lt_u32_e32 vcc_lo, 37, v8
	s_or_b32 s3, vcc_lo, s3
	s_waitcnt vmcnt(0) lgkmcnt(0)
	v_fma_f64 v[1:2], v[9:10], v[11:12], v[1:2]
	s_and_not1_b32 exec_lo, exec_lo, s3
	s_cbranch_execnz .LBB104_781
; %bb.782:
	s_or_b32 exec_lo, exec_lo, s3
.LBB104_783:
	s_delay_alu instid0(SALU_CYCLE_1)
	s_or_b32 exec_lo, exec_lo, s2
	v_mov_b32_e32 v6, 0
	ds_load_b64 v[6:7], v6 offset:312
	s_waitcnt lgkmcnt(0)
	v_mul_f64 v[1:2], v[1:2], v[6:7]
	scratch_store_b64 off, v[1:2], off offset:312
.LBB104_784:
	s_or_b32 exec_lo, exec_lo, s1
	scratch_load_b64 v[1:2], off, off offset:320
	s_mov_b32 s1, exec_lo
	s_waitcnt vmcnt(0)
	ds_store_b64 v3, v[1:2]
	s_waitcnt lgkmcnt(0)
	s_waitcnt_vscnt null, 0x0
	s_barrier
	buffer_gl0_inv
	v_cmpx_ne_u32_e32 40, v0
	s_cbranch_execz .LBB104_794
; %bb.785:
	v_cmp_ne_u32_e32 vcc_lo, 1, v5
	s_cbranch_vccnz .LBB104_787
; %bb.786:
	scratch_load_b64 v[1:2], v4, off
	ds_load_b64 v[4:5], v3
	s_waitcnt vmcnt(0) lgkmcnt(0)
	v_mul_f64 v[1:2], v[1:2], v[4:5]
	s_cbranch_execz .LBB104_788
	s_branch .LBB104_789
.LBB104_787:
                                        ; implicit-def: $vgpr1_vgpr2
.LBB104_788:
	ds_load_b64 v[1:2], v3
.LBB104_789:
	s_and_saveexec_b32 s2, s0
	s_cbranch_execz .LBB104_793
; %bb.790:
	v_add_nc_u32_e32 v3, 0x158, v95
	v_add3_u32 v4, 0, v95, 8
	s_mov_b32 s0, 0
.LBB104_791:                            ; =>This Inner Loop Header: Depth=1
	scratch_load_b64 v[5:6], v4, off
	ds_load_b64 v[7:8], v3
	v_add_nc_u32_e32 v0, 1, v0
	v_add_nc_u32_e32 v3, 8, v3
	;; [unrolled: 1-line block ×3, first 2 shown]
	s_delay_alu instid0(VALU_DEP_3)
	v_cmp_lt_u32_e32 vcc_lo, 38, v0
	s_or_b32 s0, vcc_lo, s0
	s_waitcnt vmcnt(0) lgkmcnt(0)
	v_fma_f64 v[1:2], v[5:6], v[7:8], v[1:2]
	s_and_not1_b32 exec_lo, exec_lo, s0
	s_cbranch_execnz .LBB104_791
; %bb.792:
	s_or_b32 exec_lo, exec_lo, s0
.LBB104_793:
	s_delay_alu instid0(SALU_CYCLE_1)
	s_or_b32 exec_lo, exec_lo, s2
	v_mov_b32_e32 v0, 0
	ds_load_b64 v[3:4], v0 offset:320
	s_waitcnt lgkmcnt(0)
	v_mul_f64 v[0:1], v[1:2], v[3:4]
	scratch_store_b64 off, v[0:1], off offset:320
.LBB104_794:
	s_or_b32 exec_lo, exec_lo, s1
.LBB104_795:
	s_clause 0x9
	scratch_load_b128 v[0:3], off, off
	scratch_load_b128 v[4:7], off, off offset:16
	scratch_load_b128 v[8:11], off, off offset:32
	;; [unrolled: 1-line block ×9, first 2 shown]
	s_waitcnt vmcnt(9)
	s_clause 0x1
	global_store_b64 v[31:32], v[0:1], off
	global_store_b64 v[29:30], v[2:3], off
	s_waitcnt vmcnt(8)
	s_clause 0x1
	global_store_b64 v[21:22], v[4:5], off
	global_store_b64 v[17:18], v[6:7], off
	;; [unrolled: 4-line block ×3, first 2 shown]
	scratch_load_b128 v[8:11], off, off offset:208
	s_waitcnt vmcnt(7)
	s_clause 0x1
	global_store_b64 v[19:20], v[95:96], off
	global_store_b64 v[23:24], v[97:98], off
	s_waitcnt vmcnt(6)
	s_clause 0x1
	global_store_b64 v[25:26], v[99:100], off
	global_store_b64 v[27:28], v[101:102], off
	;; [unrolled: 4-line block ×3, first 2 shown]
	s_clause 0x9
	scratch_load_b128 v[0:3], off, off offset:144
	scratch_load_b128 v[29:32], off, off offset:160
	;; [unrolled: 1-line block ×9, first 2 shown]
	scratch_load_b64 v[41:42], off, off offset:320
	s_waitcnt vmcnt(14)
	s_clause 0x1
	global_store_b64 v[33:34], v[107:108], off
	global_store_b64 v[35:36], v[109:110], off
	s_waitcnt vmcnt(13)
	s_clause 0x1
	global_store_b64 v[37:38], v[111:112], off
	global_store_b64 v[39:40], v[113:114], off
	s_waitcnt vmcnt(12)
	s_clause 0x1
	global_store_b64 v[43:44], v[115:116], off
	global_store_b64 v[47:48], v[117:118], off
	s_waitcnt vmcnt(9)
	s_clause 0x1
	global_store_b64 v[49:50], v[0:1], off
	global_store_b64 v[51:52], v[2:3], off
	s_waitcnt vmcnt(8)
	s_clause 0x1
	global_store_b64 v[53:54], v[29:30], off
	global_store_b64 v[55:56], v[31:32], off
	s_waitcnt vmcnt(7)
	s_clause 0x5
	global_store_b64 v[57:58], v[4:5], off
	global_store_b64 v[59:60], v[6:7], off
	global_store_b64 v[61:62], v[119:120], off
	global_store_b64 v[63:64], v[121:122], off
	;; [unrolled: 1-line block ×4, first 2 shown]
	s_waitcnt vmcnt(6)
	s_clause 0x1
	global_store_b64 v[69:70], v[12:13], off
	global_store_b64 v[71:72], v[14:15], off
	s_waitcnt vmcnt(5)
	s_clause 0x1
	global_store_b64 v[73:74], v[16:17], off
	global_store_b64 v[75:76], v[18:19], off
	;; [unrolled: 4-line block ×6, first 2 shown]
	s_waitcnt vmcnt(0)
	global_store_b64 v[93:94], v[41:42], off
.LBB104_796:
	s_endpgm
	.section	.rodata,"a",@progbits
	.p2align	6, 0x0
	.amdhsa_kernel _ZN9rocsolver6v33100L18trti2_kernel_smallILi41EdPKPdEEv13rocblas_fill_17rocblas_diagonal_T1_iil
		.amdhsa_group_segment_fixed_size 664
		.amdhsa_private_segment_fixed_size 336
		.amdhsa_kernarg_size 32
		.amdhsa_user_sgpr_count 15
		.amdhsa_user_sgpr_dispatch_ptr 0
		.amdhsa_user_sgpr_queue_ptr 0
		.amdhsa_user_sgpr_kernarg_segment_ptr 1
		.amdhsa_user_sgpr_dispatch_id 0
		.amdhsa_user_sgpr_private_segment_size 0
		.amdhsa_wavefront_size32 1
		.amdhsa_uses_dynamic_stack 0
		.amdhsa_enable_private_segment 1
		.amdhsa_system_sgpr_workgroup_id_x 1
		.amdhsa_system_sgpr_workgroup_id_y 0
		.amdhsa_system_sgpr_workgroup_id_z 0
		.amdhsa_system_sgpr_workgroup_info 0
		.amdhsa_system_vgpr_workitem_id 0
		.amdhsa_next_free_vgpr 123
		.amdhsa_next_free_sgpr 18
		.amdhsa_reserve_vcc 1
		.amdhsa_float_round_mode_32 0
		.amdhsa_float_round_mode_16_64 0
		.amdhsa_float_denorm_mode_32 3
		.amdhsa_float_denorm_mode_16_64 3
		.amdhsa_dx10_clamp 1
		.amdhsa_ieee_mode 1
		.amdhsa_fp16_overflow 0
		.amdhsa_workgroup_processor_mode 1
		.amdhsa_memory_ordered 1
		.amdhsa_forward_progress 0
		.amdhsa_shared_vgpr_count 0
		.amdhsa_exception_fp_ieee_invalid_op 0
		.amdhsa_exception_fp_denorm_src 0
		.amdhsa_exception_fp_ieee_div_zero 0
		.amdhsa_exception_fp_ieee_overflow 0
		.amdhsa_exception_fp_ieee_underflow 0
		.amdhsa_exception_fp_ieee_inexact 0
		.amdhsa_exception_int_div_zero 0
	.end_amdhsa_kernel
	.section	.text._ZN9rocsolver6v33100L18trti2_kernel_smallILi41EdPKPdEEv13rocblas_fill_17rocblas_diagonal_T1_iil,"axG",@progbits,_ZN9rocsolver6v33100L18trti2_kernel_smallILi41EdPKPdEEv13rocblas_fill_17rocblas_diagonal_T1_iil,comdat
.Lfunc_end104:
	.size	_ZN9rocsolver6v33100L18trti2_kernel_smallILi41EdPKPdEEv13rocblas_fill_17rocblas_diagonal_T1_iil, .Lfunc_end104-_ZN9rocsolver6v33100L18trti2_kernel_smallILi41EdPKPdEEv13rocblas_fill_17rocblas_diagonal_T1_iil
                                        ; -- End function
	.section	.AMDGPU.csdata,"",@progbits
; Kernel info:
; codeLenInByte = 22304
; NumSgprs: 20
; NumVgprs: 123
; ScratchSize: 336
; MemoryBound: 0
; FloatMode: 240
; IeeeMode: 1
; LDSByteSize: 664 bytes/workgroup (compile time only)
; SGPRBlocks: 2
; VGPRBlocks: 15
; NumSGPRsForWavesPerEU: 20
; NumVGPRsForWavesPerEU: 123
; Occupancy: 10
; WaveLimiterHint : 1
; COMPUTE_PGM_RSRC2:SCRATCH_EN: 1
; COMPUTE_PGM_RSRC2:USER_SGPR: 15
; COMPUTE_PGM_RSRC2:TRAP_HANDLER: 0
; COMPUTE_PGM_RSRC2:TGID_X_EN: 1
; COMPUTE_PGM_RSRC2:TGID_Y_EN: 0
; COMPUTE_PGM_RSRC2:TGID_Z_EN: 0
; COMPUTE_PGM_RSRC2:TIDIG_COMP_CNT: 0
	.section	.text._ZN9rocsolver6v33100L18trti2_kernel_smallILi42EdPKPdEEv13rocblas_fill_17rocblas_diagonal_T1_iil,"axG",@progbits,_ZN9rocsolver6v33100L18trti2_kernel_smallILi42EdPKPdEEv13rocblas_fill_17rocblas_diagonal_T1_iil,comdat
	.globl	_ZN9rocsolver6v33100L18trti2_kernel_smallILi42EdPKPdEEv13rocblas_fill_17rocblas_diagonal_T1_iil ; -- Begin function _ZN9rocsolver6v33100L18trti2_kernel_smallILi42EdPKPdEEv13rocblas_fill_17rocblas_diagonal_T1_iil
	.p2align	8
	.type	_ZN9rocsolver6v33100L18trti2_kernel_smallILi42EdPKPdEEv13rocblas_fill_17rocblas_diagonal_T1_iil,@function
_ZN9rocsolver6v33100L18trti2_kernel_smallILi42EdPKPdEEv13rocblas_fill_17rocblas_diagonal_T1_iil: ; @_ZN9rocsolver6v33100L18trti2_kernel_smallILi42EdPKPdEEv13rocblas_fill_17rocblas_diagonal_T1_iil
; %bb.0:
	s_mov_b32 s2, exec_lo
	v_cmpx_gt_u32_e32 42, v0
	s_cbranch_execz .LBB105_816
; %bb.1:
	s_clause 0x1
	s_load_b64 s[4:5], s[0:1], 0x10
	s_load_b128 s[0:3], s[0:1], 0x0
	s_mov_b32 s6, s15
	s_ashr_i32 s7, s15, 31
	v_lshlrev_b32_e32 v87, 3, v0
	s_lshl_b64 s[6:7], s[6:7], 3
	s_waitcnt lgkmcnt(0)
	v_add3_u32 v1, s5, s5, v0
	s_ashr_i32 s9, s4, 31
	s_add_u32 s2, s2, s6
	s_addc_u32 s3, s3, s7
	s_mov_b32 s8, s4
	s_load_b64 s[2:3], s[2:3], 0x0
	v_add_nc_u32_e32 v5, s5, v1
	v_ashrrev_i32_e32 v2, 31, v1
	s_lshl_b64 s[6:7], s[8:9], 3
	s_delay_alu instid0(VALU_DEP_2) | instskip(NEXT) | instid1(VALU_DEP_2)
	v_ashrrev_i32_e32 v6, 31, v5
	v_lshlrev_b64 v[1:2], 3, v[1:2]
	s_delay_alu instid0(VALU_DEP_2) | instskip(SKIP_1) | instid1(VALU_DEP_1)
	v_lshlrev_b64 v[3:4], 3, v[5:6]
	v_add_nc_u32_e32 v5, s5, v5
	v_add_nc_u32_e32 v9, s5, v5
	v_ashrrev_i32_e32 v6, 31, v5
	s_waitcnt lgkmcnt(0)
	s_add_u32 s2, s2, s6
	s_addc_u32 s3, s3, s7
	v_ashrrev_i32_e32 v10, 31, v9
	v_add_co_u32 v1, vcc_lo, s2, v1
	v_lshlrev_b64 v[5:6], 3, v[5:6]
	v_add_co_ci_u32_e32 v2, vcc_lo, s3, v2, vcc_lo
	v_add_co_u32 v3, vcc_lo, s2, v3
	v_lshlrev_b64 v[7:8], 3, v[9:10]
	v_add_co_ci_u32_e32 v4, vcc_lo, s3, v4, vcc_lo
	v_add_co_u32 v5, vcc_lo, s2, v5
	v_add_co_ci_u32_e32 v6, vcc_lo, s3, v6, vcc_lo
	s_delay_alu instid0(VALU_DEP_4)
	v_add_co_u32 v7, vcc_lo, s2, v7
	v_add_co_ci_u32_e32 v8, vcc_lo, s3, v8, vcc_lo
	s_clause 0x3
	global_load_b64 v[41:42], v[1:2], off
	global_load_b64 v[43:44], v[3:4], off
	;; [unrolled: 1-line block ×4, first 2 shown]
	v_add_nc_u32_e32 v9, s5, v9
	v_add_co_u32 v33, s4, s2, v87
	s_mov_b32 s6, s5
	s_ashr_i32 s7, s5, 31
	s_delay_alu instid0(VALU_DEP_2) | instskip(SKIP_3) | instid1(VALU_DEP_3)
	v_add_nc_u32_e32 v11, s5, v9
	v_ashrrev_i32_e32 v10, 31, v9
	v_add_co_ci_u32_e64 v34, null, s3, 0, s4
	s_lshl_b64 s[6:7], s[6:7], 3
	v_add_nc_u32_e32 v13, s5, v11
	s_delay_alu instid0(VALU_DEP_3) | instskip(SKIP_2) | instid1(VALU_DEP_4)
	v_lshlrev_b64 v[9:10], 3, v[9:10]
	v_ashrrev_i32_e32 v12, 31, v11
	v_add_co_u32 v39, vcc_lo, v33, s6
	v_add_nc_u32_e32 v15, s5, v13
	v_ashrrev_i32_e32 v14, 31, v13
	v_add_co_ci_u32_e32 v40, vcc_lo, s7, v34, vcc_lo
	v_lshlrev_b64 v[20:21], 3, v[11:12]
	s_delay_alu instid0(VALU_DEP_4) | instskip(SKIP_2) | instid1(VALU_DEP_3)
	v_add_nc_u32_e32 v17, s5, v15
	v_add_co_u32 v11, vcc_lo, s2, v9
	v_add_co_ci_u32_e32 v12, vcc_lo, s3, v10, vcc_lo
	v_add_nc_u32_e32 v19, s5, v17
	v_lshlrev_b64 v[9:10], 3, v[13:14]
	v_ashrrev_i32_e32 v16, 31, v15
	v_add_co_u32 v13, vcc_lo, s2, v20
	s_delay_alu instid0(VALU_DEP_4) | instskip(SKIP_3) | instid1(VALU_DEP_4)
	v_add_nc_u32_e32 v23, s5, v19
	v_ashrrev_i32_e32 v18, 31, v17
	v_add_co_ci_u32_e32 v14, vcc_lo, s3, v21, vcc_lo
	v_lshlrev_b64 v[15:16], 3, v[15:16]
	v_add_nc_u32_e32 v27, s5, v23
	v_add_co_u32 v21, vcc_lo, s2, v9
	v_add_co_ci_u32_e32 v22, vcc_lo, s3, v10, vcc_lo
	s_delay_alu instid0(VALU_DEP_3) | instskip(SKIP_3) | instid1(VALU_DEP_4)
	v_add_nc_u32_e32 v31, s5, v27
	v_lshlrev_b64 v[9:10], 3, v[17:18]
	v_ashrrev_i32_e32 v20, 31, v19
	v_add_co_u32 v25, vcc_lo, s2, v15
	v_add_nc_u32_e32 v37, s5, v31
	v_ashrrev_i32_e32 v24, 31, v23
	v_add_co_ci_u32_e32 v26, vcc_lo, s3, v16, vcc_lo
	v_lshlrev_b64 v[15:16], 3, v[19:20]
	s_delay_alu instid0(VALU_DEP_4) | instskip(SKIP_2) | instid1(VALU_DEP_3)
	v_add_nc_u32_e32 v73, s5, v37
	v_add_co_u32 v29, vcc_lo, s2, v9
	v_add_co_ci_u32_e32 v30, vcc_lo, s3, v10, vcc_lo
	v_add_nc_u32_e32 v75, s5, v73
	v_lshlrev_b64 v[9:10], 3, v[23:24]
	v_ashrrev_i32_e32 v28, 31, v27
	v_add_co_u32 v35, vcc_lo, s2, v15
	s_delay_alu instid0(VALU_DEP_4)
	v_add_nc_u32_e32 v77, s5, v75
	v_add_co_ci_u32_e32 v36, vcc_lo, s3, v16, vcc_lo
	s_clause 0x1
	global_load_b64 v[49:50], v87, s[2:3]
	global_load_b64 v[51:52], v[39:40], off
	v_add_nc_u32_e32 v79, s5, v77
	v_lshlrev_b64 v[19:20], 3, v[27:28]
	v_add_co_u32 v15, vcc_lo, s2, v9
	v_add_co_ci_u32_e32 v16, vcc_lo, s3, v10, vcc_lo
	s_delay_alu instid0(VALU_DEP_4)
	v_add_nc_u32_e32 v81, s5, v79
	s_clause 0x2
	global_load_b64 v[53:54], v[11:12], off
	global_load_b64 v[55:56], v[13:14], off
	;; [unrolled: 1-line block ×3, first 2 shown]
	v_ashrrev_i32_e32 v32, 31, v31
	global_load_b64 v[59:60], v[25:26], off
	v_ashrrev_i32_e32 v38, 31, v37
	v_add_nc_u32_e32 v83, s5, v81
	v_ashrrev_i32_e32 v74, 31, v73
	v_ashrrev_i32_e32 v76, 31, v75
	;; [unrolled: 1-line block ×3, first 2 shown]
	v_lshlrev_b64 v[23:24], 3, v[37:38]
	v_add_nc_u32_e32 v85, s5, v83
	v_lshlrev_b64 v[27:28], 3, v[73:74]
	v_ashrrev_i32_e32 v80, 31, v79
	v_lshlrev_b64 v[37:38], 3, v[77:78]
	v_ashrrev_i32_e32 v82, 31, v81
	v_add_nc_u32_e32 v88, s5, v85
	v_ashrrev_i32_e32 v84, 31, v83
	v_ashrrev_i32_e32 v86, 31, v85
	s_cmpk_lg_i32 s1, 0x84
	s_delay_alu instid0(VALU_DEP_3) | instskip(NEXT) | instid1(VALU_DEP_1)
	v_add_nc_u32_e32 v92, s5, v88
	v_add_nc_u32_e32 v94, s5, v92
	v_ashrrev_i32_e32 v93, 31, v92
	s_delay_alu instid0(VALU_DEP_2) | instskip(SKIP_1) | instid1(VALU_DEP_2)
	v_add_nc_u32_e32 v100, s5, v94
	v_ashrrev_i32_e32 v95, 31, v94
	v_add_nc_u32_e32 v102, s5, v100
	v_ashrrev_i32_e32 v101, 31, v100
	s_delay_alu instid0(VALU_DEP_2) | instskip(SKIP_1) | instid1(VALU_DEP_2)
	v_add_nc_u32_e32 v104, s5, v102
	v_ashrrev_i32_e32 v103, 31, v102
	;; [unrolled: 5-line block ×8, first 2 shown]
	v_add_nc_u32_e32 v17, s5, v128
	v_ashrrev_i32_e32 v129, 31, v128
	s_delay_alu instid0(VALU_DEP_2) | instskip(NEXT) | instid1(VALU_DEP_1)
	v_ashrrev_i32_e32 v18, 31, v17
	v_lshlrev_b64 v[17:18], 3, v[17:18]
	s_delay_alu instid0(VALU_DEP_1) | instskip(NEXT) | instid1(VALU_DEP_2)
	v_add_co_u32 v9, vcc_lo, s2, v17
	v_add_co_ci_u32_e32 v10, vcc_lo, s3, v18, vcc_lo
	v_add_co_u32 v17, vcc_lo, s2, v19
	v_add_co_ci_u32_e32 v18, vcc_lo, s3, v20, vcc_lo
	v_lshlrev_b64 v[19:20], 3, v[31:32]
	global_load_b64 v[90:91], v[9:10], off
	v_lshlrev_b64 v[31:32], 3, v[75:76]
	v_add_co_u32 v19, vcc_lo, s2, v19
	v_add_co_ci_u32_e32 v20, vcc_lo, s3, v20, vcc_lo
	v_add_co_u32 v23, vcc_lo, s2, v23
	v_add_co_ci_u32_e32 v24, vcc_lo, s3, v24, vcc_lo
	;; [unrolled: 2-line block ×5, first 2 shown]
	s_waitcnt vmcnt(9)
	scratch_store_b128 off, v[41:44], off offset:16
	s_clause 0x3
	global_load_b64 v[61:62], v[29:30], off
	global_load_b64 v[63:64], v[35:36], off
	;; [unrolled: 1-line block ×4, first 2 shown]
	s_waitcnt vmcnt(11)
	scratch_store_b128 off, v[45:48], off offset:32
	s_clause 0x1
	global_load_b64 v[69:70], v[19:20], off
	global_load_b64 v[71:72], v[23:24], off
	v_lshlrev_b64 v[41:42], 3, v[79:80]
	v_lshlrev_b64 v[43:44], 3, v[81:82]
	v_lshlrev_b64 v[45:46], 3, v[83:84]
	v_lshlrev_b64 v[47:48], 3, v[85:86]
	v_mov_b32_e32 v85, 0
	v_ashrrev_i32_e32 v89, 31, v88
	v_add_co_u32 v41, vcc_lo, s2, v41
	v_add_co_ci_u32_e32 v42, vcc_lo, s3, v42, vcc_lo
	v_add_co_u32 v43, vcc_lo, s2, v43
	s_clause 0x1
	global_load_b64 v[73:74], v[27:28], off
	global_load_b64 v[75:76], v[31:32], off
	v_add_co_ci_u32_e32 v44, vcc_lo, s3, v44, vcc_lo
	v_add_co_u32 v45, vcc_lo, s2, v45
	v_add_co_ci_u32_e32 v46, vcc_lo, s3, v46, vcc_lo
	v_add_co_u32 v47, vcc_lo, s2, v47
	v_add_co_ci_u32_e32 v48, vcc_lo, s3, v48, vcc_lo
	v_mov_b32_e32 v86, 0xbff00000
	s_waitcnt vmcnt(13)
	scratch_store_b128 off, v[49:52], off
	v_lshlrev_b64 v[49:50], 3, v[88:89]
	s_waitcnt vmcnt(11)
	scratch_store_b128 off, v[53:56], off offset:48
	s_waitcnt vmcnt(9)
	scratch_store_b128 off, v[57:60], off offset:64
	v_lshlrev_b64 v[51:52], 3, v[92:93]
	s_clause 0x3
	global_load_b64 v[77:78], v[37:38], off
	global_load_b64 v[79:80], v[41:42], off
	;; [unrolled: 1-line block ×4, first 2 shown]
	v_add_co_u32 v49, vcc_lo, s2, v49
	v_lshlrev_b64 v[53:54], 3, v[94:95]
	v_add_co_ci_u32_e32 v50, vcc_lo, s3, v50, vcc_lo
	v_add_co_u32 v51, vcc_lo, s2, v51
	v_lshlrev_b64 v[55:56], 3, v[100:101]
	v_add_co_ci_u32_e32 v52, vcc_lo, s3, v52, vcc_lo
	;; [unrolled: 3-line block ×3, first 2 shown]
	v_add_co_u32 v55, vcc_lo, s2, v55
	v_add_co_ci_u32_e32 v56, vcc_lo, s3, v56, vcc_lo
	s_delay_alu instid0(VALU_DEP_4)
	v_add_co_u32 v57, vcc_lo, s2, v57
	v_add_co_ci_u32_e32 v58, vcc_lo, s3, v58, vcc_lo
	v_lshlrev_b64 v[59:60], 3, v[104:105]
	s_waitcnt vmcnt(10)
	scratch_store_b128 off, v[61:64], off offset:80
	s_waitcnt vmcnt(8)
	scratch_store_b128 off, v[65:68], off offset:96
	s_clause 0x3
	global_load_b64 v[92:93], v[47:48], off
	global_load_b64 v[94:95], v[49:50], off
	;; [unrolled: 1-line block ×4, first 2 shown]
	s_waitcnt vmcnt(10)
	scratch_store_b128 off, v[69:72], off offset:112
	s_clause 0x1
	global_load_b64 v[100:101], v[55:56], off
	global_load_b64 v[102:103], v[57:58], off
	v_lshlrev_b64 v[61:62], 3, v[106:107]
	v_add_co_u32 v59, vcc_lo, s2, v59
	v_lshlrev_b64 v[63:64], 3, v[108:109]
	v_add_co_ci_u32_e32 v60, vcc_lo, s3, v60, vcc_lo
	s_delay_alu instid0(VALU_DEP_4)
	v_add_co_u32 v61, vcc_lo, s2, v61
	v_lshlrev_b64 v[65:66], 3, v[110:111]
	v_add_co_ci_u32_e32 v62, vcc_lo, s3, v62, vcc_lo
	v_add_co_u32 v63, vcc_lo, s2, v63
	v_lshlrev_b64 v[67:68], 3, v[112:113]
	v_add_co_ci_u32_e32 v64, vcc_lo, s3, v64, vcc_lo
	;; [unrolled: 3-line block ×4, first 2 shown]
	s_waitcnt vmcnt(10)
	scratch_store_b128 off, v[73:76], off offset:128
	v_add_co_u32 v69, vcc_lo, s2, v69
	v_lshlrev_b64 v[73:74], 3, v[118:119]
	v_add_co_ci_u32_e32 v70, vcc_lo, s3, v70, vcc_lo
	v_add_co_u32 v71, vcc_lo, s2, v71
	v_lshlrev_b64 v[75:76], 3, v[120:121]
	v_add_co_ci_u32_e32 v72, vcc_lo, s3, v72, vcc_lo
	global_load_b64 v[104:105], v[59:60], off
	s_waitcnt vmcnt(9)
	scratch_store_b128 off, v[77:80], off offset:144
	s_waitcnt vmcnt(7)
	scratch_store_b128 off, v[81:84], off offset:160
	v_add_co_u32 v73, vcc_lo, s2, v73
	v_lshlrev_b64 v[77:78], 3, v[122:123]
	v_add_co_ci_u32_e32 v74, vcc_lo, s3, v74, vcc_lo
	v_add_co_u32 v75, vcc_lo, s2, v75
	v_lshlrev_b64 v[79:80], 3, v[124:125]
	v_add_co_ci_u32_e32 v76, vcc_lo, s3, v76, vcc_lo
	v_add_co_u32 v77, vcc_lo, s2, v77
	v_add_co_ci_u32_e32 v78, vcc_lo, s3, v78, vcc_lo
	v_lshlrev_b64 v[83:84], 3, v[126:127]
	v_add_co_u32 v81, vcc_lo, s2, v79
	v_add_co_ci_u32_e32 v82, vcc_lo, s3, v80, vcc_lo
	v_lshlrev_b64 v[79:80], 3, v[128:129]
	s_delay_alu instid0(VALU_DEP_4)
	v_add_co_u32 v83, vcc_lo, s2, v83
	v_add_co_ci_u32_e32 v84, vcc_lo, s3, v84, vcc_lo
	s_clause 0x3
	global_load_b64 v[106:107], v[61:62], off
	global_load_b64 v[108:109], v[63:64], off
	;; [unrolled: 1-line block ×4, first 2 shown]
	v_add_co_u32 v79, vcc_lo, s2, v79
	v_add_co_ci_u32_e32 v80, vcc_lo, s3, v80, vcc_lo
	s_cselect_b32 s2, -1, 0
	s_cmpk_eq_i32 s1, 0x84
	s_waitcnt vmcnt(9)
	scratch_store_b128 off, v[92:95], off offset:176
	s_waitcnt vmcnt(7)
	scratch_store_b128 off, v[96:99], off offset:192
	s_clause 0x3
	global_load_b64 v[114:115], v[69:70], off
	global_load_b64 v[92:93], v[71:72], off
	;; [unrolled: 1-line block ×4, first 2 shown]
	s_waitcnt vmcnt(9)
	scratch_store_b128 off, v[100:103], off offset:208
	s_clause 0x3
	global_load_b64 v[98:99], v[77:78], off
	global_load_b64 v[100:101], v[81:82], off
	;; [unrolled: 1-line block ×4, first 2 shown]
	s_waitcnt vmcnt(11)
	scratch_store_b128 off, v[104:107], off offset:224
	s_waitcnt vmcnt(9)
	scratch_store_b128 off, v[108:111], off offset:240
	;; [unrolled: 2-line block ×7, first 2 shown]
	s_cbranch_scc1 .LBB105_3
; %bb.2:
	scratch_load_b64 v[85:86], v87, off
	s_waitcnt vmcnt(0)
	v_div_scale_f64 v[88:89], null, v[85:86], v[85:86], 1.0
	v_div_scale_f64 v[94:95], vcc_lo, 1.0, v[85:86], 1.0
	s_delay_alu instid0(VALU_DEP_2) | instskip(SKIP_2) | instid1(VALU_DEP_1)
	v_rcp_f64_e32 v[90:91], v[88:89]
	s_waitcnt_depctr 0xfff
	v_fma_f64 v[92:93], -v[88:89], v[90:91], 1.0
	v_fma_f64 v[90:91], v[90:91], v[92:93], v[90:91]
	s_delay_alu instid0(VALU_DEP_1) | instskip(NEXT) | instid1(VALU_DEP_1)
	v_fma_f64 v[92:93], -v[88:89], v[90:91], 1.0
	v_fma_f64 v[90:91], v[90:91], v[92:93], v[90:91]
	s_delay_alu instid0(VALU_DEP_1) | instskip(NEXT) | instid1(VALU_DEP_1)
	v_mul_f64 v[92:93], v[94:95], v[90:91]
	v_fma_f64 v[88:89], -v[88:89], v[92:93], v[94:95]
	s_delay_alu instid0(VALU_DEP_1) | instskip(NEXT) | instid1(VALU_DEP_1)
	v_div_fmas_f64 v[88:89], v[88:89], v[90:91], v[92:93]
	v_div_fixup_f64 v[85:86], v[88:89], v[85:86], 1.0
	scratch_store_b64 v87, v[85:86], off
	v_xor_b32_e32 v86, 0x80000000, v86
.LBB105_3:
	v_add_nc_u32_e32 v88, 0x150, v87
	v_add_nc_u32_e32 v89, 0, v87
	s_cmpk_eq_i32 s0, 0x79
	s_mov_b32 s0, -1
	ds_store_b64 v87, v[85:86]
	s_cbranch_scc1 .LBB105_409
; %bb.4:
	scratch_load_b64 v[85:86], off, off offset:320
	v_cmp_eq_u32_e64 s0, 41, v0
	s_movk_i32 s1, 0x50
	s_movk_i32 s3, 0x60
	;; [unrolled: 1-line block ×15, first 2 shown]
	s_waitcnt vmcnt(0)
	ds_store_b64 v88, v[85:86]
	s_waitcnt lgkmcnt(0)
	s_waitcnt_vscnt null, 0x0
	s_barrier
	buffer_gl0_inv
	s_and_saveexec_b32 s17, s0
	s_cbranch_execz .LBB105_10
; %bb.5:
	s_and_b32 vcc_lo, exec_lo, s2
	s_cbranch_vccz .LBB105_7
; %bb.6:
	scratch_load_b64 v[85:86], v89, off
	ds_load_b64 v[90:91], v88
	s_waitcnt vmcnt(0) lgkmcnt(0)
	v_mul_f64 v[85:86], v[85:86], v[90:91]
	s_cbranch_execz .LBB105_8
	s_branch .LBB105_9
.LBB105_7:
                                        ; implicit-def: $vgpr85_vgpr86
.LBB105_8:
	ds_load_b64 v[85:86], v88
.LBB105_9:
	v_mov_b32_e32 v90, 0
	ds_load_b64 v[90:91], v90 offset:320
	s_waitcnt lgkmcnt(0)
	v_mul_f64 v[85:86], v[85:86], v[90:91]
	scratch_store_b64 off, v[85:86], off offset:320
.LBB105_10:
	s_or_b32 exec_lo, exec_lo, s17
	scratch_load_b64 v[85:86], off, off offset:312
	v_add_nc_u32_e64 v90, 0, 16
	v_add_nc_u32_e64 v91, 0, 32
	;; [unrolled: 1-line block ×19, first 2 shown]
	v_cmp_lt_u32_e64 s1, 39, v0
	s_waitcnt vmcnt(0)
	ds_store_b64 v88, v[85:86]
	s_waitcnt lgkmcnt(0)
	s_waitcnt_vscnt null, 0x0
	s_barrier
	buffer_gl0_inv
	s_and_saveexec_b32 s3, s1
	s_cbranch_execz .LBB105_18
; %bb.11:
	s_and_not1_b32 vcc_lo, exec_lo, s2
	s_cbranch_vccnz .LBB105_13
; %bb.12:
	scratch_load_b64 v[85:86], v89, off
	ds_load_b64 v[109:110], v88
	s_waitcnt vmcnt(0) lgkmcnt(0)
	v_mul_f64 v[85:86], v[85:86], v[109:110]
	s_cbranch_execz .LBB105_14
	s_branch .LBB105_15
.LBB105_13:
                                        ; implicit-def: $vgpr85_vgpr86
.LBB105_14:
	ds_load_b64 v[85:86], v88
.LBB105_15:
	s_and_saveexec_b32 s4, s0
	s_cbranch_execz .LBB105_17
; %bb.16:
	scratch_load_b64 v[109:110], off, off offset:320
	v_mov_b32_e32 v111, 0
	ds_load_b64 v[111:112], v111 offset:656
	s_waitcnt vmcnt(0) lgkmcnt(0)
	v_fma_f64 v[85:86], v[109:110], v[111:112], v[85:86]
.LBB105_17:
	s_or_b32 exec_lo, exec_lo, s4
	v_mov_b32_e32 v109, 0
	ds_load_b64 v[109:110], v109 offset:312
	s_waitcnt lgkmcnt(0)
	v_mul_f64 v[85:86], v[85:86], v[109:110]
	scratch_store_b64 off, v[85:86], off offset:312
.LBB105_18:
	s_or_b32 exec_lo, exec_lo, s3
	scratch_load_b64 v[85:86], off, off offset:304
	v_cmp_lt_u32_e64 s0, 38, v0
	s_waitcnt vmcnt(0)
	ds_store_b64 v88, v[85:86]
	s_waitcnt lgkmcnt(0)
	s_waitcnt_vscnt null, 0x0
	s_barrier
	buffer_gl0_inv
	s_and_saveexec_b32 s3, s0
	s_cbranch_execz .LBB105_28
; %bb.19:
	s_and_not1_b32 vcc_lo, exec_lo, s2
	s_cbranch_vccnz .LBB105_21
; %bb.20:
	scratch_load_b64 v[85:86], v89, off
	ds_load_b64 v[109:110], v88
	s_waitcnt vmcnt(0) lgkmcnt(0)
	v_mul_f64 v[85:86], v[85:86], v[109:110]
	s_cbranch_execz .LBB105_22
	s_branch .LBB105_23
.LBB105_21:
                                        ; implicit-def: $vgpr85_vgpr86
.LBB105_22:
	ds_load_b64 v[85:86], v88
.LBB105_23:
	s_and_saveexec_b32 s4, s1
	s_cbranch_execz .LBB105_27
; %bb.24:
	v_mov_b32_e32 v109, 0
	v_subrev_nc_u32_e32 v110, 39, v0
	s_movk_i32 s5, 0x288
	s_mov_b32 s1, 0
	s_delay_alu instid0(VALU_DEP_2)
	v_add_nc_u32_e32 v109, 0x138, v109
.LBB105_25:                             ; =>This Inner Loop Header: Depth=1
	scratch_load_b64 v[111:112], v109, off
	v_dual_mov_b32 v113, s5 :: v_dual_add_nc_u32 v110, -1, v110
	v_add_nc_u32_e32 v109, 8, v109
	s_add_i32 s5, s5, 8
	ds_load_b64 v[113:114], v113
	v_cmp_eq_u32_e32 vcc_lo, 0, v110
	s_or_b32 s1, vcc_lo, s1
	s_waitcnt vmcnt(0) lgkmcnt(0)
	v_fma_f64 v[85:86], v[111:112], v[113:114], v[85:86]
	s_and_not1_b32 exec_lo, exec_lo, s1
	s_cbranch_execnz .LBB105_25
; %bb.26:
	s_or_b32 exec_lo, exec_lo, s1
.LBB105_27:
	s_delay_alu instid0(SALU_CYCLE_1)
	s_or_b32 exec_lo, exec_lo, s4
	v_mov_b32_e32 v109, 0
	ds_load_b64 v[109:110], v109 offset:304
	s_waitcnt lgkmcnt(0)
	v_mul_f64 v[85:86], v[85:86], v[109:110]
	scratch_store_b64 off, v[85:86], off offset:304
.LBB105_28:
	s_or_b32 exec_lo, exec_lo, s3
	scratch_load_b64 v[85:86], off, off offset:296
	v_cmp_lt_u32_e64 s1, 37, v0
	s_waitcnt vmcnt(0)
	ds_store_b64 v88, v[85:86]
	s_waitcnt lgkmcnt(0)
	s_waitcnt_vscnt null, 0x0
	s_barrier
	buffer_gl0_inv
	s_and_saveexec_b32 s3, s1
	s_cbranch_execz .LBB105_38
; %bb.29:
	s_and_not1_b32 vcc_lo, exec_lo, s2
	s_cbranch_vccnz .LBB105_31
; %bb.30:
	scratch_load_b64 v[85:86], v89, off
	ds_load_b64 v[109:110], v88
	s_waitcnt vmcnt(0) lgkmcnt(0)
	v_mul_f64 v[85:86], v[85:86], v[109:110]
	s_cbranch_execz .LBB105_32
	s_branch .LBB105_33
.LBB105_31:
                                        ; implicit-def: $vgpr85_vgpr86
.LBB105_32:
	ds_load_b64 v[85:86], v88
.LBB105_33:
	s_and_saveexec_b32 s4, s0
	s_cbranch_execz .LBB105_37
; %bb.34:
	v_subrev_nc_u32_e32 v109, 38, v0
	s_movk_i32 s5, 0x280
	s_mov_b32 s0, 0
.LBB105_35:                             ; =>This Inner Loop Header: Depth=1
	scratch_load_b64 v[110:111], v108, off
	v_dual_mov_b32 v112, s5 :: v_dual_add_nc_u32 v109, -1, v109
	v_add_nc_u32_e32 v108, 8, v108
	s_add_i32 s5, s5, 8
	ds_load_b64 v[112:113], v112
	v_cmp_eq_u32_e32 vcc_lo, 0, v109
	s_or_b32 s0, vcc_lo, s0
	s_waitcnt vmcnt(0) lgkmcnt(0)
	v_fma_f64 v[85:86], v[110:111], v[112:113], v[85:86]
	s_and_not1_b32 exec_lo, exec_lo, s0
	s_cbranch_execnz .LBB105_35
; %bb.36:
	s_or_b32 exec_lo, exec_lo, s0
.LBB105_37:
	s_delay_alu instid0(SALU_CYCLE_1)
	s_or_b32 exec_lo, exec_lo, s4
	v_mov_b32_e32 v108, 0
	ds_load_b64 v[108:109], v108 offset:296
	s_waitcnt lgkmcnt(0)
	v_mul_f64 v[85:86], v[85:86], v[108:109]
	scratch_store_b64 off, v[85:86], off offset:296
.LBB105_38:
	s_or_b32 exec_lo, exec_lo, s3
	scratch_load_b64 v[85:86], off, off offset:288
	v_cmp_lt_u32_e64 s0, 36, v0
	s_waitcnt vmcnt(0)
	ds_store_b64 v88, v[85:86]
	s_waitcnt lgkmcnt(0)
	s_waitcnt_vscnt null, 0x0
	s_barrier
	buffer_gl0_inv
	s_and_saveexec_b32 s3, s0
	s_cbranch_execz .LBB105_48
; %bb.39:
	s_and_not1_b32 vcc_lo, exec_lo, s2
	s_cbranch_vccnz .LBB105_41
; %bb.40:
	scratch_load_b64 v[85:86], v89, off
	ds_load_b64 v[108:109], v88
	s_waitcnt vmcnt(0) lgkmcnt(0)
	v_mul_f64 v[85:86], v[85:86], v[108:109]
	s_cbranch_execz .LBB105_42
	s_branch .LBB105_43
.LBB105_41:
                                        ; implicit-def: $vgpr85_vgpr86
.LBB105_42:
	ds_load_b64 v[85:86], v88
.LBB105_43:
	s_and_saveexec_b32 s4, s1
	s_cbranch_execz .LBB105_47
; %bb.44:
	v_mov_b32_e32 v108, 0
	v_subrev_nc_u32_e32 v109, 37, v0
	s_movk_i32 s5, 0x278
	s_mov_b32 s1, 0
	s_delay_alu instid0(VALU_DEP_2)
	v_add_nc_u32_e32 v108, 0x128, v108
.LBB105_45:                             ; =>This Inner Loop Header: Depth=1
	scratch_load_b64 v[110:111], v108, off
	v_dual_mov_b32 v112, s5 :: v_dual_add_nc_u32 v109, -1, v109
	v_add_nc_u32_e32 v108, 8, v108
	s_add_i32 s5, s5, 8
	ds_load_b64 v[112:113], v112
	v_cmp_eq_u32_e32 vcc_lo, 0, v109
	s_or_b32 s1, vcc_lo, s1
	s_waitcnt vmcnt(0) lgkmcnt(0)
	v_fma_f64 v[85:86], v[110:111], v[112:113], v[85:86]
	s_and_not1_b32 exec_lo, exec_lo, s1
	s_cbranch_execnz .LBB105_45
; %bb.46:
	s_or_b32 exec_lo, exec_lo, s1
.LBB105_47:
	s_delay_alu instid0(SALU_CYCLE_1)
	s_or_b32 exec_lo, exec_lo, s4
	v_mov_b32_e32 v108, 0
	ds_load_b64 v[108:109], v108 offset:288
	s_waitcnt lgkmcnt(0)
	v_mul_f64 v[85:86], v[85:86], v[108:109]
	scratch_store_b64 off, v[85:86], off offset:288
.LBB105_48:
	s_or_b32 exec_lo, exec_lo, s3
	scratch_load_b64 v[85:86], off, off offset:280
	v_cmp_lt_u32_e64 s1, 35, v0
	s_waitcnt vmcnt(0)
	ds_store_b64 v88, v[85:86]
	s_waitcnt lgkmcnt(0)
	s_waitcnt_vscnt null, 0x0
	s_barrier
	buffer_gl0_inv
	s_and_saveexec_b32 s3, s1
	s_cbranch_execz .LBB105_58
; %bb.49:
	s_and_not1_b32 vcc_lo, exec_lo, s2
	s_cbranch_vccnz .LBB105_51
; %bb.50:
	scratch_load_b64 v[85:86], v89, off
	ds_load_b64 v[108:109], v88
	s_waitcnt vmcnt(0) lgkmcnt(0)
	v_mul_f64 v[85:86], v[85:86], v[108:109]
	s_cbranch_execz .LBB105_52
	s_branch .LBB105_53
.LBB105_51:
                                        ; implicit-def: $vgpr85_vgpr86
.LBB105_52:
	ds_load_b64 v[85:86], v88
.LBB105_53:
	s_and_saveexec_b32 s4, s0
	s_cbranch_execz .LBB105_57
; %bb.54:
	v_subrev_nc_u32_e32 v108, 36, v0
	s_movk_i32 s5, 0x270
	s_mov_b32 s0, 0
.LBB105_55:                             ; =>This Inner Loop Header: Depth=1
	scratch_load_b64 v[109:110], v107, off
	v_dual_mov_b32 v111, s5 :: v_dual_add_nc_u32 v108, -1, v108
	v_add_nc_u32_e32 v107, 8, v107
	s_add_i32 s5, s5, 8
	ds_load_b64 v[111:112], v111
	v_cmp_eq_u32_e32 vcc_lo, 0, v108
	s_or_b32 s0, vcc_lo, s0
	s_waitcnt vmcnt(0) lgkmcnt(0)
	v_fma_f64 v[85:86], v[109:110], v[111:112], v[85:86]
	s_and_not1_b32 exec_lo, exec_lo, s0
	s_cbranch_execnz .LBB105_55
; %bb.56:
	s_or_b32 exec_lo, exec_lo, s0
.LBB105_57:
	s_delay_alu instid0(SALU_CYCLE_1)
	s_or_b32 exec_lo, exec_lo, s4
	v_mov_b32_e32 v107, 0
	ds_load_b64 v[107:108], v107 offset:280
	s_waitcnt lgkmcnt(0)
	v_mul_f64 v[85:86], v[85:86], v[107:108]
	scratch_store_b64 off, v[85:86], off offset:280
.LBB105_58:
	s_or_b32 exec_lo, exec_lo, s3
	scratch_load_b64 v[85:86], off, off offset:272
	v_cmp_lt_u32_e64 s0, 34, v0
	s_waitcnt vmcnt(0)
	ds_store_b64 v88, v[85:86]
	s_waitcnt lgkmcnt(0)
	s_waitcnt_vscnt null, 0x0
	s_barrier
	buffer_gl0_inv
	s_and_saveexec_b32 s3, s0
	s_cbranch_execz .LBB105_68
; %bb.59:
	s_and_not1_b32 vcc_lo, exec_lo, s2
	s_cbranch_vccnz .LBB105_61
; %bb.60:
	scratch_load_b64 v[85:86], v89, off
	ds_load_b64 v[107:108], v88
	s_waitcnt vmcnt(0) lgkmcnt(0)
	v_mul_f64 v[85:86], v[85:86], v[107:108]
	s_cbranch_execz .LBB105_62
	s_branch .LBB105_63
.LBB105_61:
                                        ; implicit-def: $vgpr85_vgpr86
.LBB105_62:
	ds_load_b64 v[85:86], v88
.LBB105_63:
	s_and_saveexec_b32 s4, s1
	s_cbranch_execz .LBB105_67
; %bb.64:
	v_mov_b32_e32 v107, 0
	v_subrev_nc_u32_e32 v108, 35, v0
	s_movk_i32 s5, 0x268
	s_mov_b32 s1, 0
	s_delay_alu instid0(VALU_DEP_2)
	v_add_nc_u32_e32 v107, 0x118, v107
.LBB105_65:                             ; =>This Inner Loop Header: Depth=1
	scratch_load_b64 v[109:110], v107, off
	v_dual_mov_b32 v111, s5 :: v_dual_add_nc_u32 v108, -1, v108
	v_add_nc_u32_e32 v107, 8, v107
	s_add_i32 s5, s5, 8
	ds_load_b64 v[111:112], v111
	v_cmp_eq_u32_e32 vcc_lo, 0, v108
	s_or_b32 s1, vcc_lo, s1
	s_waitcnt vmcnt(0) lgkmcnt(0)
	v_fma_f64 v[85:86], v[109:110], v[111:112], v[85:86]
	s_and_not1_b32 exec_lo, exec_lo, s1
	s_cbranch_execnz .LBB105_65
; %bb.66:
	s_or_b32 exec_lo, exec_lo, s1
.LBB105_67:
	s_delay_alu instid0(SALU_CYCLE_1)
	s_or_b32 exec_lo, exec_lo, s4
	v_mov_b32_e32 v107, 0
	ds_load_b64 v[107:108], v107 offset:272
	s_waitcnt lgkmcnt(0)
	v_mul_f64 v[85:86], v[85:86], v[107:108]
	scratch_store_b64 off, v[85:86], off offset:272
.LBB105_68:
	s_or_b32 exec_lo, exec_lo, s3
	scratch_load_b64 v[85:86], off, off offset:264
	v_cmp_lt_u32_e64 s1, 33, v0
	s_waitcnt vmcnt(0)
	ds_store_b64 v88, v[85:86]
	s_waitcnt lgkmcnt(0)
	s_waitcnt_vscnt null, 0x0
	s_barrier
	buffer_gl0_inv
	s_and_saveexec_b32 s3, s1
	s_cbranch_execz .LBB105_78
; %bb.69:
	s_and_not1_b32 vcc_lo, exec_lo, s2
	s_cbranch_vccnz .LBB105_71
; %bb.70:
	scratch_load_b64 v[85:86], v89, off
	ds_load_b64 v[107:108], v88
	s_waitcnt vmcnt(0) lgkmcnt(0)
	v_mul_f64 v[85:86], v[85:86], v[107:108]
	s_cbranch_execz .LBB105_72
	s_branch .LBB105_73
.LBB105_71:
                                        ; implicit-def: $vgpr85_vgpr86
.LBB105_72:
	ds_load_b64 v[85:86], v88
.LBB105_73:
	s_and_saveexec_b32 s4, s0
	s_cbranch_execz .LBB105_77
; %bb.74:
	v_subrev_nc_u32_e32 v107, 34, v0
	s_movk_i32 s5, 0x260
	s_mov_b32 s0, 0
.LBB105_75:                             ; =>This Inner Loop Header: Depth=1
	scratch_load_b64 v[108:109], v106, off
	v_dual_mov_b32 v110, s5 :: v_dual_add_nc_u32 v107, -1, v107
	v_add_nc_u32_e32 v106, 8, v106
	s_add_i32 s5, s5, 8
	ds_load_b64 v[110:111], v110
	v_cmp_eq_u32_e32 vcc_lo, 0, v107
	s_or_b32 s0, vcc_lo, s0
	s_waitcnt vmcnt(0) lgkmcnt(0)
	v_fma_f64 v[85:86], v[108:109], v[110:111], v[85:86]
	s_and_not1_b32 exec_lo, exec_lo, s0
	s_cbranch_execnz .LBB105_75
; %bb.76:
	s_or_b32 exec_lo, exec_lo, s0
.LBB105_77:
	s_delay_alu instid0(SALU_CYCLE_1)
	s_or_b32 exec_lo, exec_lo, s4
	v_mov_b32_e32 v106, 0
	ds_load_b64 v[106:107], v106 offset:264
	s_waitcnt lgkmcnt(0)
	v_mul_f64 v[85:86], v[85:86], v[106:107]
	scratch_store_b64 off, v[85:86], off offset:264
.LBB105_78:
	s_or_b32 exec_lo, exec_lo, s3
	scratch_load_b64 v[85:86], off, off offset:256
	v_cmp_lt_u32_e64 s0, 32, v0
	s_waitcnt vmcnt(0)
	ds_store_b64 v88, v[85:86]
	s_waitcnt lgkmcnt(0)
	s_waitcnt_vscnt null, 0x0
	s_barrier
	buffer_gl0_inv
	s_and_saveexec_b32 s3, s0
	s_cbranch_execz .LBB105_88
; %bb.79:
	s_and_not1_b32 vcc_lo, exec_lo, s2
	s_cbranch_vccnz .LBB105_81
; %bb.80:
	scratch_load_b64 v[85:86], v89, off
	ds_load_b64 v[106:107], v88
	s_waitcnt vmcnt(0) lgkmcnt(0)
	v_mul_f64 v[85:86], v[85:86], v[106:107]
	s_cbranch_execz .LBB105_82
	s_branch .LBB105_83
.LBB105_81:
                                        ; implicit-def: $vgpr85_vgpr86
.LBB105_82:
	ds_load_b64 v[85:86], v88
.LBB105_83:
	s_and_saveexec_b32 s4, s1
	s_cbranch_execz .LBB105_87
; %bb.84:
	v_mov_b32_e32 v106, 0
	v_subrev_nc_u32_e32 v107, 33, v0
	s_movk_i32 s5, 0x258
	s_mov_b32 s1, 0
	s_delay_alu instid0(VALU_DEP_2)
	v_add_nc_u32_e32 v106, 0x108, v106
.LBB105_85:                             ; =>This Inner Loop Header: Depth=1
	scratch_load_b64 v[108:109], v106, off
	v_dual_mov_b32 v110, s5 :: v_dual_add_nc_u32 v107, -1, v107
	v_add_nc_u32_e32 v106, 8, v106
	s_add_i32 s5, s5, 8
	ds_load_b64 v[110:111], v110
	v_cmp_eq_u32_e32 vcc_lo, 0, v107
	s_or_b32 s1, vcc_lo, s1
	s_waitcnt vmcnt(0) lgkmcnt(0)
	v_fma_f64 v[85:86], v[108:109], v[110:111], v[85:86]
	s_and_not1_b32 exec_lo, exec_lo, s1
	s_cbranch_execnz .LBB105_85
; %bb.86:
	s_or_b32 exec_lo, exec_lo, s1
.LBB105_87:
	s_delay_alu instid0(SALU_CYCLE_1)
	s_or_b32 exec_lo, exec_lo, s4
	v_mov_b32_e32 v106, 0
	ds_load_b64 v[106:107], v106 offset:256
	s_waitcnt lgkmcnt(0)
	v_mul_f64 v[85:86], v[85:86], v[106:107]
	scratch_store_b64 off, v[85:86], off offset:256
.LBB105_88:
	s_or_b32 exec_lo, exec_lo, s3
	scratch_load_b64 v[85:86], off, off offset:248
	v_cmp_lt_u32_e64 s1, 31, v0
	s_waitcnt vmcnt(0)
	ds_store_b64 v88, v[85:86]
	s_waitcnt lgkmcnt(0)
	s_waitcnt_vscnt null, 0x0
	s_barrier
	buffer_gl0_inv
	s_and_saveexec_b32 s3, s1
	s_cbranch_execz .LBB105_98
; %bb.89:
	s_and_not1_b32 vcc_lo, exec_lo, s2
	s_cbranch_vccnz .LBB105_91
; %bb.90:
	scratch_load_b64 v[85:86], v89, off
	ds_load_b64 v[106:107], v88
	s_waitcnt vmcnt(0) lgkmcnt(0)
	v_mul_f64 v[85:86], v[85:86], v[106:107]
	s_cbranch_execz .LBB105_92
	s_branch .LBB105_93
.LBB105_91:
                                        ; implicit-def: $vgpr85_vgpr86
.LBB105_92:
	ds_load_b64 v[85:86], v88
.LBB105_93:
	s_and_saveexec_b32 s4, s0
	s_cbranch_execz .LBB105_97
; %bb.94:
	v_subrev_nc_u32_e32 v106, 32, v0
	s_movk_i32 s5, 0x250
	s_mov_b32 s0, 0
.LBB105_95:                             ; =>This Inner Loop Header: Depth=1
	scratch_load_b64 v[107:108], v105, off
	v_dual_mov_b32 v109, s5 :: v_dual_add_nc_u32 v106, -1, v106
	v_add_nc_u32_e32 v105, 8, v105
	s_add_i32 s5, s5, 8
	ds_load_b64 v[109:110], v109
	v_cmp_eq_u32_e32 vcc_lo, 0, v106
	s_or_b32 s0, vcc_lo, s0
	s_waitcnt vmcnt(0) lgkmcnt(0)
	v_fma_f64 v[85:86], v[107:108], v[109:110], v[85:86]
	s_and_not1_b32 exec_lo, exec_lo, s0
	s_cbranch_execnz .LBB105_95
; %bb.96:
	s_or_b32 exec_lo, exec_lo, s0
.LBB105_97:
	s_delay_alu instid0(SALU_CYCLE_1)
	s_or_b32 exec_lo, exec_lo, s4
	v_mov_b32_e32 v105, 0
	ds_load_b64 v[105:106], v105 offset:248
	s_waitcnt lgkmcnt(0)
	v_mul_f64 v[85:86], v[85:86], v[105:106]
	scratch_store_b64 off, v[85:86], off offset:248
.LBB105_98:
	s_or_b32 exec_lo, exec_lo, s3
	scratch_load_b64 v[85:86], off, off offset:240
	v_cmp_lt_u32_e64 s0, 30, v0
	s_waitcnt vmcnt(0)
	ds_store_b64 v88, v[85:86]
	s_waitcnt lgkmcnt(0)
	s_waitcnt_vscnt null, 0x0
	s_barrier
	buffer_gl0_inv
	s_and_saveexec_b32 s3, s0
	s_cbranch_execz .LBB105_108
; %bb.99:
	s_and_not1_b32 vcc_lo, exec_lo, s2
	s_cbranch_vccnz .LBB105_101
; %bb.100:
	scratch_load_b64 v[85:86], v89, off
	ds_load_b64 v[105:106], v88
	s_waitcnt vmcnt(0) lgkmcnt(0)
	v_mul_f64 v[85:86], v[85:86], v[105:106]
	s_cbranch_execz .LBB105_102
	s_branch .LBB105_103
.LBB105_101:
                                        ; implicit-def: $vgpr85_vgpr86
.LBB105_102:
	ds_load_b64 v[85:86], v88
.LBB105_103:
	s_and_saveexec_b32 s4, s1
	s_cbranch_execz .LBB105_107
; %bb.104:
	v_mov_b32_e32 v105, 0
	v_subrev_nc_u32_e32 v106, 31, v0
	s_movk_i32 s5, 0x248
	s_mov_b32 s1, 0
	s_delay_alu instid0(VALU_DEP_2)
	v_add_nc_u32_e32 v105, 0xf8, v105
.LBB105_105:                            ; =>This Inner Loop Header: Depth=1
	scratch_load_b64 v[107:108], v105, off
	v_dual_mov_b32 v109, s5 :: v_dual_add_nc_u32 v106, -1, v106
	v_add_nc_u32_e32 v105, 8, v105
	s_add_i32 s5, s5, 8
	ds_load_b64 v[109:110], v109
	v_cmp_eq_u32_e32 vcc_lo, 0, v106
	s_or_b32 s1, vcc_lo, s1
	s_waitcnt vmcnt(0) lgkmcnt(0)
	v_fma_f64 v[85:86], v[107:108], v[109:110], v[85:86]
	s_and_not1_b32 exec_lo, exec_lo, s1
	s_cbranch_execnz .LBB105_105
; %bb.106:
	s_or_b32 exec_lo, exec_lo, s1
.LBB105_107:
	s_delay_alu instid0(SALU_CYCLE_1)
	s_or_b32 exec_lo, exec_lo, s4
	v_mov_b32_e32 v105, 0
	ds_load_b64 v[105:106], v105 offset:240
	s_waitcnt lgkmcnt(0)
	v_mul_f64 v[85:86], v[85:86], v[105:106]
	scratch_store_b64 off, v[85:86], off offset:240
.LBB105_108:
	s_or_b32 exec_lo, exec_lo, s3
	scratch_load_b64 v[85:86], off, off offset:232
	v_cmp_lt_u32_e64 s1, 29, v0
	s_waitcnt vmcnt(0)
	ds_store_b64 v88, v[85:86]
	s_waitcnt lgkmcnt(0)
	s_waitcnt_vscnt null, 0x0
	s_barrier
	buffer_gl0_inv
	s_and_saveexec_b32 s3, s1
	s_cbranch_execz .LBB105_118
; %bb.109:
	s_and_not1_b32 vcc_lo, exec_lo, s2
	s_cbranch_vccnz .LBB105_111
; %bb.110:
	scratch_load_b64 v[85:86], v89, off
	ds_load_b64 v[105:106], v88
	s_waitcnt vmcnt(0) lgkmcnt(0)
	v_mul_f64 v[85:86], v[85:86], v[105:106]
	s_cbranch_execz .LBB105_112
	s_branch .LBB105_113
.LBB105_111:
                                        ; implicit-def: $vgpr85_vgpr86
.LBB105_112:
	ds_load_b64 v[85:86], v88
.LBB105_113:
	s_and_saveexec_b32 s4, s0
	s_cbranch_execz .LBB105_117
; %bb.114:
	v_subrev_nc_u32_e32 v105, 30, v0
	s_movk_i32 s5, 0x240
	s_mov_b32 s0, 0
.LBB105_115:                            ; =>This Inner Loop Header: Depth=1
	scratch_load_b64 v[106:107], v104, off
	v_dual_mov_b32 v108, s5 :: v_dual_add_nc_u32 v105, -1, v105
	v_add_nc_u32_e32 v104, 8, v104
	s_add_i32 s5, s5, 8
	ds_load_b64 v[108:109], v108
	v_cmp_eq_u32_e32 vcc_lo, 0, v105
	s_or_b32 s0, vcc_lo, s0
	s_waitcnt vmcnt(0) lgkmcnt(0)
	v_fma_f64 v[85:86], v[106:107], v[108:109], v[85:86]
	s_and_not1_b32 exec_lo, exec_lo, s0
	s_cbranch_execnz .LBB105_115
; %bb.116:
	s_or_b32 exec_lo, exec_lo, s0
.LBB105_117:
	s_delay_alu instid0(SALU_CYCLE_1)
	s_or_b32 exec_lo, exec_lo, s4
	v_mov_b32_e32 v104, 0
	ds_load_b64 v[104:105], v104 offset:232
	s_waitcnt lgkmcnt(0)
	v_mul_f64 v[85:86], v[85:86], v[104:105]
	scratch_store_b64 off, v[85:86], off offset:232
.LBB105_118:
	s_or_b32 exec_lo, exec_lo, s3
	scratch_load_b64 v[85:86], off, off offset:224
	v_cmp_lt_u32_e64 s0, 28, v0
	s_waitcnt vmcnt(0)
	ds_store_b64 v88, v[85:86]
	s_waitcnt lgkmcnt(0)
	s_waitcnt_vscnt null, 0x0
	s_barrier
	buffer_gl0_inv
	s_and_saveexec_b32 s3, s0
	s_cbranch_execz .LBB105_128
; %bb.119:
	s_and_not1_b32 vcc_lo, exec_lo, s2
	s_cbranch_vccnz .LBB105_121
; %bb.120:
	scratch_load_b64 v[85:86], v89, off
	ds_load_b64 v[104:105], v88
	s_waitcnt vmcnt(0) lgkmcnt(0)
	v_mul_f64 v[85:86], v[85:86], v[104:105]
	s_cbranch_execz .LBB105_122
	s_branch .LBB105_123
.LBB105_121:
                                        ; implicit-def: $vgpr85_vgpr86
.LBB105_122:
	ds_load_b64 v[85:86], v88
.LBB105_123:
	s_and_saveexec_b32 s4, s1
	s_cbranch_execz .LBB105_127
; %bb.124:
	v_mov_b32_e32 v104, 0
	v_subrev_nc_u32_e32 v105, 29, v0
	s_movk_i32 s5, 0x238
	s_mov_b32 s1, 0
	s_delay_alu instid0(VALU_DEP_2)
	v_add_nc_u32_e32 v104, 0xe8, v104
.LBB105_125:                            ; =>This Inner Loop Header: Depth=1
	scratch_load_b64 v[106:107], v104, off
	v_dual_mov_b32 v108, s5 :: v_dual_add_nc_u32 v105, -1, v105
	v_add_nc_u32_e32 v104, 8, v104
	s_add_i32 s5, s5, 8
	ds_load_b64 v[108:109], v108
	v_cmp_eq_u32_e32 vcc_lo, 0, v105
	s_or_b32 s1, vcc_lo, s1
	s_waitcnt vmcnt(0) lgkmcnt(0)
	v_fma_f64 v[85:86], v[106:107], v[108:109], v[85:86]
	s_and_not1_b32 exec_lo, exec_lo, s1
	s_cbranch_execnz .LBB105_125
; %bb.126:
	s_or_b32 exec_lo, exec_lo, s1
.LBB105_127:
	s_delay_alu instid0(SALU_CYCLE_1)
	s_or_b32 exec_lo, exec_lo, s4
	v_mov_b32_e32 v104, 0
	ds_load_b64 v[104:105], v104 offset:224
	s_waitcnt lgkmcnt(0)
	v_mul_f64 v[85:86], v[85:86], v[104:105]
	scratch_store_b64 off, v[85:86], off offset:224
.LBB105_128:
	s_or_b32 exec_lo, exec_lo, s3
	scratch_load_b64 v[85:86], off, off offset:216
	v_cmp_lt_u32_e64 s1, 27, v0
	s_waitcnt vmcnt(0)
	ds_store_b64 v88, v[85:86]
	s_waitcnt lgkmcnt(0)
	s_waitcnt_vscnt null, 0x0
	s_barrier
	buffer_gl0_inv
	s_and_saveexec_b32 s3, s1
	s_cbranch_execz .LBB105_138
; %bb.129:
	s_and_not1_b32 vcc_lo, exec_lo, s2
	s_cbranch_vccnz .LBB105_131
; %bb.130:
	scratch_load_b64 v[85:86], v89, off
	ds_load_b64 v[104:105], v88
	s_waitcnt vmcnt(0) lgkmcnt(0)
	v_mul_f64 v[85:86], v[85:86], v[104:105]
	s_cbranch_execz .LBB105_132
	s_branch .LBB105_133
.LBB105_131:
                                        ; implicit-def: $vgpr85_vgpr86
.LBB105_132:
	ds_load_b64 v[85:86], v88
.LBB105_133:
	s_and_saveexec_b32 s4, s0
	s_cbranch_execz .LBB105_137
; %bb.134:
	v_subrev_nc_u32_e32 v104, 28, v0
	s_movk_i32 s5, 0x230
	s_mov_b32 s0, 0
.LBB105_135:                            ; =>This Inner Loop Header: Depth=1
	scratch_load_b64 v[105:106], v103, off
	v_dual_mov_b32 v107, s5 :: v_dual_add_nc_u32 v104, -1, v104
	v_add_nc_u32_e32 v103, 8, v103
	s_add_i32 s5, s5, 8
	ds_load_b64 v[107:108], v107
	v_cmp_eq_u32_e32 vcc_lo, 0, v104
	s_or_b32 s0, vcc_lo, s0
	s_waitcnt vmcnt(0) lgkmcnt(0)
	v_fma_f64 v[85:86], v[105:106], v[107:108], v[85:86]
	s_and_not1_b32 exec_lo, exec_lo, s0
	s_cbranch_execnz .LBB105_135
; %bb.136:
	s_or_b32 exec_lo, exec_lo, s0
.LBB105_137:
	s_delay_alu instid0(SALU_CYCLE_1)
	s_or_b32 exec_lo, exec_lo, s4
	v_mov_b32_e32 v103, 0
	ds_load_b64 v[103:104], v103 offset:216
	s_waitcnt lgkmcnt(0)
	v_mul_f64 v[85:86], v[85:86], v[103:104]
	scratch_store_b64 off, v[85:86], off offset:216
.LBB105_138:
	s_or_b32 exec_lo, exec_lo, s3
	scratch_load_b64 v[85:86], off, off offset:208
	v_cmp_lt_u32_e64 s0, 26, v0
	s_waitcnt vmcnt(0)
	ds_store_b64 v88, v[85:86]
	s_waitcnt lgkmcnt(0)
	s_waitcnt_vscnt null, 0x0
	s_barrier
	buffer_gl0_inv
	s_and_saveexec_b32 s3, s0
	s_cbranch_execz .LBB105_148
; %bb.139:
	s_and_not1_b32 vcc_lo, exec_lo, s2
	s_cbranch_vccnz .LBB105_141
; %bb.140:
	scratch_load_b64 v[85:86], v89, off
	ds_load_b64 v[103:104], v88
	s_waitcnt vmcnt(0) lgkmcnt(0)
	v_mul_f64 v[85:86], v[85:86], v[103:104]
	s_cbranch_execz .LBB105_142
	s_branch .LBB105_143
.LBB105_141:
                                        ; implicit-def: $vgpr85_vgpr86
.LBB105_142:
	ds_load_b64 v[85:86], v88
.LBB105_143:
	s_and_saveexec_b32 s4, s1
	s_cbranch_execz .LBB105_147
; %bb.144:
	v_mov_b32_e32 v103, 0
	v_subrev_nc_u32_e32 v104, 27, v0
	s_movk_i32 s5, 0x228
	s_mov_b32 s1, 0
	s_delay_alu instid0(VALU_DEP_2)
	v_add_nc_u32_e32 v103, 0xd8, v103
.LBB105_145:                            ; =>This Inner Loop Header: Depth=1
	scratch_load_b64 v[105:106], v103, off
	v_dual_mov_b32 v107, s5 :: v_dual_add_nc_u32 v104, -1, v104
	v_add_nc_u32_e32 v103, 8, v103
	s_add_i32 s5, s5, 8
	ds_load_b64 v[107:108], v107
	v_cmp_eq_u32_e32 vcc_lo, 0, v104
	s_or_b32 s1, vcc_lo, s1
	s_waitcnt vmcnt(0) lgkmcnt(0)
	v_fma_f64 v[85:86], v[105:106], v[107:108], v[85:86]
	s_and_not1_b32 exec_lo, exec_lo, s1
	s_cbranch_execnz .LBB105_145
; %bb.146:
	s_or_b32 exec_lo, exec_lo, s1
.LBB105_147:
	s_delay_alu instid0(SALU_CYCLE_1)
	s_or_b32 exec_lo, exec_lo, s4
	v_mov_b32_e32 v103, 0
	ds_load_b64 v[103:104], v103 offset:208
	s_waitcnt lgkmcnt(0)
	v_mul_f64 v[85:86], v[85:86], v[103:104]
	scratch_store_b64 off, v[85:86], off offset:208
.LBB105_148:
	s_or_b32 exec_lo, exec_lo, s3
	scratch_load_b64 v[85:86], off, off offset:200
	v_cmp_lt_u32_e64 s1, 25, v0
	s_waitcnt vmcnt(0)
	ds_store_b64 v88, v[85:86]
	s_waitcnt lgkmcnt(0)
	s_waitcnt_vscnt null, 0x0
	s_barrier
	buffer_gl0_inv
	s_and_saveexec_b32 s3, s1
	s_cbranch_execz .LBB105_158
; %bb.149:
	s_and_not1_b32 vcc_lo, exec_lo, s2
	s_cbranch_vccnz .LBB105_151
; %bb.150:
	scratch_load_b64 v[85:86], v89, off
	ds_load_b64 v[103:104], v88
	s_waitcnt vmcnt(0) lgkmcnt(0)
	v_mul_f64 v[85:86], v[85:86], v[103:104]
	s_cbranch_execz .LBB105_152
	s_branch .LBB105_153
.LBB105_151:
                                        ; implicit-def: $vgpr85_vgpr86
.LBB105_152:
	ds_load_b64 v[85:86], v88
.LBB105_153:
	s_and_saveexec_b32 s4, s0
	s_cbranch_execz .LBB105_157
; %bb.154:
	v_subrev_nc_u32_e32 v103, 26, v0
	s_movk_i32 s5, 0x220
	s_mov_b32 s0, 0
.LBB105_155:                            ; =>This Inner Loop Header: Depth=1
	scratch_load_b64 v[104:105], v102, off
	v_dual_mov_b32 v106, s5 :: v_dual_add_nc_u32 v103, -1, v103
	v_add_nc_u32_e32 v102, 8, v102
	s_add_i32 s5, s5, 8
	ds_load_b64 v[106:107], v106
	v_cmp_eq_u32_e32 vcc_lo, 0, v103
	s_or_b32 s0, vcc_lo, s0
	s_waitcnt vmcnt(0) lgkmcnt(0)
	v_fma_f64 v[85:86], v[104:105], v[106:107], v[85:86]
	s_and_not1_b32 exec_lo, exec_lo, s0
	s_cbranch_execnz .LBB105_155
; %bb.156:
	s_or_b32 exec_lo, exec_lo, s0
.LBB105_157:
	s_delay_alu instid0(SALU_CYCLE_1)
	s_or_b32 exec_lo, exec_lo, s4
	v_mov_b32_e32 v102, 0
	ds_load_b64 v[102:103], v102 offset:200
	s_waitcnt lgkmcnt(0)
	v_mul_f64 v[85:86], v[85:86], v[102:103]
	scratch_store_b64 off, v[85:86], off offset:200
.LBB105_158:
	s_or_b32 exec_lo, exec_lo, s3
	scratch_load_b64 v[85:86], off, off offset:192
	v_cmp_lt_u32_e64 s0, 24, v0
	s_waitcnt vmcnt(0)
	ds_store_b64 v88, v[85:86]
	s_waitcnt lgkmcnt(0)
	s_waitcnt_vscnt null, 0x0
	s_barrier
	buffer_gl0_inv
	s_and_saveexec_b32 s3, s0
	s_cbranch_execz .LBB105_168
; %bb.159:
	s_and_not1_b32 vcc_lo, exec_lo, s2
	s_cbranch_vccnz .LBB105_161
; %bb.160:
	scratch_load_b64 v[85:86], v89, off
	ds_load_b64 v[102:103], v88
	s_waitcnt vmcnt(0) lgkmcnt(0)
	v_mul_f64 v[85:86], v[85:86], v[102:103]
	s_cbranch_execz .LBB105_162
	s_branch .LBB105_163
.LBB105_161:
                                        ; implicit-def: $vgpr85_vgpr86
.LBB105_162:
	ds_load_b64 v[85:86], v88
.LBB105_163:
	s_and_saveexec_b32 s4, s1
	s_cbranch_execz .LBB105_167
; %bb.164:
	v_mov_b32_e32 v102, 0
	v_subrev_nc_u32_e32 v103, 25, v0
	s_movk_i32 s5, 0x218
	s_mov_b32 s1, 0
	s_delay_alu instid0(VALU_DEP_2)
	v_add_nc_u32_e32 v102, 0xc8, v102
.LBB105_165:                            ; =>This Inner Loop Header: Depth=1
	scratch_load_b64 v[104:105], v102, off
	v_dual_mov_b32 v106, s5 :: v_dual_add_nc_u32 v103, -1, v103
	v_add_nc_u32_e32 v102, 8, v102
	s_add_i32 s5, s5, 8
	ds_load_b64 v[106:107], v106
	v_cmp_eq_u32_e32 vcc_lo, 0, v103
	s_or_b32 s1, vcc_lo, s1
	s_waitcnt vmcnt(0) lgkmcnt(0)
	v_fma_f64 v[85:86], v[104:105], v[106:107], v[85:86]
	s_and_not1_b32 exec_lo, exec_lo, s1
	s_cbranch_execnz .LBB105_165
; %bb.166:
	s_or_b32 exec_lo, exec_lo, s1
.LBB105_167:
	s_delay_alu instid0(SALU_CYCLE_1)
	s_or_b32 exec_lo, exec_lo, s4
	v_mov_b32_e32 v102, 0
	ds_load_b64 v[102:103], v102 offset:192
	s_waitcnt lgkmcnt(0)
	v_mul_f64 v[85:86], v[85:86], v[102:103]
	scratch_store_b64 off, v[85:86], off offset:192
.LBB105_168:
	s_or_b32 exec_lo, exec_lo, s3
	scratch_load_b64 v[85:86], off, off offset:184
	v_cmp_lt_u32_e64 s1, 23, v0
	s_waitcnt vmcnt(0)
	ds_store_b64 v88, v[85:86]
	s_waitcnt lgkmcnt(0)
	s_waitcnt_vscnt null, 0x0
	s_barrier
	buffer_gl0_inv
	s_and_saveexec_b32 s3, s1
	s_cbranch_execz .LBB105_178
; %bb.169:
	s_and_not1_b32 vcc_lo, exec_lo, s2
	s_cbranch_vccnz .LBB105_171
; %bb.170:
	scratch_load_b64 v[85:86], v89, off
	ds_load_b64 v[102:103], v88
	s_waitcnt vmcnt(0) lgkmcnt(0)
	v_mul_f64 v[85:86], v[85:86], v[102:103]
	s_cbranch_execz .LBB105_172
	s_branch .LBB105_173
.LBB105_171:
                                        ; implicit-def: $vgpr85_vgpr86
.LBB105_172:
	ds_load_b64 v[85:86], v88
.LBB105_173:
	s_and_saveexec_b32 s4, s0
	s_cbranch_execz .LBB105_177
; %bb.174:
	v_subrev_nc_u32_e32 v102, 24, v0
	s_movk_i32 s5, 0x210
	s_mov_b32 s0, 0
.LBB105_175:                            ; =>This Inner Loop Header: Depth=1
	scratch_load_b64 v[103:104], v101, off
	v_dual_mov_b32 v105, s5 :: v_dual_add_nc_u32 v102, -1, v102
	v_add_nc_u32_e32 v101, 8, v101
	s_add_i32 s5, s5, 8
	ds_load_b64 v[105:106], v105
	v_cmp_eq_u32_e32 vcc_lo, 0, v102
	s_or_b32 s0, vcc_lo, s0
	s_waitcnt vmcnt(0) lgkmcnt(0)
	v_fma_f64 v[85:86], v[103:104], v[105:106], v[85:86]
	s_and_not1_b32 exec_lo, exec_lo, s0
	s_cbranch_execnz .LBB105_175
; %bb.176:
	s_or_b32 exec_lo, exec_lo, s0
.LBB105_177:
	s_delay_alu instid0(SALU_CYCLE_1)
	s_or_b32 exec_lo, exec_lo, s4
	v_mov_b32_e32 v101, 0
	ds_load_b64 v[101:102], v101 offset:184
	s_waitcnt lgkmcnt(0)
	v_mul_f64 v[85:86], v[85:86], v[101:102]
	scratch_store_b64 off, v[85:86], off offset:184
.LBB105_178:
	s_or_b32 exec_lo, exec_lo, s3
	scratch_load_b64 v[85:86], off, off offset:176
	v_cmp_lt_u32_e64 s0, 22, v0
	s_waitcnt vmcnt(0)
	ds_store_b64 v88, v[85:86]
	s_waitcnt lgkmcnt(0)
	s_waitcnt_vscnt null, 0x0
	s_barrier
	buffer_gl0_inv
	s_and_saveexec_b32 s3, s0
	s_cbranch_execz .LBB105_188
; %bb.179:
	s_and_not1_b32 vcc_lo, exec_lo, s2
	s_cbranch_vccnz .LBB105_181
; %bb.180:
	scratch_load_b64 v[85:86], v89, off
	ds_load_b64 v[101:102], v88
	s_waitcnt vmcnt(0) lgkmcnt(0)
	v_mul_f64 v[85:86], v[85:86], v[101:102]
	s_cbranch_execz .LBB105_182
	s_branch .LBB105_183
.LBB105_181:
                                        ; implicit-def: $vgpr85_vgpr86
.LBB105_182:
	ds_load_b64 v[85:86], v88
.LBB105_183:
	s_and_saveexec_b32 s4, s1
	s_cbranch_execz .LBB105_187
; %bb.184:
	v_mov_b32_e32 v101, 0
	v_subrev_nc_u32_e32 v102, 23, v0
	s_movk_i32 s5, 0x208
	s_mov_b32 s1, 0
	s_delay_alu instid0(VALU_DEP_2)
	v_add_nc_u32_e32 v101, 0xb8, v101
.LBB105_185:                            ; =>This Inner Loop Header: Depth=1
	scratch_load_b64 v[103:104], v101, off
	v_dual_mov_b32 v105, s5 :: v_dual_add_nc_u32 v102, -1, v102
	v_add_nc_u32_e32 v101, 8, v101
	s_add_i32 s5, s5, 8
	ds_load_b64 v[105:106], v105
	v_cmp_eq_u32_e32 vcc_lo, 0, v102
	s_or_b32 s1, vcc_lo, s1
	s_waitcnt vmcnt(0) lgkmcnt(0)
	v_fma_f64 v[85:86], v[103:104], v[105:106], v[85:86]
	s_and_not1_b32 exec_lo, exec_lo, s1
	s_cbranch_execnz .LBB105_185
; %bb.186:
	s_or_b32 exec_lo, exec_lo, s1
.LBB105_187:
	s_delay_alu instid0(SALU_CYCLE_1)
	s_or_b32 exec_lo, exec_lo, s4
	v_mov_b32_e32 v101, 0
	ds_load_b64 v[101:102], v101 offset:176
	s_waitcnt lgkmcnt(0)
	v_mul_f64 v[85:86], v[85:86], v[101:102]
	scratch_store_b64 off, v[85:86], off offset:176
.LBB105_188:
	s_or_b32 exec_lo, exec_lo, s3
	scratch_load_b64 v[85:86], off, off offset:168
	v_cmp_lt_u32_e64 s1, 21, v0
	s_waitcnt vmcnt(0)
	ds_store_b64 v88, v[85:86]
	s_waitcnt lgkmcnt(0)
	s_waitcnt_vscnt null, 0x0
	s_barrier
	buffer_gl0_inv
	s_and_saveexec_b32 s3, s1
	s_cbranch_execz .LBB105_198
; %bb.189:
	s_and_not1_b32 vcc_lo, exec_lo, s2
	s_cbranch_vccnz .LBB105_191
; %bb.190:
	scratch_load_b64 v[85:86], v89, off
	ds_load_b64 v[101:102], v88
	s_waitcnt vmcnt(0) lgkmcnt(0)
	v_mul_f64 v[85:86], v[85:86], v[101:102]
	s_cbranch_execz .LBB105_192
	s_branch .LBB105_193
.LBB105_191:
                                        ; implicit-def: $vgpr85_vgpr86
.LBB105_192:
	ds_load_b64 v[85:86], v88
.LBB105_193:
	s_and_saveexec_b32 s4, s0
	s_cbranch_execz .LBB105_197
; %bb.194:
	v_subrev_nc_u32_e32 v101, 22, v0
	s_movk_i32 s5, 0x200
	s_mov_b32 s0, 0
.LBB105_195:                            ; =>This Inner Loop Header: Depth=1
	scratch_load_b64 v[102:103], v100, off
	v_dual_mov_b32 v104, s5 :: v_dual_add_nc_u32 v101, -1, v101
	v_add_nc_u32_e32 v100, 8, v100
	s_add_i32 s5, s5, 8
	ds_load_b64 v[104:105], v104
	v_cmp_eq_u32_e32 vcc_lo, 0, v101
	s_or_b32 s0, vcc_lo, s0
	s_waitcnt vmcnt(0) lgkmcnt(0)
	v_fma_f64 v[85:86], v[102:103], v[104:105], v[85:86]
	s_and_not1_b32 exec_lo, exec_lo, s0
	s_cbranch_execnz .LBB105_195
; %bb.196:
	s_or_b32 exec_lo, exec_lo, s0
.LBB105_197:
	s_delay_alu instid0(SALU_CYCLE_1)
	s_or_b32 exec_lo, exec_lo, s4
	v_mov_b32_e32 v100, 0
	ds_load_b64 v[100:101], v100 offset:168
	s_waitcnt lgkmcnt(0)
	v_mul_f64 v[85:86], v[85:86], v[100:101]
	scratch_store_b64 off, v[85:86], off offset:168
.LBB105_198:
	s_or_b32 exec_lo, exec_lo, s3
	scratch_load_b64 v[85:86], off, off offset:160
	v_cmp_lt_u32_e64 s0, 20, v0
	s_waitcnt vmcnt(0)
	ds_store_b64 v88, v[85:86]
	s_waitcnt lgkmcnt(0)
	s_waitcnt_vscnt null, 0x0
	s_barrier
	buffer_gl0_inv
	s_and_saveexec_b32 s3, s0
	s_cbranch_execz .LBB105_208
; %bb.199:
	s_and_not1_b32 vcc_lo, exec_lo, s2
	s_cbranch_vccnz .LBB105_201
; %bb.200:
	scratch_load_b64 v[85:86], v89, off
	ds_load_b64 v[100:101], v88
	s_waitcnt vmcnt(0) lgkmcnt(0)
	v_mul_f64 v[85:86], v[85:86], v[100:101]
	s_cbranch_execz .LBB105_202
	s_branch .LBB105_203
.LBB105_201:
                                        ; implicit-def: $vgpr85_vgpr86
.LBB105_202:
	ds_load_b64 v[85:86], v88
.LBB105_203:
	s_and_saveexec_b32 s4, s1
	s_cbranch_execz .LBB105_207
; %bb.204:
	v_mov_b32_e32 v100, 0
	v_subrev_nc_u32_e32 v101, 21, v0
	s_movk_i32 s5, 0x1f8
	s_mov_b32 s1, 0
	s_delay_alu instid0(VALU_DEP_2)
	v_add_nc_u32_e32 v100, 0xa8, v100
.LBB105_205:                            ; =>This Inner Loop Header: Depth=1
	scratch_load_b64 v[102:103], v100, off
	v_dual_mov_b32 v104, s5 :: v_dual_add_nc_u32 v101, -1, v101
	v_add_nc_u32_e32 v100, 8, v100
	s_add_i32 s5, s5, 8
	ds_load_b64 v[104:105], v104
	v_cmp_eq_u32_e32 vcc_lo, 0, v101
	s_or_b32 s1, vcc_lo, s1
	s_waitcnt vmcnt(0) lgkmcnt(0)
	v_fma_f64 v[85:86], v[102:103], v[104:105], v[85:86]
	s_and_not1_b32 exec_lo, exec_lo, s1
	s_cbranch_execnz .LBB105_205
; %bb.206:
	s_or_b32 exec_lo, exec_lo, s1
.LBB105_207:
	s_delay_alu instid0(SALU_CYCLE_1)
	s_or_b32 exec_lo, exec_lo, s4
	v_mov_b32_e32 v100, 0
	ds_load_b64 v[100:101], v100 offset:160
	s_waitcnt lgkmcnt(0)
	v_mul_f64 v[85:86], v[85:86], v[100:101]
	scratch_store_b64 off, v[85:86], off offset:160
.LBB105_208:
	s_or_b32 exec_lo, exec_lo, s3
	scratch_load_b64 v[85:86], off, off offset:152
	v_cmp_lt_u32_e64 s1, 19, v0
	s_waitcnt vmcnt(0)
	ds_store_b64 v88, v[85:86]
	s_waitcnt lgkmcnt(0)
	s_waitcnt_vscnt null, 0x0
	s_barrier
	buffer_gl0_inv
	s_and_saveexec_b32 s3, s1
	s_cbranch_execz .LBB105_218
; %bb.209:
	s_and_not1_b32 vcc_lo, exec_lo, s2
	s_cbranch_vccnz .LBB105_211
; %bb.210:
	scratch_load_b64 v[85:86], v89, off
	ds_load_b64 v[100:101], v88
	s_waitcnt vmcnt(0) lgkmcnt(0)
	v_mul_f64 v[85:86], v[85:86], v[100:101]
	s_cbranch_execz .LBB105_212
	s_branch .LBB105_213
.LBB105_211:
                                        ; implicit-def: $vgpr85_vgpr86
.LBB105_212:
	ds_load_b64 v[85:86], v88
.LBB105_213:
	s_and_saveexec_b32 s4, s0
	s_cbranch_execz .LBB105_217
; %bb.214:
	v_subrev_nc_u32_e32 v100, 20, v0
	s_movk_i32 s5, 0x1f0
	s_mov_b32 s0, 0
.LBB105_215:                            ; =>This Inner Loop Header: Depth=1
	scratch_load_b64 v[101:102], v99, off
	v_dual_mov_b32 v103, s5 :: v_dual_add_nc_u32 v100, -1, v100
	v_add_nc_u32_e32 v99, 8, v99
	s_add_i32 s5, s5, 8
	ds_load_b64 v[103:104], v103
	v_cmp_eq_u32_e32 vcc_lo, 0, v100
	s_or_b32 s0, vcc_lo, s0
	s_waitcnt vmcnt(0) lgkmcnt(0)
	v_fma_f64 v[85:86], v[101:102], v[103:104], v[85:86]
	s_and_not1_b32 exec_lo, exec_lo, s0
	s_cbranch_execnz .LBB105_215
; %bb.216:
	s_or_b32 exec_lo, exec_lo, s0
.LBB105_217:
	s_delay_alu instid0(SALU_CYCLE_1)
	s_or_b32 exec_lo, exec_lo, s4
	v_mov_b32_e32 v99, 0
	ds_load_b64 v[99:100], v99 offset:152
	s_waitcnt lgkmcnt(0)
	v_mul_f64 v[85:86], v[85:86], v[99:100]
	scratch_store_b64 off, v[85:86], off offset:152
.LBB105_218:
	s_or_b32 exec_lo, exec_lo, s3
	scratch_load_b64 v[85:86], off, off offset:144
	v_cmp_lt_u32_e64 s0, 18, v0
	s_waitcnt vmcnt(0)
	ds_store_b64 v88, v[85:86]
	s_waitcnt lgkmcnt(0)
	s_waitcnt_vscnt null, 0x0
	s_barrier
	buffer_gl0_inv
	s_and_saveexec_b32 s3, s0
	s_cbranch_execz .LBB105_228
; %bb.219:
	s_and_not1_b32 vcc_lo, exec_lo, s2
	s_cbranch_vccnz .LBB105_221
; %bb.220:
	scratch_load_b64 v[85:86], v89, off
	ds_load_b64 v[99:100], v88
	s_waitcnt vmcnt(0) lgkmcnt(0)
	v_mul_f64 v[85:86], v[85:86], v[99:100]
	s_cbranch_execz .LBB105_222
	s_branch .LBB105_223
.LBB105_221:
                                        ; implicit-def: $vgpr85_vgpr86
.LBB105_222:
	ds_load_b64 v[85:86], v88
.LBB105_223:
	s_and_saveexec_b32 s4, s1
	s_cbranch_execz .LBB105_227
; %bb.224:
	v_mov_b32_e32 v99, 0
	v_subrev_nc_u32_e32 v100, 19, v0
	s_movk_i32 s5, 0x1e8
	s_mov_b32 s1, 0
	s_delay_alu instid0(VALU_DEP_2)
	v_add_nc_u32_e32 v99, 0x98, v99
.LBB105_225:                            ; =>This Inner Loop Header: Depth=1
	scratch_load_b64 v[101:102], v99, off
	v_dual_mov_b32 v103, s5 :: v_dual_add_nc_u32 v100, -1, v100
	v_add_nc_u32_e32 v99, 8, v99
	s_add_i32 s5, s5, 8
	ds_load_b64 v[103:104], v103
	v_cmp_eq_u32_e32 vcc_lo, 0, v100
	s_or_b32 s1, vcc_lo, s1
	s_waitcnt vmcnt(0) lgkmcnt(0)
	v_fma_f64 v[85:86], v[101:102], v[103:104], v[85:86]
	s_and_not1_b32 exec_lo, exec_lo, s1
	s_cbranch_execnz .LBB105_225
; %bb.226:
	s_or_b32 exec_lo, exec_lo, s1
.LBB105_227:
	s_delay_alu instid0(SALU_CYCLE_1)
	s_or_b32 exec_lo, exec_lo, s4
	v_mov_b32_e32 v99, 0
	ds_load_b64 v[99:100], v99 offset:144
	s_waitcnt lgkmcnt(0)
	v_mul_f64 v[85:86], v[85:86], v[99:100]
	scratch_store_b64 off, v[85:86], off offset:144
.LBB105_228:
	s_or_b32 exec_lo, exec_lo, s3
	scratch_load_b64 v[85:86], off, off offset:136
	v_cmp_lt_u32_e64 s1, 17, v0
	s_waitcnt vmcnt(0)
	ds_store_b64 v88, v[85:86]
	s_waitcnt lgkmcnt(0)
	s_waitcnt_vscnt null, 0x0
	s_barrier
	buffer_gl0_inv
	s_and_saveexec_b32 s3, s1
	s_cbranch_execz .LBB105_238
; %bb.229:
	s_and_not1_b32 vcc_lo, exec_lo, s2
	s_cbranch_vccnz .LBB105_231
; %bb.230:
	scratch_load_b64 v[85:86], v89, off
	ds_load_b64 v[99:100], v88
	s_waitcnt vmcnt(0) lgkmcnt(0)
	v_mul_f64 v[85:86], v[85:86], v[99:100]
	s_cbranch_execz .LBB105_232
	s_branch .LBB105_233
.LBB105_231:
                                        ; implicit-def: $vgpr85_vgpr86
.LBB105_232:
	ds_load_b64 v[85:86], v88
.LBB105_233:
	s_and_saveexec_b32 s4, s0
	s_cbranch_execz .LBB105_237
; %bb.234:
	v_subrev_nc_u32_e32 v99, 18, v0
	s_movk_i32 s5, 0x1e0
	s_mov_b32 s0, 0
.LBB105_235:                            ; =>This Inner Loop Header: Depth=1
	scratch_load_b64 v[100:101], v98, off
	v_dual_mov_b32 v102, s5 :: v_dual_add_nc_u32 v99, -1, v99
	v_add_nc_u32_e32 v98, 8, v98
	s_add_i32 s5, s5, 8
	ds_load_b64 v[102:103], v102
	v_cmp_eq_u32_e32 vcc_lo, 0, v99
	s_or_b32 s0, vcc_lo, s0
	s_waitcnt vmcnt(0) lgkmcnt(0)
	v_fma_f64 v[85:86], v[100:101], v[102:103], v[85:86]
	s_and_not1_b32 exec_lo, exec_lo, s0
	s_cbranch_execnz .LBB105_235
; %bb.236:
	s_or_b32 exec_lo, exec_lo, s0
.LBB105_237:
	s_delay_alu instid0(SALU_CYCLE_1)
	s_or_b32 exec_lo, exec_lo, s4
	v_mov_b32_e32 v98, 0
	ds_load_b64 v[98:99], v98 offset:136
	s_waitcnt lgkmcnt(0)
	v_mul_f64 v[85:86], v[85:86], v[98:99]
	scratch_store_b64 off, v[85:86], off offset:136
.LBB105_238:
	s_or_b32 exec_lo, exec_lo, s3
	scratch_load_b64 v[85:86], off, off offset:128
	v_cmp_lt_u32_e64 s0, 16, v0
	s_waitcnt vmcnt(0)
	ds_store_b64 v88, v[85:86]
	s_waitcnt lgkmcnt(0)
	s_waitcnt_vscnt null, 0x0
	s_barrier
	buffer_gl0_inv
	s_and_saveexec_b32 s3, s0
	s_cbranch_execz .LBB105_248
; %bb.239:
	s_and_not1_b32 vcc_lo, exec_lo, s2
	s_cbranch_vccnz .LBB105_241
; %bb.240:
	scratch_load_b64 v[85:86], v89, off
	ds_load_b64 v[98:99], v88
	s_waitcnt vmcnt(0) lgkmcnt(0)
	v_mul_f64 v[85:86], v[85:86], v[98:99]
	s_cbranch_execz .LBB105_242
	s_branch .LBB105_243
.LBB105_241:
                                        ; implicit-def: $vgpr85_vgpr86
.LBB105_242:
	ds_load_b64 v[85:86], v88
.LBB105_243:
	s_and_saveexec_b32 s4, s1
	s_cbranch_execz .LBB105_247
; %bb.244:
	v_mov_b32_e32 v98, 0
	v_subrev_nc_u32_e32 v99, 17, v0
	s_movk_i32 s5, 0x1d8
	s_mov_b32 s1, 0
	s_delay_alu instid0(VALU_DEP_2)
	v_add_nc_u32_e32 v98, 0x88, v98
.LBB105_245:                            ; =>This Inner Loop Header: Depth=1
	scratch_load_b64 v[100:101], v98, off
	v_dual_mov_b32 v102, s5 :: v_dual_add_nc_u32 v99, -1, v99
	v_add_nc_u32_e32 v98, 8, v98
	s_add_i32 s5, s5, 8
	ds_load_b64 v[102:103], v102
	v_cmp_eq_u32_e32 vcc_lo, 0, v99
	s_or_b32 s1, vcc_lo, s1
	s_waitcnt vmcnt(0) lgkmcnt(0)
	v_fma_f64 v[85:86], v[100:101], v[102:103], v[85:86]
	s_and_not1_b32 exec_lo, exec_lo, s1
	s_cbranch_execnz .LBB105_245
; %bb.246:
	s_or_b32 exec_lo, exec_lo, s1
.LBB105_247:
	s_delay_alu instid0(SALU_CYCLE_1)
	s_or_b32 exec_lo, exec_lo, s4
	v_mov_b32_e32 v98, 0
	ds_load_b64 v[98:99], v98 offset:128
	s_waitcnt lgkmcnt(0)
	v_mul_f64 v[85:86], v[85:86], v[98:99]
	scratch_store_b64 off, v[85:86], off offset:128
.LBB105_248:
	s_or_b32 exec_lo, exec_lo, s3
	scratch_load_b64 v[85:86], off, off offset:120
	v_cmp_lt_u32_e64 s1, 15, v0
	s_waitcnt vmcnt(0)
	ds_store_b64 v88, v[85:86]
	s_waitcnt lgkmcnt(0)
	s_waitcnt_vscnt null, 0x0
	s_barrier
	buffer_gl0_inv
	s_and_saveexec_b32 s3, s1
	s_cbranch_execz .LBB105_258
; %bb.249:
	s_and_not1_b32 vcc_lo, exec_lo, s2
	s_cbranch_vccnz .LBB105_251
; %bb.250:
	scratch_load_b64 v[85:86], v89, off
	ds_load_b64 v[98:99], v88
	s_waitcnt vmcnt(0) lgkmcnt(0)
	v_mul_f64 v[85:86], v[85:86], v[98:99]
	s_cbranch_execz .LBB105_252
	s_branch .LBB105_253
.LBB105_251:
                                        ; implicit-def: $vgpr85_vgpr86
.LBB105_252:
	ds_load_b64 v[85:86], v88
.LBB105_253:
	s_and_saveexec_b32 s4, s0
	s_cbranch_execz .LBB105_257
; %bb.254:
	v_add_nc_u32_e32 v98, -16, v0
	s_movk_i32 s5, 0x1d0
	s_mov_b32 s0, 0
.LBB105_255:                            ; =>This Inner Loop Header: Depth=1
	scratch_load_b64 v[99:100], v97, off
	v_dual_mov_b32 v101, s5 :: v_dual_add_nc_u32 v98, -1, v98
	v_add_nc_u32_e32 v97, 8, v97
	s_add_i32 s5, s5, 8
	ds_load_b64 v[101:102], v101
	v_cmp_eq_u32_e32 vcc_lo, 0, v98
	s_or_b32 s0, vcc_lo, s0
	s_waitcnt vmcnt(0) lgkmcnt(0)
	v_fma_f64 v[85:86], v[99:100], v[101:102], v[85:86]
	s_and_not1_b32 exec_lo, exec_lo, s0
	s_cbranch_execnz .LBB105_255
; %bb.256:
	s_or_b32 exec_lo, exec_lo, s0
.LBB105_257:
	s_delay_alu instid0(SALU_CYCLE_1)
	s_or_b32 exec_lo, exec_lo, s4
	v_mov_b32_e32 v97, 0
	ds_load_b64 v[97:98], v97 offset:120
	s_waitcnt lgkmcnt(0)
	v_mul_f64 v[85:86], v[85:86], v[97:98]
	scratch_store_b64 off, v[85:86], off offset:120
.LBB105_258:
	s_or_b32 exec_lo, exec_lo, s3
	scratch_load_b64 v[85:86], off, off offset:112
	v_cmp_lt_u32_e64 s0, 14, v0
	s_waitcnt vmcnt(0)
	ds_store_b64 v88, v[85:86]
	s_waitcnt lgkmcnt(0)
	s_waitcnt_vscnt null, 0x0
	s_barrier
	buffer_gl0_inv
	s_and_saveexec_b32 s3, s0
	s_cbranch_execz .LBB105_268
; %bb.259:
	s_and_not1_b32 vcc_lo, exec_lo, s2
	s_cbranch_vccnz .LBB105_261
; %bb.260:
	scratch_load_b64 v[85:86], v89, off
	ds_load_b64 v[97:98], v88
	s_waitcnt vmcnt(0) lgkmcnt(0)
	v_mul_f64 v[85:86], v[85:86], v[97:98]
	s_cbranch_execz .LBB105_262
	s_branch .LBB105_263
.LBB105_261:
                                        ; implicit-def: $vgpr85_vgpr86
.LBB105_262:
	ds_load_b64 v[85:86], v88
.LBB105_263:
	s_and_saveexec_b32 s4, s1
	s_cbranch_execz .LBB105_267
; %bb.264:
	v_dual_mov_b32 v97, 0 :: v_dual_add_nc_u32 v98, -15, v0
	s_movk_i32 s5, 0x1c8
	s_mov_b32 s1, 0
	s_delay_alu instid0(VALU_DEP_1)
	v_add_nc_u32_e32 v97, 0x78, v97
.LBB105_265:                            ; =>This Inner Loop Header: Depth=1
	scratch_load_b64 v[99:100], v97, off
	v_dual_mov_b32 v101, s5 :: v_dual_add_nc_u32 v98, -1, v98
	v_add_nc_u32_e32 v97, 8, v97
	s_add_i32 s5, s5, 8
	ds_load_b64 v[101:102], v101
	v_cmp_eq_u32_e32 vcc_lo, 0, v98
	s_or_b32 s1, vcc_lo, s1
	s_waitcnt vmcnt(0) lgkmcnt(0)
	v_fma_f64 v[85:86], v[99:100], v[101:102], v[85:86]
	s_and_not1_b32 exec_lo, exec_lo, s1
	s_cbranch_execnz .LBB105_265
; %bb.266:
	s_or_b32 exec_lo, exec_lo, s1
.LBB105_267:
	s_delay_alu instid0(SALU_CYCLE_1)
	s_or_b32 exec_lo, exec_lo, s4
	v_mov_b32_e32 v97, 0
	ds_load_b64 v[97:98], v97 offset:112
	s_waitcnt lgkmcnt(0)
	v_mul_f64 v[85:86], v[85:86], v[97:98]
	scratch_store_b64 off, v[85:86], off offset:112
.LBB105_268:
	s_or_b32 exec_lo, exec_lo, s3
	scratch_load_b64 v[85:86], off, off offset:104
	v_cmp_lt_u32_e64 s1, 13, v0
	s_waitcnt vmcnt(0)
	ds_store_b64 v88, v[85:86]
	s_waitcnt lgkmcnt(0)
	s_waitcnt_vscnt null, 0x0
	s_barrier
	buffer_gl0_inv
	s_and_saveexec_b32 s3, s1
	s_cbranch_execz .LBB105_278
; %bb.269:
	s_and_not1_b32 vcc_lo, exec_lo, s2
	s_cbranch_vccnz .LBB105_271
; %bb.270:
	scratch_load_b64 v[85:86], v89, off
	ds_load_b64 v[97:98], v88
	s_waitcnt vmcnt(0) lgkmcnt(0)
	v_mul_f64 v[85:86], v[85:86], v[97:98]
	s_cbranch_execz .LBB105_272
	s_branch .LBB105_273
.LBB105_271:
                                        ; implicit-def: $vgpr85_vgpr86
.LBB105_272:
	ds_load_b64 v[85:86], v88
.LBB105_273:
	s_and_saveexec_b32 s4, s0
	s_cbranch_execz .LBB105_277
; %bb.274:
	v_add_nc_u32_e32 v97, -14, v0
	s_movk_i32 s5, 0x1c0
	s_mov_b32 s0, 0
.LBB105_275:                            ; =>This Inner Loop Header: Depth=1
	scratch_load_b64 v[98:99], v96, off
	v_dual_mov_b32 v100, s5 :: v_dual_add_nc_u32 v97, -1, v97
	v_add_nc_u32_e32 v96, 8, v96
	s_add_i32 s5, s5, 8
	ds_load_b64 v[100:101], v100
	v_cmp_eq_u32_e32 vcc_lo, 0, v97
	s_or_b32 s0, vcc_lo, s0
	s_waitcnt vmcnt(0) lgkmcnt(0)
	v_fma_f64 v[85:86], v[98:99], v[100:101], v[85:86]
	s_and_not1_b32 exec_lo, exec_lo, s0
	s_cbranch_execnz .LBB105_275
; %bb.276:
	s_or_b32 exec_lo, exec_lo, s0
.LBB105_277:
	s_delay_alu instid0(SALU_CYCLE_1)
	s_or_b32 exec_lo, exec_lo, s4
	v_mov_b32_e32 v96, 0
	ds_load_b64 v[96:97], v96 offset:104
	s_waitcnt lgkmcnt(0)
	v_mul_f64 v[85:86], v[85:86], v[96:97]
	scratch_store_b64 off, v[85:86], off offset:104
.LBB105_278:
	s_or_b32 exec_lo, exec_lo, s3
	scratch_load_b64 v[85:86], off, off offset:96
	v_cmp_lt_u32_e64 s0, 12, v0
	s_waitcnt vmcnt(0)
	ds_store_b64 v88, v[85:86]
	s_waitcnt lgkmcnt(0)
	s_waitcnt_vscnt null, 0x0
	s_barrier
	buffer_gl0_inv
	s_and_saveexec_b32 s3, s0
	s_cbranch_execz .LBB105_288
; %bb.279:
	s_and_not1_b32 vcc_lo, exec_lo, s2
	s_cbranch_vccnz .LBB105_281
; %bb.280:
	scratch_load_b64 v[85:86], v89, off
	ds_load_b64 v[96:97], v88
	s_waitcnt vmcnt(0) lgkmcnt(0)
	v_mul_f64 v[85:86], v[85:86], v[96:97]
	s_cbranch_execz .LBB105_282
	s_branch .LBB105_283
.LBB105_281:
                                        ; implicit-def: $vgpr85_vgpr86
.LBB105_282:
	ds_load_b64 v[85:86], v88
.LBB105_283:
	s_and_saveexec_b32 s4, s1
	s_cbranch_execz .LBB105_287
; %bb.284:
	v_dual_mov_b32 v96, 0 :: v_dual_add_nc_u32 v97, -13, v0
	s_movk_i32 s5, 0x1b8
	s_mov_b32 s1, 0
	s_delay_alu instid0(VALU_DEP_1)
	v_add_nc_u32_e32 v96, 0x68, v96
.LBB105_285:                            ; =>This Inner Loop Header: Depth=1
	scratch_load_b64 v[98:99], v96, off
	v_dual_mov_b32 v100, s5 :: v_dual_add_nc_u32 v97, -1, v97
	v_add_nc_u32_e32 v96, 8, v96
	s_add_i32 s5, s5, 8
	ds_load_b64 v[100:101], v100
	v_cmp_eq_u32_e32 vcc_lo, 0, v97
	s_or_b32 s1, vcc_lo, s1
	s_waitcnt vmcnt(0) lgkmcnt(0)
	v_fma_f64 v[85:86], v[98:99], v[100:101], v[85:86]
	s_and_not1_b32 exec_lo, exec_lo, s1
	s_cbranch_execnz .LBB105_285
; %bb.286:
	s_or_b32 exec_lo, exec_lo, s1
.LBB105_287:
	s_delay_alu instid0(SALU_CYCLE_1)
	s_or_b32 exec_lo, exec_lo, s4
	v_mov_b32_e32 v96, 0
	ds_load_b64 v[96:97], v96 offset:96
	s_waitcnt lgkmcnt(0)
	v_mul_f64 v[85:86], v[85:86], v[96:97]
	scratch_store_b64 off, v[85:86], off offset:96
.LBB105_288:
	s_or_b32 exec_lo, exec_lo, s3
	scratch_load_b64 v[85:86], off, off offset:88
	v_cmp_lt_u32_e64 s1, 11, v0
	s_waitcnt vmcnt(0)
	ds_store_b64 v88, v[85:86]
	s_waitcnt lgkmcnt(0)
	s_waitcnt_vscnt null, 0x0
	s_barrier
	buffer_gl0_inv
	s_and_saveexec_b32 s3, s1
	s_cbranch_execz .LBB105_298
; %bb.289:
	s_and_not1_b32 vcc_lo, exec_lo, s2
	s_cbranch_vccnz .LBB105_291
; %bb.290:
	scratch_load_b64 v[85:86], v89, off
	ds_load_b64 v[96:97], v88
	s_waitcnt vmcnt(0) lgkmcnt(0)
	v_mul_f64 v[85:86], v[85:86], v[96:97]
	s_cbranch_execz .LBB105_292
	s_branch .LBB105_293
.LBB105_291:
                                        ; implicit-def: $vgpr85_vgpr86
.LBB105_292:
	ds_load_b64 v[85:86], v88
.LBB105_293:
	s_and_saveexec_b32 s4, s0
	s_cbranch_execz .LBB105_297
; %bb.294:
	v_add_nc_u32_e32 v96, -12, v0
	s_movk_i32 s5, 0x1b0
	s_mov_b32 s0, 0
.LBB105_295:                            ; =>This Inner Loop Header: Depth=1
	scratch_load_b64 v[97:98], v95, off
	v_dual_mov_b32 v99, s5 :: v_dual_add_nc_u32 v96, -1, v96
	v_add_nc_u32_e32 v95, 8, v95
	s_add_i32 s5, s5, 8
	ds_load_b64 v[99:100], v99
	v_cmp_eq_u32_e32 vcc_lo, 0, v96
	s_or_b32 s0, vcc_lo, s0
	s_waitcnt vmcnt(0) lgkmcnt(0)
	v_fma_f64 v[85:86], v[97:98], v[99:100], v[85:86]
	s_and_not1_b32 exec_lo, exec_lo, s0
	s_cbranch_execnz .LBB105_295
; %bb.296:
	s_or_b32 exec_lo, exec_lo, s0
.LBB105_297:
	s_delay_alu instid0(SALU_CYCLE_1)
	s_or_b32 exec_lo, exec_lo, s4
	v_mov_b32_e32 v95, 0
	ds_load_b64 v[95:96], v95 offset:88
	s_waitcnt lgkmcnt(0)
	v_mul_f64 v[85:86], v[85:86], v[95:96]
	scratch_store_b64 off, v[85:86], off offset:88
.LBB105_298:
	s_or_b32 exec_lo, exec_lo, s3
	scratch_load_b64 v[85:86], off, off offset:80
	v_cmp_lt_u32_e64 s0, 10, v0
	s_waitcnt vmcnt(0)
	ds_store_b64 v88, v[85:86]
	s_waitcnt lgkmcnt(0)
	s_waitcnt_vscnt null, 0x0
	s_barrier
	buffer_gl0_inv
	s_and_saveexec_b32 s3, s0
	s_cbranch_execz .LBB105_308
; %bb.299:
	s_and_not1_b32 vcc_lo, exec_lo, s2
	s_cbranch_vccnz .LBB105_301
; %bb.300:
	scratch_load_b64 v[85:86], v89, off
	ds_load_b64 v[95:96], v88
	s_waitcnt vmcnt(0) lgkmcnt(0)
	v_mul_f64 v[85:86], v[85:86], v[95:96]
	s_cbranch_execz .LBB105_302
	s_branch .LBB105_303
.LBB105_301:
                                        ; implicit-def: $vgpr85_vgpr86
.LBB105_302:
	ds_load_b64 v[85:86], v88
.LBB105_303:
	s_and_saveexec_b32 s4, s1
	s_cbranch_execz .LBB105_307
; %bb.304:
	v_dual_mov_b32 v95, 0 :: v_dual_add_nc_u32 v96, -11, v0
	s_movk_i32 s5, 0x1a8
	s_mov_b32 s1, 0
	s_delay_alu instid0(VALU_DEP_1)
	v_add_nc_u32_e32 v95, 0x58, v95
.LBB105_305:                            ; =>This Inner Loop Header: Depth=1
	scratch_load_b64 v[97:98], v95, off
	v_dual_mov_b32 v99, s5 :: v_dual_add_nc_u32 v96, -1, v96
	v_add_nc_u32_e32 v95, 8, v95
	s_add_i32 s5, s5, 8
	ds_load_b64 v[99:100], v99
	v_cmp_eq_u32_e32 vcc_lo, 0, v96
	s_or_b32 s1, vcc_lo, s1
	s_waitcnt vmcnt(0) lgkmcnt(0)
	v_fma_f64 v[85:86], v[97:98], v[99:100], v[85:86]
	s_and_not1_b32 exec_lo, exec_lo, s1
	s_cbranch_execnz .LBB105_305
; %bb.306:
	s_or_b32 exec_lo, exec_lo, s1
.LBB105_307:
	s_delay_alu instid0(SALU_CYCLE_1)
	s_or_b32 exec_lo, exec_lo, s4
	v_mov_b32_e32 v95, 0
	ds_load_b64 v[95:96], v95 offset:80
	s_waitcnt lgkmcnt(0)
	v_mul_f64 v[85:86], v[85:86], v[95:96]
	scratch_store_b64 off, v[85:86], off offset:80
.LBB105_308:
	s_or_b32 exec_lo, exec_lo, s3
	scratch_load_b64 v[85:86], off, off offset:72
	v_cmp_lt_u32_e64 s1, 9, v0
	s_waitcnt vmcnt(0)
	ds_store_b64 v88, v[85:86]
	s_waitcnt lgkmcnt(0)
	s_waitcnt_vscnt null, 0x0
	s_barrier
	buffer_gl0_inv
	s_and_saveexec_b32 s3, s1
	s_cbranch_execz .LBB105_318
; %bb.309:
	s_and_not1_b32 vcc_lo, exec_lo, s2
	s_cbranch_vccnz .LBB105_311
; %bb.310:
	scratch_load_b64 v[85:86], v89, off
	ds_load_b64 v[95:96], v88
	s_waitcnt vmcnt(0) lgkmcnt(0)
	v_mul_f64 v[85:86], v[85:86], v[95:96]
	s_cbranch_execz .LBB105_312
	s_branch .LBB105_313
.LBB105_311:
                                        ; implicit-def: $vgpr85_vgpr86
.LBB105_312:
	ds_load_b64 v[85:86], v88
.LBB105_313:
	s_and_saveexec_b32 s4, s0
	s_cbranch_execz .LBB105_317
; %bb.314:
	v_add_nc_u32_e32 v95, -10, v0
	s_movk_i32 s5, 0x1a0
	s_mov_b32 s0, 0
.LBB105_315:                            ; =>This Inner Loop Header: Depth=1
	scratch_load_b64 v[96:97], v94, off
	v_dual_mov_b32 v98, s5 :: v_dual_add_nc_u32 v95, -1, v95
	v_add_nc_u32_e32 v94, 8, v94
	s_add_i32 s5, s5, 8
	ds_load_b64 v[98:99], v98
	v_cmp_eq_u32_e32 vcc_lo, 0, v95
	s_or_b32 s0, vcc_lo, s0
	s_waitcnt vmcnt(0) lgkmcnt(0)
	v_fma_f64 v[85:86], v[96:97], v[98:99], v[85:86]
	s_and_not1_b32 exec_lo, exec_lo, s0
	s_cbranch_execnz .LBB105_315
; %bb.316:
	s_or_b32 exec_lo, exec_lo, s0
.LBB105_317:
	s_delay_alu instid0(SALU_CYCLE_1)
	s_or_b32 exec_lo, exec_lo, s4
	v_mov_b32_e32 v94, 0
	ds_load_b64 v[94:95], v94 offset:72
	s_waitcnt lgkmcnt(0)
	v_mul_f64 v[85:86], v[85:86], v[94:95]
	scratch_store_b64 off, v[85:86], off offset:72
.LBB105_318:
	s_or_b32 exec_lo, exec_lo, s3
	scratch_load_b64 v[85:86], off, off offset:64
	v_cmp_lt_u32_e64 s0, 8, v0
	s_waitcnt vmcnt(0)
	ds_store_b64 v88, v[85:86]
	s_waitcnt lgkmcnt(0)
	s_waitcnt_vscnt null, 0x0
	s_barrier
	buffer_gl0_inv
	s_and_saveexec_b32 s3, s0
	s_cbranch_execz .LBB105_328
; %bb.319:
	s_and_not1_b32 vcc_lo, exec_lo, s2
	s_cbranch_vccnz .LBB105_321
; %bb.320:
	scratch_load_b64 v[85:86], v89, off
	ds_load_b64 v[94:95], v88
	s_waitcnt vmcnt(0) lgkmcnt(0)
	v_mul_f64 v[85:86], v[85:86], v[94:95]
	s_cbranch_execz .LBB105_322
	s_branch .LBB105_323
.LBB105_321:
                                        ; implicit-def: $vgpr85_vgpr86
.LBB105_322:
	ds_load_b64 v[85:86], v88
.LBB105_323:
	s_and_saveexec_b32 s4, s1
	s_cbranch_execz .LBB105_327
; %bb.324:
	v_dual_mov_b32 v94, 0 :: v_dual_add_nc_u32 v95, -9, v0
	s_movk_i32 s5, 0x198
	s_mov_b32 s1, 0
	s_delay_alu instid0(VALU_DEP_1)
	v_add_nc_u32_e32 v94, 0x48, v94
.LBB105_325:                            ; =>This Inner Loop Header: Depth=1
	scratch_load_b64 v[96:97], v94, off
	v_dual_mov_b32 v98, s5 :: v_dual_add_nc_u32 v95, -1, v95
	v_add_nc_u32_e32 v94, 8, v94
	s_add_i32 s5, s5, 8
	ds_load_b64 v[98:99], v98
	v_cmp_eq_u32_e32 vcc_lo, 0, v95
	s_or_b32 s1, vcc_lo, s1
	s_waitcnt vmcnt(0) lgkmcnt(0)
	v_fma_f64 v[85:86], v[96:97], v[98:99], v[85:86]
	s_and_not1_b32 exec_lo, exec_lo, s1
	s_cbranch_execnz .LBB105_325
; %bb.326:
	s_or_b32 exec_lo, exec_lo, s1
.LBB105_327:
	s_delay_alu instid0(SALU_CYCLE_1)
	s_or_b32 exec_lo, exec_lo, s4
	v_mov_b32_e32 v94, 0
	ds_load_b64 v[94:95], v94 offset:64
	s_waitcnt lgkmcnt(0)
	v_mul_f64 v[85:86], v[85:86], v[94:95]
	scratch_store_b64 off, v[85:86], off offset:64
.LBB105_328:
	s_or_b32 exec_lo, exec_lo, s3
	scratch_load_b64 v[85:86], off, off offset:56
	v_cmp_lt_u32_e64 s1, 7, v0
	s_waitcnt vmcnt(0)
	ds_store_b64 v88, v[85:86]
	s_waitcnt lgkmcnt(0)
	s_waitcnt_vscnt null, 0x0
	s_barrier
	buffer_gl0_inv
	s_and_saveexec_b32 s3, s1
	s_cbranch_execz .LBB105_338
; %bb.329:
	s_and_not1_b32 vcc_lo, exec_lo, s2
	s_cbranch_vccnz .LBB105_331
; %bb.330:
	scratch_load_b64 v[85:86], v89, off
	ds_load_b64 v[94:95], v88
	s_waitcnt vmcnt(0) lgkmcnt(0)
	v_mul_f64 v[85:86], v[85:86], v[94:95]
	s_cbranch_execz .LBB105_332
	s_branch .LBB105_333
.LBB105_331:
                                        ; implicit-def: $vgpr85_vgpr86
.LBB105_332:
	ds_load_b64 v[85:86], v88
.LBB105_333:
	s_and_saveexec_b32 s4, s0
	s_cbranch_execz .LBB105_337
; %bb.334:
	v_add_nc_u32_e32 v94, -8, v0
	s_movk_i32 s5, 0x190
	s_mov_b32 s0, 0
.LBB105_335:                            ; =>This Inner Loop Header: Depth=1
	scratch_load_b64 v[95:96], v93, off
	v_dual_mov_b32 v97, s5 :: v_dual_add_nc_u32 v94, -1, v94
	v_add_nc_u32_e32 v93, 8, v93
	s_add_i32 s5, s5, 8
	ds_load_b64 v[97:98], v97
	v_cmp_eq_u32_e32 vcc_lo, 0, v94
	s_or_b32 s0, vcc_lo, s0
	s_waitcnt vmcnt(0) lgkmcnt(0)
	v_fma_f64 v[85:86], v[95:96], v[97:98], v[85:86]
	s_and_not1_b32 exec_lo, exec_lo, s0
	s_cbranch_execnz .LBB105_335
; %bb.336:
	s_or_b32 exec_lo, exec_lo, s0
.LBB105_337:
	s_delay_alu instid0(SALU_CYCLE_1)
	s_or_b32 exec_lo, exec_lo, s4
	v_mov_b32_e32 v93, 0
	ds_load_b64 v[93:94], v93 offset:56
	s_waitcnt lgkmcnt(0)
	v_mul_f64 v[85:86], v[85:86], v[93:94]
	scratch_store_b64 off, v[85:86], off offset:56
.LBB105_338:
	s_or_b32 exec_lo, exec_lo, s3
	scratch_load_b64 v[85:86], off, off offset:48
	v_cmp_lt_u32_e64 s0, 6, v0
	s_waitcnt vmcnt(0)
	ds_store_b64 v88, v[85:86]
	s_waitcnt lgkmcnt(0)
	s_waitcnt_vscnt null, 0x0
	s_barrier
	buffer_gl0_inv
	s_and_saveexec_b32 s3, s0
	s_cbranch_execz .LBB105_348
; %bb.339:
	s_and_not1_b32 vcc_lo, exec_lo, s2
	s_cbranch_vccnz .LBB105_341
; %bb.340:
	scratch_load_b64 v[85:86], v89, off
	ds_load_b64 v[93:94], v88
	s_waitcnt vmcnt(0) lgkmcnt(0)
	v_mul_f64 v[85:86], v[85:86], v[93:94]
	s_cbranch_execz .LBB105_342
	s_branch .LBB105_343
.LBB105_341:
                                        ; implicit-def: $vgpr85_vgpr86
.LBB105_342:
	ds_load_b64 v[85:86], v88
.LBB105_343:
	s_and_saveexec_b32 s4, s1
	s_cbranch_execz .LBB105_347
; %bb.344:
	v_add_nc_u32_e64 v93, 0, 56
	v_add_nc_u32_e32 v94, -7, v0
	s_movk_i32 s5, 0x188
	s_mov_b32 s1, 0
.LBB105_345:                            ; =>This Inner Loop Header: Depth=1
	scratch_load_b64 v[95:96], v93, off
	v_dual_mov_b32 v97, s5 :: v_dual_add_nc_u32 v94, -1, v94
	v_add_nc_u32_e32 v93, 8, v93
	s_add_i32 s5, s5, 8
	ds_load_b64 v[97:98], v97
	v_cmp_eq_u32_e32 vcc_lo, 0, v94
	s_or_b32 s1, vcc_lo, s1
	s_waitcnt vmcnt(0) lgkmcnt(0)
	v_fma_f64 v[85:86], v[95:96], v[97:98], v[85:86]
	s_and_not1_b32 exec_lo, exec_lo, s1
	s_cbranch_execnz .LBB105_345
; %bb.346:
	s_or_b32 exec_lo, exec_lo, s1
.LBB105_347:
	s_delay_alu instid0(SALU_CYCLE_1)
	s_or_b32 exec_lo, exec_lo, s4
	v_mov_b32_e32 v93, 0
	ds_load_b64 v[93:94], v93 offset:48
	s_waitcnt lgkmcnt(0)
	v_mul_f64 v[85:86], v[85:86], v[93:94]
	scratch_store_b64 off, v[85:86], off offset:48
.LBB105_348:
	s_or_b32 exec_lo, exec_lo, s3
	scratch_load_b64 v[85:86], off, off offset:40
	v_cmp_lt_u32_e64 s1, 5, v0
	s_waitcnt vmcnt(0)
	ds_store_b64 v88, v[85:86]
	s_waitcnt lgkmcnt(0)
	s_waitcnt_vscnt null, 0x0
	s_barrier
	buffer_gl0_inv
	s_and_saveexec_b32 s3, s1
	s_cbranch_execz .LBB105_358
; %bb.349:
	s_and_not1_b32 vcc_lo, exec_lo, s2
	s_cbranch_vccnz .LBB105_351
; %bb.350:
	scratch_load_b64 v[85:86], v89, off
	ds_load_b64 v[93:94], v88
	s_waitcnt vmcnt(0) lgkmcnt(0)
	v_mul_f64 v[85:86], v[85:86], v[93:94]
	s_cbranch_execz .LBB105_352
	s_branch .LBB105_353
.LBB105_351:
                                        ; implicit-def: $vgpr85_vgpr86
.LBB105_352:
	ds_load_b64 v[85:86], v88
.LBB105_353:
	s_and_saveexec_b32 s4, s0
	s_cbranch_execz .LBB105_357
; %bb.354:
	v_add_nc_u32_e32 v93, -6, v0
	s_movk_i32 s5, 0x180
	s_mov_b32 s0, 0
.LBB105_355:                            ; =>This Inner Loop Header: Depth=1
	scratch_load_b64 v[94:95], v92, off
	v_dual_mov_b32 v96, s5 :: v_dual_add_nc_u32 v93, -1, v93
	v_add_nc_u32_e32 v92, 8, v92
	s_add_i32 s5, s5, 8
	ds_load_b64 v[96:97], v96
	v_cmp_eq_u32_e32 vcc_lo, 0, v93
	s_or_b32 s0, vcc_lo, s0
	s_waitcnt vmcnt(0) lgkmcnt(0)
	v_fma_f64 v[85:86], v[94:95], v[96:97], v[85:86]
	s_and_not1_b32 exec_lo, exec_lo, s0
	s_cbranch_execnz .LBB105_355
; %bb.356:
	s_or_b32 exec_lo, exec_lo, s0
.LBB105_357:
	s_delay_alu instid0(SALU_CYCLE_1)
	s_or_b32 exec_lo, exec_lo, s4
	v_mov_b32_e32 v92, 0
	ds_load_b64 v[92:93], v92 offset:40
	s_waitcnt lgkmcnt(0)
	v_mul_f64 v[85:86], v[85:86], v[92:93]
	scratch_store_b64 off, v[85:86], off offset:40
.LBB105_358:
	s_or_b32 exec_lo, exec_lo, s3
	scratch_load_b64 v[85:86], off, off offset:32
	v_cmp_lt_u32_e64 s0, 4, v0
	s_waitcnt vmcnt(0)
	ds_store_b64 v88, v[85:86]
	s_waitcnt lgkmcnt(0)
	s_waitcnt_vscnt null, 0x0
	s_barrier
	buffer_gl0_inv
	s_and_saveexec_b32 s3, s0
	s_cbranch_execz .LBB105_368
; %bb.359:
	s_and_not1_b32 vcc_lo, exec_lo, s2
	s_cbranch_vccnz .LBB105_361
; %bb.360:
	scratch_load_b64 v[85:86], v89, off
	ds_load_b64 v[92:93], v88
	s_waitcnt vmcnt(0) lgkmcnt(0)
	v_mul_f64 v[85:86], v[85:86], v[92:93]
	s_cbranch_execz .LBB105_362
	s_branch .LBB105_363
.LBB105_361:
                                        ; implicit-def: $vgpr85_vgpr86
.LBB105_362:
	ds_load_b64 v[85:86], v88
.LBB105_363:
	s_and_saveexec_b32 s4, s1
	s_cbranch_execz .LBB105_367
; %bb.364:
	v_add_nc_u32_e64 v92, 0, 40
	v_add_nc_u32_e32 v93, -5, v0
	s_movk_i32 s5, 0x178
	s_mov_b32 s1, 0
.LBB105_365:                            ; =>This Inner Loop Header: Depth=1
	scratch_load_b64 v[94:95], v92, off
	v_dual_mov_b32 v96, s5 :: v_dual_add_nc_u32 v93, -1, v93
	v_add_nc_u32_e32 v92, 8, v92
	s_add_i32 s5, s5, 8
	ds_load_b64 v[96:97], v96
	v_cmp_eq_u32_e32 vcc_lo, 0, v93
	s_or_b32 s1, vcc_lo, s1
	s_waitcnt vmcnt(0) lgkmcnt(0)
	v_fma_f64 v[85:86], v[94:95], v[96:97], v[85:86]
	s_and_not1_b32 exec_lo, exec_lo, s1
	s_cbranch_execnz .LBB105_365
; %bb.366:
	s_or_b32 exec_lo, exec_lo, s1
.LBB105_367:
	s_delay_alu instid0(SALU_CYCLE_1)
	s_or_b32 exec_lo, exec_lo, s4
	v_mov_b32_e32 v92, 0
	ds_load_b64 v[92:93], v92 offset:32
	s_waitcnt lgkmcnt(0)
	v_mul_f64 v[85:86], v[85:86], v[92:93]
	scratch_store_b64 off, v[85:86], off offset:32
.LBB105_368:
	s_or_b32 exec_lo, exec_lo, s3
	scratch_load_b64 v[85:86], off, off offset:24
	v_cmp_lt_u32_e64 s1, 3, v0
	s_waitcnt vmcnt(0)
	ds_store_b64 v88, v[85:86]
	s_waitcnt lgkmcnt(0)
	s_waitcnt_vscnt null, 0x0
	s_barrier
	buffer_gl0_inv
	s_and_saveexec_b32 s3, s1
	s_cbranch_execz .LBB105_378
; %bb.369:
	s_and_not1_b32 vcc_lo, exec_lo, s2
	s_cbranch_vccnz .LBB105_371
; %bb.370:
	scratch_load_b64 v[85:86], v89, off
	ds_load_b64 v[92:93], v88
	s_waitcnt vmcnt(0) lgkmcnt(0)
	v_mul_f64 v[85:86], v[85:86], v[92:93]
	s_cbranch_execz .LBB105_372
	s_branch .LBB105_373
.LBB105_371:
                                        ; implicit-def: $vgpr85_vgpr86
.LBB105_372:
	ds_load_b64 v[85:86], v88
.LBB105_373:
	s_and_saveexec_b32 s4, s0
	s_cbranch_execz .LBB105_377
; %bb.374:
	v_add_nc_u32_e32 v92, -4, v0
	s_movk_i32 s5, 0x170
	s_mov_b32 s0, 0
.LBB105_375:                            ; =>This Inner Loop Header: Depth=1
	scratch_load_b64 v[93:94], v91, off
	v_dual_mov_b32 v95, s5 :: v_dual_add_nc_u32 v92, -1, v92
	v_add_nc_u32_e32 v91, 8, v91
	s_add_i32 s5, s5, 8
	ds_load_b64 v[95:96], v95
	v_cmp_eq_u32_e32 vcc_lo, 0, v92
	s_or_b32 s0, vcc_lo, s0
	s_waitcnt vmcnt(0) lgkmcnt(0)
	v_fma_f64 v[85:86], v[93:94], v[95:96], v[85:86]
	s_and_not1_b32 exec_lo, exec_lo, s0
	s_cbranch_execnz .LBB105_375
; %bb.376:
	s_or_b32 exec_lo, exec_lo, s0
.LBB105_377:
	s_delay_alu instid0(SALU_CYCLE_1)
	s_or_b32 exec_lo, exec_lo, s4
	v_mov_b32_e32 v91, 0
	ds_load_b64 v[91:92], v91 offset:24
	s_waitcnt lgkmcnt(0)
	v_mul_f64 v[85:86], v[85:86], v[91:92]
	scratch_store_b64 off, v[85:86], off offset:24
.LBB105_378:
	s_or_b32 exec_lo, exec_lo, s3
	scratch_load_b64 v[85:86], off, off offset:16
	v_cmp_lt_u32_e64 s0, 2, v0
	s_waitcnt vmcnt(0)
	ds_store_b64 v88, v[85:86]
	s_waitcnt lgkmcnt(0)
	s_waitcnt_vscnt null, 0x0
	s_barrier
	buffer_gl0_inv
	s_and_saveexec_b32 s3, s0
	s_cbranch_execz .LBB105_388
; %bb.379:
	s_and_not1_b32 vcc_lo, exec_lo, s2
	s_cbranch_vccnz .LBB105_381
; %bb.380:
	scratch_load_b64 v[85:86], v89, off
	ds_load_b64 v[91:92], v88
	s_waitcnt vmcnt(0) lgkmcnt(0)
	v_mul_f64 v[85:86], v[85:86], v[91:92]
	s_cbranch_execz .LBB105_382
	s_branch .LBB105_383
.LBB105_381:
                                        ; implicit-def: $vgpr85_vgpr86
.LBB105_382:
	ds_load_b64 v[85:86], v88
.LBB105_383:
	s_and_saveexec_b32 s4, s1
	s_cbranch_execz .LBB105_387
; %bb.384:
	v_add_nc_u32_e64 v91, 0, 24
	v_add_nc_u32_e32 v92, -3, v0
	s_movk_i32 s5, 0x168
	s_mov_b32 s1, 0
.LBB105_385:                            ; =>This Inner Loop Header: Depth=1
	scratch_load_b64 v[93:94], v91, off
	v_dual_mov_b32 v95, s5 :: v_dual_add_nc_u32 v92, -1, v92
	v_add_nc_u32_e32 v91, 8, v91
	s_add_i32 s5, s5, 8
	ds_load_b64 v[95:96], v95
	v_cmp_eq_u32_e32 vcc_lo, 0, v92
	s_or_b32 s1, vcc_lo, s1
	s_waitcnt vmcnt(0) lgkmcnt(0)
	v_fma_f64 v[85:86], v[93:94], v[95:96], v[85:86]
	s_and_not1_b32 exec_lo, exec_lo, s1
	s_cbranch_execnz .LBB105_385
; %bb.386:
	s_or_b32 exec_lo, exec_lo, s1
.LBB105_387:
	s_delay_alu instid0(SALU_CYCLE_1)
	s_or_b32 exec_lo, exec_lo, s4
	v_mov_b32_e32 v91, 0
	ds_load_b64 v[91:92], v91 offset:16
	s_waitcnt lgkmcnt(0)
	v_mul_f64 v[85:86], v[85:86], v[91:92]
	scratch_store_b64 off, v[85:86], off offset:16
.LBB105_388:
	s_or_b32 exec_lo, exec_lo, s3
	scratch_load_b64 v[85:86], off, off offset:8
	v_cmp_lt_u32_e64 s1, 1, v0
	s_waitcnt vmcnt(0)
	ds_store_b64 v88, v[85:86]
	s_waitcnt lgkmcnt(0)
	s_waitcnt_vscnt null, 0x0
	s_barrier
	buffer_gl0_inv
	s_and_saveexec_b32 s3, s1
	s_cbranch_execz .LBB105_398
; %bb.389:
	s_and_not1_b32 vcc_lo, exec_lo, s2
	s_cbranch_vccnz .LBB105_391
; %bb.390:
	scratch_load_b64 v[85:86], v89, off
	ds_load_b64 v[91:92], v88
	s_waitcnt vmcnt(0) lgkmcnt(0)
	v_mul_f64 v[85:86], v[85:86], v[91:92]
	s_cbranch_execz .LBB105_392
	s_branch .LBB105_393
.LBB105_391:
                                        ; implicit-def: $vgpr85_vgpr86
.LBB105_392:
	ds_load_b64 v[85:86], v88
.LBB105_393:
	s_and_saveexec_b32 s4, s0
	s_cbranch_execz .LBB105_397
; %bb.394:
	v_add_nc_u32_e32 v91, -2, v0
	s_movk_i32 s5, 0x160
	s_mov_b32 s0, 0
.LBB105_395:                            ; =>This Inner Loop Header: Depth=1
	scratch_load_b64 v[92:93], v90, off
	v_dual_mov_b32 v94, s5 :: v_dual_add_nc_u32 v91, -1, v91
	v_add_nc_u32_e32 v90, 8, v90
	s_add_i32 s5, s5, 8
	ds_load_b64 v[94:95], v94
	v_cmp_eq_u32_e32 vcc_lo, 0, v91
	s_or_b32 s0, vcc_lo, s0
	s_waitcnt vmcnt(0) lgkmcnt(0)
	v_fma_f64 v[85:86], v[92:93], v[94:95], v[85:86]
	s_and_not1_b32 exec_lo, exec_lo, s0
	s_cbranch_execnz .LBB105_395
; %bb.396:
	s_or_b32 exec_lo, exec_lo, s0
.LBB105_397:
	s_delay_alu instid0(SALU_CYCLE_1)
	s_or_b32 exec_lo, exec_lo, s4
	v_mov_b32_e32 v90, 0
	ds_load_b64 v[90:91], v90 offset:8
	s_waitcnt lgkmcnt(0)
	v_mul_f64 v[85:86], v[85:86], v[90:91]
	scratch_store_b64 off, v[85:86], off offset:8
.LBB105_398:
	s_or_b32 exec_lo, exec_lo, s3
	scratch_load_b64 v[85:86], off, off
	s_mov_b32 s0, 0
	s_mov_b32 s3, exec_lo
	s_waitcnt vmcnt(0)
	ds_store_b64 v88, v[85:86]
	s_waitcnt lgkmcnt(0)
	s_waitcnt_vscnt null, 0x0
	s_barrier
	buffer_gl0_inv
	v_cmpx_ne_u32_e32 0, v0
	s_cbranch_execz .LBB105_408
; %bb.399:
	s_and_not1_b32 vcc_lo, exec_lo, s2
	s_cbranch_vccnz .LBB105_401
; %bb.400:
	scratch_load_b64 v[85:86], v89, off
	ds_load_b64 v[90:91], v88
	s_waitcnt vmcnt(0) lgkmcnt(0)
	v_mul_f64 v[85:86], v[85:86], v[90:91]
	s_cbranch_execz .LBB105_402
	s_branch .LBB105_403
.LBB105_401:
                                        ; implicit-def: $vgpr85_vgpr86
.LBB105_402:
	ds_load_b64 v[85:86], v88
.LBB105_403:
	s_and_saveexec_b32 s4, s1
	s_cbranch_execz .LBB105_407
; %bb.404:
	v_or_b32_e64 v90, 0, 8
	v_add_nc_u32_e32 v91, -1, v0
	s_movk_i32 s5, 0x158
	s_mov_b32 s1, 0
.LBB105_405:                            ; =>This Inner Loop Header: Depth=1
	scratch_load_b64 v[92:93], v90, off
	v_dual_mov_b32 v94, s5 :: v_dual_add_nc_u32 v91, -1, v91
	v_add_nc_u32_e32 v90, 8, v90
	s_add_i32 s5, s5, 8
	ds_load_b64 v[94:95], v94
	v_cmp_eq_u32_e32 vcc_lo, 0, v91
	s_or_b32 s1, vcc_lo, s1
	s_waitcnt vmcnt(0) lgkmcnt(0)
	v_fma_f64 v[85:86], v[92:93], v[94:95], v[85:86]
	s_and_not1_b32 exec_lo, exec_lo, s1
	s_cbranch_execnz .LBB105_405
; %bb.406:
	s_or_b32 exec_lo, exec_lo, s1
.LBB105_407:
	s_delay_alu instid0(SALU_CYCLE_1)
	s_or_b32 exec_lo, exec_lo, s4
	v_mov_b32_e32 v90, 0
	ds_load_b64 v[90:91], v90
	s_waitcnt lgkmcnt(0)
	v_mul_f64 v[85:86], v[85:86], v[90:91]
	scratch_store_b64 off, v[85:86], off
.LBB105_408:
	s_or_b32 exec_lo, exec_lo, s3
.LBB105_409:
	s_delay_alu instid0(SALU_CYCLE_1)
	s_and_b32 vcc_lo, exec_lo, s0
	s_cbranch_vccz .LBB105_815
; %bb.410:
	scratch_load_b64 v[85:86], off, off offset:8
	v_cmp_eq_u32_e64 s0, 0, v0
	s_waitcnt vmcnt(0)
	ds_store_b64 v88, v[85:86]
	s_waitcnt lgkmcnt(0)
	s_waitcnt_vscnt null, 0x0
	s_barrier
	buffer_gl0_inv
	s_and_saveexec_b32 s1, s0
	s_cbranch_execz .LBB105_416
; %bb.411:
	s_and_b32 vcc_lo, exec_lo, s2
	s_cbranch_vccz .LBB105_413
; %bb.412:
	scratch_load_b64 v[85:86], v89, off
	ds_load_b64 v[90:91], v88
	s_waitcnt vmcnt(0) lgkmcnt(0)
	v_mul_f64 v[85:86], v[85:86], v[90:91]
	s_cbranch_execz .LBB105_414
	s_branch .LBB105_415
.LBB105_413:
                                        ; implicit-def: $vgpr85_vgpr86
.LBB105_414:
	ds_load_b64 v[85:86], v88
.LBB105_415:
	v_mov_b32_e32 v90, 0
	ds_load_b64 v[90:91], v90 offset:8
	s_waitcnt lgkmcnt(0)
	v_mul_f64 v[85:86], v[85:86], v[90:91]
	scratch_store_b64 off, v[85:86], off offset:8
.LBB105_416:
	s_or_b32 exec_lo, exec_lo, s1
	scratch_load_b64 v[85:86], off, off offset:16
	v_cndmask_b32_e64 v90, 0, 1, s2
	s_mov_b32 s1, exec_lo
	s_waitcnt vmcnt(0)
	ds_store_b64 v88, v[85:86]
	s_waitcnt lgkmcnt(0)
	s_waitcnt_vscnt null, 0x0
	s_barrier
	buffer_gl0_inv
	v_cmpx_gt_u32_e32 2, v0
	s_cbranch_execz .LBB105_424
; %bb.417:
	s_and_not1_b32 vcc_lo, exec_lo, s2
	s_cbranch_vccnz .LBB105_419
; %bb.418:
	scratch_load_b64 v[85:86], v89, off
	ds_load_b64 v[91:92], v88
	s_waitcnt vmcnt(0) lgkmcnt(0)
	v_mul_f64 v[85:86], v[85:86], v[91:92]
	s_cbranch_execz .LBB105_420
	s_branch .LBB105_421
.LBB105_419:
                                        ; implicit-def: $vgpr85_vgpr86
.LBB105_420:
	ds_load_b64 v[85:86], v88
.LBB105_421:
	s_and_saveexec_b32 s2, s0
	s_cbranch_execz .LBB105_423
; %bb.422:
	scratch_load_b64 v[91:92], v89, off offset:8
	ds_load_b64 v[93:94], v88 offset:8
	s_waitcnt vmcnt(0) lgkmcnt(0)
	v_fma_f64 v[85:86], v[91:92], v[93:94], v[85:86]
.LBB105_423:
	s_or_b32 exec_lo, exec_lo, s2
	v_mov_b32_e32 v91, 0
	ds_load_b64 v[91:92], v91 offset:16
	s_waitcnt lgkmcnt(0)
	v_mul_f64 v[85:86], v[85:86], v[91:92]
	scratch_store_b64 off, v[85:86], off offset:16
.LBB105_424:
	s_or_b32 exec_lo, exec_lo, s1
	scratch_load_b64 v[85:86], off, off offset:24
	s_mov_b32 s1, exec_lo
	s_waitcnt vmcnt(0)
	ds_store_b64 v88, v[85:86]
	s_waitcnt lgkmcnt(0)
	s_waitcnt_vscnt null, 0x0
	s_barrier
	buffer_gl0_inv
	v_cmpx_gt_u32_e32 3, v0
	s_cbranch_execz .LBB105_434
; %bb.425:
	v_cmp_ne_u32_e32 vcc_lo, 1, v90
	s_cbranch_vccnz .LBB105_427
; %bb.426:
	scratch_load_b64 v[85:86], v89, off
	ds_load_b64 v[91:92], v88
	s_waitcnt vmcnt(0) lgkmcnt(0)
	v_mul_f64 v[85:86], v[85:86], v[91:92]
	s_cbranch_execz .LBB105_428
	s_branch .LBB105_429
.LBB105_427:
                                        ; implicit-def: $vgpr85_vgpr86
.LBB105_428:
	ds_load_b64 v[85:86], v88
.LBB105_429:
	s_mov_b32 s2, exec_lo
	v_cmpx_ne_u32_e32 2, v0
	s_cbranch_execz .LBB105_433
; %bb.430:
	scratch_load_b64 v[91:92], v89, off offset:8
	ds_load_b64 v[93:94], v88 offset:8
	s_waitcnt vmcnt(0) lgkmcnt(0)
	v_fma_f64 v[85:86], v[91:92], v[93:94], v[85:86]
	s_and_saveexec_b32 s3, s0
	s_cbranch_execz .LBB105_432
; %bb.431:
	scratch_load_b64 v[91:92], off, off offset:16
	v_mov_b32_e32 v93, 0
	ds_load_b64 v[93:94], v93 offset:352
	s_waitcnt vmcnt(0) lgkmcnt(0)
	v_fma_f64 v[85:86], v[91:92], v[93:94], v[85:86]
.LBB105_432:
	s_or_b32 exec_lo, exec_lo, s3
.LBB105_433:
	s_delay_alu instid0(SALU_CYCLE_1)
	s_or_b32 exec_lo, exec_lo, s2
	v_mov_b32_e32 v91, 0
	ds_load_b64 v[91:92], v91 offset:24
	s_waitcnt lgkmcnt(0)
	v_mul_f64 v[85:86], v[85:86], v[91:92]
	scratch_store_b64 off, v[85:86], off offset:24
.LBB105_434:
	s_or_b32 exec_lo, exec_lo, s1
	scratch_load_b64 v[85:86], off, off offset:32
	s_mov_b32 s0, exec_lo
	s_waitcnt vmcnt(0)
	ds_store_b64 v88, v[85:86]
	s_waitcnt lgkmcnt(0)
	s_waitcnt_vscnt null, 0x0
	s_barrier
	buffer_gl0_inv
	v_cmpx_gt_u32_e32 4, v0
	s_cbranch_execz .LBB105_444
; %bb.435:
	v_cmp_ne_u32_e32 vcc_lo, 1, v90
	s_cbranch_vccnz .LBB105_437
; %bb.436:
	scratch_load_b64 v[85:86], v89, off
	ds_load_b64 v[91:92], v88
	s_waitcnt vmcnt(0) lgkmcnt(0)
	v_mul_f64 v[85:86], v[85:86], v[91:92]
	s_cbranch_execz .LBB105_438
	s_branch .LBB105_439
.LBB105_437:
                                        ; implicit-def: $vgpr85_vgpr86
.LBB105_438:
	ds_load_b64 v[85:86], v88
.LBB105_439:
	s_mov_b32 s1, exec_lo
	v_cmpx_ne_u32_e32 3, v0
	s_cbranch_execz .LBB105_443
; %bb.440:
	v_add_nc_u32_e32 v91, 0x158, v87
	v_add3_u32 v92, 0, v87, 8
	v_mov_b32_e32 v93, v0
	s_mov_b32 s2, 0
.LBB105_441:                            ; =>This Inner Loop Header: Depth=1
	scratch_load_b64 v[94:95], v92, off
	ds_load_b64 v[96:97], v91
	v_add_nc_u32_e32 v93, 1, v93
	v_add_nc_u32_e32 v91, 8, v91
	v_add_nc_u32_e32 v92, 8, v92
	s_delay_alu instid0(VALU_DEP_3)
	v_cmp_lt_u32_e32 vcc_lo, 2, v93
	s_or_b32 s2, vcc_lo, s2
	s_waitcnt vmcnt(0) lgkmcnt(0)
	v_fma_f64 v[85:86], v[94:95], v[96:97], v[85:86]
	s_and_not1_b32 exec_lo, exec_lo, s2
	s_cbranch_execnz .LBB105_441
; %bb.442:
	s_or_b32 exec_lo, exec_lo, s2
.LBB105_443:
	s_delay_alu instid0(SALU_CYCLE_1)
	s_or_b32 exec_lo, exec_lo, s1
	v_mov_b32_e32 v91, 0
	ds_load_b64 v[91:92], v91 offset:32
	s_waitcnt lgkmcnt(0)
	v_mul_f64 v[85:86], v[85:86], v[91:92]
	scratch_store_b64 off, v[85:86], off offset:32
.LBB105_444:
	s_or_b32 exec_lo, exec_lo, s0
	scratch_load_b64 v[85:86], off, off offset:40
	s_mov_b32 s0, exec_lo
	s_waitcnt vmcnt(0)
	ds_store_b64 v88, v[85:86]
	s_waitcnt lgkmcnt(0)
	s_waitcnt_vscnt null, 0x0
	s_barrier
	buffer_gl0_inv
	v_cmpx_gt_u32_e32 5, v0
	s_cbranch_execz .LBB105_454
; %bb.445:
	v_cmp_ne_u32_e32 vcc_lo, 1, v90
	s_cbranch_vccnz .LBB105_447
; %bb.446:
	scratch_load_b64 v[85:86], v89, off
	ds_load_b64 v[91:92], v88
	s_waitcnt vmcnt(0) lgkmcnt(0)
	v_mul_f64 v[85:86], v[85:86], v[91:92]
	s_cbranch_execz .LBB105_448
	s_branch .LBB105_449
.LBB105_447:
                                        ; implicit-def: $vgpr85_vgpr86
.LBB105_448:
	ds_load_b64 v[85:86], v88
.LBB105_449:
	s_mov_b32 s1, exec_lo
	v_cmpx_ne_u32_e32 4, v0
	s_cbranch_execz .LBB105_453
; %bb.450:
	v_add_nc_u32_e32 v91, 0x158, v87
	v_add3_u32 v92, 0, v87, 8
	v_mov_b32_e32 v93, v0
	s_mov_b32 s2, 0
.LBB105_451:                            ; =>This Inner Loop Header: Depth=1
	scratch_load_b64 v[94:95], v92, off
	ds_load_b64 v[96:97], v91
	v_add_nc_u32_e32 v93, 1, v93
	v_add_nc_u32_e32 v91, 8, v91
	v_add_nc_u32_e32 v92, 8, v92
	s_delay_alu instid0(VALU_DEP_3)
	v_cmp_lt_u32_e32 vcc_lo, 3, v93
	s_or_b32 s2, vcc_lo, s2
	s_waitcnt vmcnt(0) lgkmcnt(0)
	v_fma_f64 v[85:86], v[94:95], v[96:97], v[85:86]
	s_and_not1_b32 exec_lo, exec_lo, s2
	s_cbranch_execnz .LBB105_451
; %bb.452:
	s_or_b32 exec_lo, exec_lo, s2
.LBB105_453:
	s_delay_alu instid0(SALU_CYCLE_1)
	s_or_b32 exec_lo, exec_lo, s1
	v_mov_b32_e32 v91, 0
	ds_load_b64 v[91:92], v91 offset:40
	s_waitcnt lgkmcnt(0)
	v_mul_f64 v[85:86], v[85:86], v[91:92]
	scratch_store_b64 off, v[85:86], off offset:40
.LBB105_454:
	;; [unrolled: 58-line block ×36, first 2 shown]
	s_or_b32 exec_lo, exec_lo, s0
	scratch_load_b64 v[85:86], off, off offset:320
	v_cmp_gt_u32_e64 s0, 40, v0
	s_waitcnt vmcnt(0)
	ds_store_b64 v88, v[85:86]
	s_waitcnt lgkmcnt(0)
	s_waitcnt_vscnt null, 0x0
	s_barrier
	buffer_gl0_inv
	s_and_saveexec_b32 s1, s0
	s_cbranch_execz .LBB105_804
; %bb.795:
	v_cmp_ne_u32_e32 vcc_lo, 1, v90
	s_cbranch_vccnz .LBB105_797
; %bb.796:
	scratch_load_b64 v[85:86], v89, off
	ds_load_b64 v[91:92], v88
	s_waitcnt vmcnt(0) lgkmcnt(0)
	v_mul_f64 v[85:86], v[85:86], v[91:92]
	s_cbranch_execz .LBB105_798
	s_branch .LBB105_799
.LBB105_797:
                                        ; implicit-def: $vgpr85_vgpr86
.LBB105_798:
	ds_load_b64 v[85:86], v88
.LBB105_799:
	s_mov_b32 s2, exec_lo
	v_cmpx_ne_u32_e32 39, v0
	s_cbranch_execz .LBB105_803
; %bb.800:
	v_add_nc_u32_e32 v91, 0x158, v87
	v_add3_u32 v92, 0, v87, 8
	v_mov_b32_e32 v93, v0
	s_mov_b32 s3, 0
.LBB105_801:                            ; =>This Inner Loop Header: Depth=1
	scratch_load_b64 v[94:95], v92, off
	ds_load_b64 v[96:97], v91
	v_add_nc_u32_e32 v93, 1, v93
	v_add_nc_u32_e32 v91, 8, v91
	;; [unrolled: 1-line block ×3, first 2 shown]
	s_delay_alu instid0(VALU_DEP_3)
	v_cmp_lt_u32_e32 vcc_lo, 38, v93
	s_or_b32 s3, vcc_lo, s3
	s_waitcnt vmcnt(0) lgkmcnt(0)
	v_fma_f64 v[85:86], v[94:95], v[96:97], v[85:86]
	s_and_not1_b32 exec_lo, exec_lo, s3
	s_cbranch_execnz .LBB105_801
; %bb.802:
	s_or_b32 exec_lo, exec_lo, s3
.LBB105_803:
	s_delay_alu instid0(SALU_CYCLE_1)
	s_or_b32 exec_lo, exec_lo, s2
	v_mov_b32_e32 v91, 0
	ds_load_b64 v[91:92], v91 offset:320
	s_waitcnt lgkmcnt(0)
	v_mul_f64 v[85:86], v[85:86], v[91:92]
	scratch_store_b64 off, v[85:86], off offset:320
.LBB105_804:
	s_or_b32 exec_lo, exec_lo, s1
	scratch_load_b64 v[85:86], off, off offset:328
	s_mov_b32 s1, exec_lo
	s_waitcnt vmcnt(0)
	ds_store_b64 v88, v[85:86]
	s_waitcnt lgkmcnt(0)
	s_waitcnt_vscnt null, 0x0
	s_barrier
	buffer_gl0_inv
	v_cmpx_ne_u32_e32 41, v0
	s_cbranch_execz .LBB105_814
; %bb.805:
	v_cmp_ne_u32_e32 vcc_lo, 1, v90
	s_cbranch_vccnz .LBB105_807
; %bb.806:
	scratch_load_b64 v[85:86], v89, off
	ds_load_b64 v[89:90], v88
	s_waitcnt vmcnt(0) lgkmcnt(0)
	v_mul_f64 v[85:86], v[85:86], v[89:90]
	s_cbranch_execz .LBB105_808
	s_branch .LBB105_809
.LBB105_807:
                                        ; implicit-def: $vgpr85_vgpr86
.LBB105_808:
	ds_load_b64 v[85:86], v88
.LBB105_809:
	s_and_saveexec_b32 s2, s0
	s_cbranch_execz .LBB105_813
; %bb.810:
	v_add_nc_u32_e32 v88, 0x158, v87
	v_add3_u32 v87, 0, v87, 8
	s_mov_b32 s0, 0
.LBB105_811:                            ; =>This Inner Loop Header: Depth=1
	scratch_load_b64 v[89:90], v87, off
	ds_load_b64 v[91:92], v88
	v_add_nc_u32_e32 v0, 1, v0
	v_add_nc_u32_e32 v88, 8, v88
	;; [unrolled: 1-line block ×3, first 2 shown]
	s_delay_alu instid0(VALU_DEP_3)
	v_cmp_lt_u32_e32 vcc_lo, 39, v0
	s_or_b32 s0, vcc_lo, s0
	s_waitcnt vmcnt(0) lgkmcnt(0)
	v_fma_f64 v[85:86], v[89:90], v[91:92], v[85:86]
	s_and_not1_b32 exec_lo, exec_lo, s0
	s_cbranch_execnz .LBB105_811
; %bb.812:
	s_or_b32 exec_lo, exec_lo, s0
.LBB105_813:
	s_delay_alu instid0(SALU_CYCLE_1)
	s_or_b32 exec_lo, exec_lo, s2
	v_mov_b32_e32 v0, 0
	ds_load_b64 v[87:88], v0 offset:328
	s_waitcnt lgkmcnt(0)
	v_mul_f64 v[85:86], v[85:86], v[87:88]
	scratch_store_b64 off, v[85:86], off offset:328
.LBB105_814:
	s_or_b32 exec_lo, exec_lo, s1
.LBB105_815:
	s_clause 0x7
	scratch_load_b128 v[85:88], off, off
	scratch_load_b128 v[89:92], off, off offset:16
	scratch_load_b128 v[93:96], off, off offset:32
	;; [unrolled: 1-line block ×7, first 2 shown]
	s_waitcnt vmcnt(7)
	s_clause 0x1
	global_store_b64 v[33:34], v[85:86], off
	global_store_b64 v[39:40], v[87:88], off
	s_clause 0x1
	scratch_load_b128 v[85:88], off, off offset:128
	scratch_load_b128 v[117:120], off, off offset:144
	s_waitcnt vmcnt(8)
	s_clause 0x1
	global_store_b64 v[1:2], v[89:90], off
	global_store_b64 v[3:4], v[91:92], off
	s_clause 0x1
	scratch_load_b128 v[0:3], off, off offset:160
	scratch_load_b128 v[89:92], off, off offset:176
	;; [unrolled: 7-line block ×6, first 2 shown]
	s_waitcnt vmcnt(13)
	s_clause 0x1
	global_store_b64 v[15:16], v[109:110], off
	global_store_b64 v[17:18], v[111:112], off
	scratch_load_b128 v[15:18], off, off offset:320
	s_waitcnt vmcnt(13)
	s_clause 0x1
	global_store_b64 v[19:20], v[113:114], off
	global_store_b64 v[23:24], v[115:116], off
	s_waitcnt vmcnt(12)
	s_clause 0x1
	global_store_b64 v[27:28], v[85:86], off
	global_store_b64 v[31:32], v[87:88], off
	;; [unrolled: 4-line block ×14, first 2 shown]
.LBB105_816:
	s_endpgm
	.section	.rodata,"a",@progbits
	.p2align	6, 0x0
	.amdhsa_kernel _ZN9rocsolver6v33100L18trti2_kernel_smallILi42EdPKPdEEv13rocblas_fill_17rocblas_diagonal_T1_iil
		.amdhsa_group_segment_fixed_size 672
		.amdhsa_private_segment_fixed_size 352
		.amdhsa_kernarg_size 32
		.amdhsa_user_sgpr_count 15
		.amdhsa_user_sgpr_dispatch_ptr 0
		.amdhsa_user_sgpr_queue_ptr 0
		.amdhsa_user_sgpr_kernarg_segment_ptr 1
		.amdhsa_user_sgpr_dispatch_id 0
		.amdhsa_user_sgpr_private_segment_size 0
		.amdhsa_wavefront_size32 1
		.amdhsa_uses_dynamic_stack 0
		.amdhsa_enable_private_segment 1
		.amdhsa_system_sgpr_workgroup_id_x 1
		.amdhsa_system_sgpr_workgroup_id_y 0
		.amdhsa_system_sgpr_workgroup_id_z 0
		.amdhsa_system_sgpr_workgroup_info 0
		.amdhsa_system_vgpr_workitem_id 0
		.amdhsa_next_free_vgpr 130
		.amdhsa_next_free_sgpr 18
		.amdhsa_reserve_vcc 1
		.amdhsa_float_round_mode_32 0
		.amdhsa_float_round_mode_16_64 0
		.amdhsa_float_denorm_mode_32 3
		.amdhsa_float_denorm_mode_16_64 3
		.amdhsa_dx10_clamp 1
		.amdhsa_ieee_mode 1
		.amdhsa_fp16_overflow 0
		.amdhsa_workgroup_processor_mode 1
		.amdhsa_memory_ordered 1
		.amdhsa_forward_progress 0
		.amdhsa_shared_vgpr_count 0
		.amdhsa_exception_fp_ieee_invalid_op 0
		.amdhsa_exception_fp_denorm_src 0
		.amdhsa_exception_fp_ieee_div_zero 0
		.amdhsa_exception_fp_ieee_overflow 0
		.amdhsa_exception_fp_ieee_underflow 0
		.amdhsa_exception_fp_ieee_inexact 0
		.amdhsa_exception_int_div_zero 0
	.end_amdhsa_kernel
	.section	.text._ZN9rocsolver6v33100L18trti2_kernel_smallILi42EdPKPdEEv13rocblas_fill_17rocblas_diagonal_T1_iil,"axG",@progbits,_ZN9rocsolver6v33100L18trti2_kernel_smallILi42EdPKPdEEv13rocblas_fill_17rocblas_diagonal_T1_iil,comdat
.Lfunc_end105:
	.size	_ZN9rocsolver6v33100L18trti2_kernel_smallILi42EdPKPdEEv13rocblas_fill_17rocblas_diagonal_T1_iil, .Lfunc_end105-_ZN9rocsolver6v33100L18trti2_kernel_smallILi42EdPKPdEEv13rocblas_fill_17rocblas_diagonal_T1_iil
                                        ; -- End function
	.section	.AMDGPU.csdata,"",@progbits
; Kernel info:
; codeLenInByte = 22920
; NumSgprs: 20
; NumVgprs: 130
; ScratchSize: 352
; MemoryBound: 0
; FloatMode: 240
; IeeeMode: 1
; LDSByteSize: 672 bytes/workgroup (compile time only)
; SGPRBlocks: 2
; VGPRBlocks: 16
; NumSGPRsForWavesPerEU: 20
; NumVGPRsForWavesPerEU: 130
; Occupancy: 10
; WaveLimiterHint : 1
; COMPUTE_PGM_RSRC2:SCRATCH_EN: 1
; COMPUTE_PGM_RSRC2:USER_SGPR: 15
; COMPUTE_PGM_RSRC2:TRAP_HANDLER: 0
; COMPUTE_PGM_RSRC2:TGID_X_EN: 1
; COMPUTE_PGM_RSRC2:TGID_Y_EN: 0
; COMPUTE_PGM_RSRC2:TGID_Z_EN: 0
; COMPUTE_PGM_RSRC2:TIDIG_COMP_CNT: 0
	.section	.text._ZN9rocsolver6v33100L18trti2_kernel_smallILi43EdPKPdEEv13rocblas_fill_17rocblas_diagonal_T1_iil,"axG",@progbits,_ZN9rocsolver6v33100L18trti2_kernel_smallILi43EdPKPdEEv13rocblas_fill_17rocblas_diagonal_T1_iil,comdat
	.globl	_ZN9rocsolver6v33100L18trti2_kernel_smallILi43EdPKPdEEv13rocblas_fill_17rocblas_diagonal_T1_iil ; -- Begin function _ZN9rocsolver6v33100L18trti2_kernel_smallILi43EdPKPdEEv13rocblas_fill_17rocblas_diagonal_T1_iil
	.p2align	8
	.type	_ZN9rocsolver6v33100L18trti2_kernel_smallILi43EdPKPdEEv13rocblas_fill_17rocblas_diagonal_T1_iil,@function
_ZN9rocsolver6v33100L18trti2_kernel_smallILi43EdPKPdEEv13rocblas_fill_17rocblas_diagonal_T1_iil: ; @_ZN9rocsolver6v33100L18trti2_kernel_smallILi43EdPKPdEEv13rocblas_fill_17rocblas_diagonal_T1_iil
; %bb.0:
	s_mov_b32 s2, exec_lo
	v_cmpx_gt_u32_e32 43, v0
	s_cbranch_execz .LBB106_836
; %bb.1:
	s_clause 0x1
	s_load_b64 s[4:5], s[0:1], 0x10
	s_load_b128 s[0:3], s[0:1], 0x0
	s_mov_b32 s6, s15
	s_ashr_i32 s7, s15, 31
	v_lshlrev_b32_e32 v89, 3, v0
	s_lshl_b64 s[6:7], s[6:7], 3
	s_waitcnt lgkmcnt(0)
	s_ashr_i32 s9, s4, 31
	s_add_u32 s2, s2, s6
	s_addc_u32 s3, s3, s7
	v_add3_u32 v1, s5, s5, v0
	s_load_b64 s[2:3], s[2:3], 0x0
	s_mov_b32 s8, s4
	s_delay_alu instid0(SALU_CYCLE_1) | instskip(NEXT) | instid1(VALU_DEP_1)
	s_lshl_b64 s[6:7], s[8:9], 3
	v_add_nc_u32_e32 v5, s5, v1
	v_ashrrev_i32_e32 v2, 31, v1
	s_delay_alu instid0(VALU_DEP_2) | instskip(NEXT) | instid1(VALU_DEP_2)
	v_ashrrev_i32_e32 v6, 31, v5
	v_lshlrev_b64 v[1:2], 3, v[1:2]
	s_delay_alu instid0(VALU_DEP_2) | instskip(SKIP_1) | instid1(VALU_DEP_1)
	v_lshlrev_b64 v[3:4], 3, v[5:6]
	v_add_nc_u32_e32 v5, s5, v5
	v_add_nc_u32_e32 v11, s5, v5
	s_waitcnt lgkmcnt(0)
	s_add_u32 s2, s2, s6
	s_addc_u32 s3, s3, s7
	v_add_co_u32 v1, vcc_lo, s2, v1
	v_add_co_ci_u32_e32 v2, vcc_lo, s3, v2, vcc_lo
	v_add_co_u32 v3, vcc_lo, s2, v3
	v_add_co_ci_u32_e32 v4, vcc_lo, s3, v4, vcc_lo
	v_ashrrev_i32_e32 v6, 31, v5
	s_clause 0x1
	global_load_b64 v[17:18], v[1:2], off
	global_load_b64 v[19:20], v[3:4], off
	v_ashrrev_i32_e32 v12, 31, v11
	v_add_co_u32 v9, s4, s2, v89
	v_lshlrev_b64 v[5:6], 3, v[5:6]
	s_mov_b32 s6, s5
	s_delay_alu instid0(VALU_DEP_3) | instskip(SKIP_2) | instid1(VALU_DEP_3)
	v_lshlrev_b64 v[12:13], 3, v[11:12]
	s_ashr_i32 s7, s5, 31
	v_add_co_ci_u32_e64 v10, null, s3, 0, s4
	v_add_co_u32 v7, vcc_lo, s2, v5
	v_add_co_ci_u32_e32 v8, vcc_lo, s3, v6, vcc_lo
	s_delay_alu instid0(VALU_DEP_4)
	v_add_co_u32 v5, vcc_lo, s2, v12
	s_lshl_b64 s[6:7], s[6:7], 3
	v_add_co_ci_u32_e32 v6, vcc_lo, s3, v13, vcc_lo
	v_add_co_u32 v15, vcc_lo, v9, s6
	v_add_co_ci_u32_e32 v16, vcc_lo, s7, v10, vcc_lo
	s_clause 0x3
	global_load_b64 v[47:48], v[7:8], off
	global_load_b64 v[49:50], v[5:6], off
	global_load_b64 v[51:52], v89, s[2:3]
	global_load_b64 v[53:54], v[15:16], off
	v_add_nc_u32_e32 v11, s5, v11
	s_cmpk_lg_i32 s1, 0x84
	s_delay_alu instid0(VALU_DEP_1) | instskip(SKIP_1) | instid1(VALU_DEP_2)
	v_add_nc_u32_e32 v13, s5, v11
	v_ashrrev_i32_e32 v12, 31, v11
	v_add_nc_u32_e32 v21, s5, v13
	v_ashrrev_i32_e32 v14, 31, v13
	s_delay_alu instid0(VALU_DEP_3) | instskip(NEXT) | instid1(VALU_DEP_3)
	v_lshlrev_b64 v[11:12], 3, v[11:12]
	v_add_nc_u32_e32 v23, s5, v21
	v_ashrrev_i32_e32 v22, 31, v21
	s_delay_alu instid0(VALU_DEP_4) | instskip(NEXT) | instid1(VALU_DEP_4)
	v_lshlrev_b64 v[30:31], 3, v[13:14]
	v_add_co_u32 v13, vcc_lo, s2, v11
	s_delay_alu instid0(VALU_DEP_4) | instskip(SKIP_3) | instid1(VALU_DEP_4)
	v_add_nc_u32_e32 v25, s5, v23
	v_add_co_ci_u32_e32 v14, vcc_lo, s3, v12, vcc_lo
	v_lshlrev_b64 v[11:12], 3, v[21:22]
	v_ashrrev_i32_e32 v24, 31, v23
	v_add_nc_u32_e32 v27, s5, v25
	v_add_co_u32 v35, vcc_lo, s2, v30
	v_ashrrev_i32_e32 v26, 31, v25
	v_add_co_ci_u32_e32 v36, vcc_lo, s3, v31, vcc_lo
	s_delay_alu instid0(VALU_DEP_4) | instskip(SKIP_3) | instid1(VALU_DEP_4)
	v_add_nc_u32_e32 v29, s5, v27
	v_lshlrev_b64 v[21:22], 3, v[23:24]
	v_add_co_u32 v31, vcc_lo, s2, v11
	v_add_co_ci_u32_e32 v32, vcc_lo, s3, v12, vcc_lo
	v_add_nc_u32_e32 v33, s5, v29
	v_lshlrev_b64 v[11:12], 3, v[25:26]
	v_ashrrev_i32_e32 v28, 31, v27
	v_add_co_u32 v37, vcc_lo, s2, v21
	s_delay_alu instid0(VALU_DEP_4) | instskip(SKIP_3) | instid1(VALU_DEP_4)
	v_add_nc_u32_e32 v39, s5, v33
	v_ashrrev_i32_e32 v30, 31, v29
	v_add_co_ci_u32_e32 v38, vcc_lo, s3, v22, vcc_lo
	v_lshlrev_b64 v[21:22], 3, v[27:28]
	v_add_nc_u32_e32 v43, s5, v39
	v_add_co_u32 v45, vcc_lo, s2, v11
	v_add_co_ci_u32_e32 v46, vcc_lo, s3, v12, vcc_lo
	s_delay_alu instid0(VALU_DEP_3) | instskip(SKIP_3) | instid1(VALU_DEP_4)
	v_add_nc_u32_e32 v71, s5, v43
	v_lshlrev_b64 v[11:12], 3, v[29:30]
	v_ashrrev_i32_e32 v34, 31, v33
	v_add_co_u32 v41, vcc_lo, s2, v21
	v_add_nc_u32_e32 v73, s5, v71
	v_ashrrev_i32_e32 v40, 31, v39
	v_add_co_ci_u32_e32 v42, vcc_lo, s3, v22, vcc_lo
	v_lshlrev_b64 v[21:22], 3, v[33:34]
	s_delay_alu instid0(VALU_DEP_4) | instskip(SKIP_3) | instid1(VALU_DEP_4)
	v_add_nc_u32_e32 v79, s5, v73
	v_add_co_u32 v29, vcc_lo, s2, v11
	v_ashrrev_i32_e32 v44, 31, v43
	v_add_co_ci_u32_e32 v30, vcc_lo, s3, v12, vcc_lo
	v_add_nc_u32_e32 v81, s5, v79
	s_clause 0x3
	global_load_b64 v[55:56], v[13:14], off
	global_load_b64 v[57:58], v[35:36], off
	;; [unrolled: 1-line block ×4, first 2 shown]
	v_ashrrev_i32_e32 v72, 31, v71
	v_ashrrev_i32_e32 v74, 31, v73
	v_add_nc_u32_e32 v83, s5, v81
	v_ashrrev_i32_e32 v80, 31, v79
	v_ashrrev_i32_e32 v82, 31, v81
	s_delay_alu instid0(VALU_DEP_3) | instskip(NEXT) | instid1(VALU_DEP_3)
	v_add_nc_u32_e32 v85, s5, v83
	v_lshlrev_b64 v[27:28], 3, v[79:80]
	v_ashrrev_i32_e32 v84, 31, v83
	s_delay_alu instid0(VALU_DEP_4) | instskip(NEXT) | instid1(VALU_DEP_4)
	v_lshlrev_b64 v[33:34], 3, v[81:82]
	v_add_nc_u32_e32 v87, s5, v85
	v_ashrrev_i32_e32 v86, 31, v85
	s_delay_alu instid0(VALU_DEP_2) | instskip(SKIP_1) | instid1(VALU_DEP_2)
	v_add_nc_u32_e32 v90, s5, v87
	v_ashrrev_i32_e32 v88, 31, v87
	v_add_nc_u32_e32 v92, s5, v90
	s_delay_alu instid0(VALU_DEP_1) | instskip(SKIP_1) | instid1(VALU_DEP_2)
	v_add_nc_u32_e32 v94, s5, v92
	v_ashrrev_i32_e32 v93, 31, v92
	v_add_nc_u32_e32 v96, s5, v94
	v_ashrrev_i32_e32 v95, 31, v94
	s_delay_alu instid0(VALU_DEP_2) | instskip(SKIP_1) | instid1(VALU_DEP_2)
	v_add_nc_u32_e32 v98, s5, v96
	v_ashrrev_i32_e32 v97, 31, v96
	v_add_nc_u32_e32 v100, s5, v98
	v_ashrrev_i32_e32 v99, 31, v98
	s_delay_alu instid0(VALU_DEP_2) | instskip(SKIP_1) | instid1(VALU_DEP_2)
	;; [unrolled: 5-line block ×8, first 2 shown]
	v_add_nc_u32_e32 v128, s5, v126
	v_ashrrev_i32_e32 v127, 31, v126
	v_add_nc_u32_e32 v23, s5, v128
	v_ashrrev_i32_e32 v129, 31, v128
	s_delay_alu instid0(VALU_DEP_2) | instskip(NEXT) | instid1(VALU_DEP_1)
	v_ashrrev_i32_e32 v24, 31, v23
	v_lshlrev_b64 v[23:24], 3, v[23:24]
	s_delay_alu instid0(VALU_DEP_1) | instskip(NEXT) | instid1(VALU_DEP_2)
	v_add_co_u32 v11, vcc_lo, s2, v23
	v_add_co_ci_u32_e32 v12, vcc_lo, s3, v24, vcc_lo
	v_add_co_u32 v25, vcc_lo, s2, v21
	v_add_co_ci_u32_e32 v26, vcc_lo, s3, v22, vcc_lo
	v_lshlrev_b64 v[21:22], 3, v[71:72]
	v_lshlrev_b64 v[23:24], 3, v[73:74]
	global_load_b64 v[130:131], v[11:12], off
	s_waitcnt vmcnt(9)
	scratch_store_b128 off, v[17:20], off offset:16
	v_lshlrev_b64 v[17:18], 3, v[39:40]
	v_lshlrev_b64 v[19:20], 3, v[43:44]
	s_clause 0x3
	global_load_b64 v[63:64], v[45:46], off
	global_load_b64 v[65:66], v[41:42], off
	;; [unrolled: 1-line block ×4, first 2 shown]
	v_lshlrev_b64 v[39:40], 3, v[83:84]
	v_lshlrev_b64 v[43:44], 3, v[85:86]
	v_add_co_u32 v17, vcc_lo, s2, v17
	v_add_co_ci_u32_e32 v18, vcc_lo, s3, v18, vcc_lo
	v_add_co_u32 v19, vcc_lo, s2, v19
	v_add_co_ci_u32_e32 v20, vcc_lo, s3, v20, vcc_lo
	v_add_co_u32 v21, vcc_lo, s2, v21
	v_add_co_ci_u32_e32 v22, vcc_lo, s3, v22, vcc_lo
	v_add_co_u32 v23, vcc_lo, s2, v23
	v_add_co_ci_u32_e32 v24, vcc_lo, s3, v24, vcc_lo
	s_waitcnt vmcnt(11)
	scratch_store_b128 off, v[47:50], off offset:32
	s_clause 0x1
	global_load_b64 v[71:72], v[17:18], off
	global_load_b64 v[73:74], v[19:20], off
	s_waitcnt vmcnt(11)
	scratch_store_b128 off, v[51:54], off
	s_clause 0x1
	global_load_b64 v[75:76], v[21:22], off
	global_load_b64 v[77:78], v[23:24], off
	v_add_co_u32 v27, vcc_lo, s2, v27
	v_add_co_ci_u32_e32 v28, vcc_lo, s3, v28, vcc_lo
	v_add_co_u32 v33, vcc_lo, s2, v33
	v_lshlrev_b64 v[47:48], 3, v[87:88]
	v_mov_b32_e32 v87, 0
	v_ashrrev_i32_e32 v91, 31, v90
	v_add_co_ci_u32_e32 v34, vcc_lo, s3, v34, vcc_lo
	v_add_co_u32 v39, vcc_lo, s2, v39
	v_add_co_ci_u32_e32 v40, vcc_lo, s3, v40, vcc_lo
	v_add_co_u32 v43, vcc_lo, s2, v43
	v_lshlrev_b64 v[49:50], 3, v[90:91]
	v_add_co_ci_u32_e32 v44, vcc_lo, s3, v44, vcc_lo
	v_add_co_u32 v47, vcc_lo, s2, v47
	v_lshlrev_b64 v[51:52], 3, v[92:93]
	;; [unrolled: 3-line block ×3, first 2 shown]
	s_waitcnt vmcnt(11)
	scratch_store_b128 off, v[55:58], off offset:48
	s_waitcnt vmcnt(9)
	scratch_store_b128 off, v[59:62], off offset:64
	v_add_co_ci_u32_e32 v50, vcc_lo, s3, v50, vcc_lo
	s_clause 0x2
	global_load_b64 v[79:80], v[27:28], off
	global_load_b64 v[81:82], v[33:34], off
	;; [unrolled: 1-line block ×3, first 2 shown]
	v_add_co_u32 v51, vcc_lo, s2, v51
	v_lshlrev_b64 v[55:56], 3, v[96:97]
	global_load_b64 v[85:86], v[43:44], off
	v_add_co_ci_u32_e32 v52, vcc_lo, s3, v52, vcc_lo
	v_add_co_u32 v53, vcc_lo, s2, v53
	v_lshlrev_b64 v[57:58], 3, v[98:99]
	v_add_co_ci_u32_e32 v54, vcc_lo, s3, v54, vcc_lo
	v_add_co_u32 v55, vcc_lo, s2, v55
	v_lshlrev_b64 v[59:60], 3, v[100:101]
	;; [unrolled: 3-line block ×3, first 2 shown]
	v_add_co_ci_u32_e32 v58, vcc_lo, s3, v58, vcc_lo
	v_add_co_u32 v59, vcc_lo, s2, v59
	v_add_co_ci_u32_e32 v60, vcc_lo, s3, v60, vcc_lo
	s_delay_alu instid0(VALU_DEP_4)
	v_add_co_u32 v61, vcc_lo, s2, v61
	v_add_co_ci_u32_e32 v62, vcc_lo, s3, v62, vcc_lo
	v_mov_b32_e32 v88, 0xbff00000
	s_waitcnt vmcnt(10)
	scratch_store_b128 off, v[63:66], off offset:80
	s_waitcnt vmcnt(8)
	scratch_store_b128 off, v[67:70], off offset:96
	s_clause 0x3
	global_load_b64 v[90:91], v[47:48], off
	global_load_b64 v[92:93], v[49:50], off
	;; [unrolled: 1-line block ×4, first 2 shown]
	v_lshlrev_b64 v[63:64], 3, v[106:107]
	v_lshlrev_b64 v[65:66], 3, v[108:109]
	;; [unrolled: 1-line block ×4, first 2 shown]
	s_delay_alu instid0(VALU_DEP_4)
	v_add_co_u32 v63, vcc_lo, s2, v63
	v_add_co_ci_u32_e32 v64, vcc_lo, s3, v64, vcc_lo
	v_add_co_u32 v65, vcc_lo, s2, v65
	v_add_co_ci_u32_e32 v66, vcc_lo, s3, v66, vcc_lo
	;; [unrolled: 2-line block ×3, first 2 shown]
	v_add_co_u32 v69, vcc_lo, s2, v69
	s_waitcnt vmcnt(10)
	scratch_store_b128 off, v[71:74], off offset:112
	s_clause 0x1
	global_load_b64 v[98:99], v[55:56], off
	global_load_b64 v[100:101], v[57:58], off
	s_waitcnt vmcnt(10)
	scratch_store_b128 off, v[75:78], off offset:128
	s_clause 0x1
	global_load_b64 v[102:103], v[59:60], off
	global_load_b64 v[104:105], v[61:62], off
	v_lshlrev_b64 v[71:72], 3, v[114:115]
	v_lshlrev_b64 v[73:74], 3, v[116:117]
	v_add_co_ci_u32_e32 v70, vcc_lo, s3, v70, vcc_lo
	v_lshlrev_b64 v[75:76], 3, v[118:119]
	v_lshlrev_b64 v[77:78], 3, v[120:121]
	v_add_co_u32 v71, vcc_lo, s2, v71
	v_add_co_ci_u32_e32 v72, vcc_lo, s3, v72, vcc_lo
	v_add_co_u32 v73, vcc_lo, s2, v73
	v_add_co_ci_u32_e32 v74, vcc_lo, s3, v74, vcc_lo
	s_waitcnt vmcnt(10)
	scratch_store_b128 off, v[79:82], off offset:144
	s_waitcnt vmcnt(8)
	scratch_store_b128 off, v[83:86], off offset:160
	v_add_co_u32 v75, vcc_lo, s2, v75
	v_lshlrev_b64 v[79:80], 3, v[122:123]
	v_add_co_ci_u32_e32 v76, vcc_lo, s3, v76, vcc_lo
	v_add_co_u32 v77, vcc_lo, s2, v77
	v_lshlrev_b64 v[81:82], 3, v[124:125]
	v_add_co_ci_u32_e32 v78, vcc_lo, s3, v78, vcc_lo
	;; [unrolled: 3-line block ×4, first 2 shown]
	v_add_co_u32 v83, vcc_lo, s2, v83
	v_add_co_ci_u32_e32 v84, vcc_lo, s3, v84, vcc_lo
	s_delay_alu instid0(VALU_DEP_4)
	v_add_co_u32 v85, vcc_lo, s2, v85
	v_add_co_ci_u32_e32 v86, vcc_lo, s3, v86, vcc_lo
	s_clause 0x2
	global_load_b64 v[106:107], v[63:64], off
	global_load_b64 v[108:109], v[65:66], off
	;; [unrolled: 1-line block ×3, first 2 shown]
	s_cselect_b32 s3, -1, 0
	s_cmpk_eq_i32 s1, 0x84
	s_waitcnt vmcnt(9)
	scratch_store_b128 off, v[90:93], off offset:176
	s_waitcnt vmcnt(7)
	scratch_store_b128 off, v[94:97], off offset:192
	s_clause 0x3
	global_load_b64 v[112:113], v[69:70], off
	global_load_b64 v[90:91], v[71:72], off
	;; [unrolled: 1-line block ×4, first 2 shown]
	s_waitcnt vmcnt(9)
	scratch_store_b128 off, v[98:101], off offset:208
	s_clause 0x2
	global_load_b64 v[96:97], v[77:78], off
	global_load_b64 v[98:99], v[79:80], off
	;; [unrolled: 1-line block ×3, first 2 shown]
	s_waitcnt vmcnt(10)
	scratch_store_b128 off, v[102:105], off offset:224
	s_clause 0x1
	global_load_b64 v[104:105], v[85:86], off
	global_load_b64 v[102:103], v[83:84], off
	s_waitcnt vmcnt(10)
	scratch_store_b128 off, v[106:109], off offset:240
	s_waitcnt vmcnt(8)
	scratch_store_b128 off, v[110:113], off offset:256
	;; [unrolled: 2-line block ×5, first 2 shown]
	s_waitcnt vmcnt(0)
	s_clause 0x1
	scratch_store_b128 off, v[102:105], off offset:320
	scratch_store_b64 off, v[130:131], off offset:336
	s_cbranch_scc1 .LBB106_3
; %bb.2:
	scratch_load_b64 v[87:88], v89, off
	s_waitcnt vmcnt(0)
	v_div_scale_f64 v[90:91], null, v[87:88], v[87:88], 1.0
	v_div_scale_f64 v[96:97], vcc_lo, 1.0, v[87:88], 1.0
	s_delay_alu instid0(VALU_DEP_2) | instskip(SKIP_2) | instid1(VALU_DEP_1)
	v_rcp_f64_e32 v[92:93], v[90:91]
	s_waitcnt_depctr 0xfff
	v_fma_f64 v[94:95], -v[90:91], v[92:93], 1.0
	v_fma_f64 v[92:93], v[92:93], v[94:95], v[92:93]
	s_delay_alu instid0(VALU_DEP_1) | instskip(NEXT) | instid1(VALU_DEP_1)
	v_fma_f64 v[94:95], -v[90:91], v[92:93], 1.0
	v_fma_f64 v[92:93], v[92:93], v[94:95], v[92:93]
	s_delay_alu instid0(VALU_DEP_1) | instskip(NEXT) | instid1(VALU_DEP_1)
	v_mul_f64 v[94:95], v[96:97], v[92:93]
	v_fma_f64 v[90:91], -v[90:91], v[94:95], v[96:97]
	s_delay_alu instid0(VALU_DEP_1) | instskip(NEXT) | instid1(VALU_DEP_1)
	v_div_fmas_f64 v[90:91], v[90:91], v[92:93], v[94:95]
	v_div_fixup_f64 v[87:88], v[90:91], v[87:88], 1.0
	scratch_store_b64 v89, v[87:88], off
	v_xor_b32_e32 v88, 0x80000000, v88
.LBB106_3:
	v_add_nc_u32_e32 v90, 0x160, v89
	v_add_nc_u32_e32 v91, 0, v89
	s_cmpk_eq_i32 s0, 0x79
	s_mov_b32 s0, -1
	ds_store_b64 v89, v[87:88]
	s_cbranch_scc1 .LBB106_419
; %bb.4:
	scratch_load_b64 v[87:88], off, off offset:328
	v_cmp_eq_u32_e64 s0, 42, v0
	s_movk_i32 s1, 0x50
	s_movk_i32 s2, 0x60
	;; [unrolled: 1-line block ×16, first 2 shown]
	s_waitcnt vmcnt(0)
	ds_store_b64 v90, v[87:88]
	s_waitcnt lgkmcnt(0)
	s_waitcnt_vscnt null, 0x0
	s_barrier
	buffer_gl0_inv
	s_and_saveexec_b32 s18, s0
	s_cbranch_execz .LBB106_10
; %bb.5:
	s_and_b32 vcc_lo, exec_lo, s3
	s_cbranch_vccz .LBB106_7
; %bb.6:
	scratch_load_b64 v[87:88], v91, off
	ds_load_b64 v[92:93], v90
	s_waitcnt vmcnt(0) lgkmcnt(0)
	v_mul_f64 v[87:88], v[87:88], v[92:93]
	s_cbranch_execz .LBB106_8
	s_branch .LBB106_9
.LBB106_7:
                                        ; implicit-def: $vgpr87_vgpr88
.LBB106_8:
	ds_load_b64 v[87:88], v90
.LBB106_9:
	v_mov_b32_e32 v92, 0
	ds_load_b64 v[92:93], v92 offset:328
	s_waitcnt lgkmcnt(0)
	v_mul_f64 v[87:88], v[87:88], v[92:93]
	scratch_store_b64 off, v[87:88], off offset:328
.LBB106_10:
	s_or_b32 exec_lo, exec_lo, s18
	scratch_load_b64 v[87:88], off, off offset:320
	v_add_nc_u32_e64 v92, 0, 16
	v_add_nc_u32_e64 v93, 0, 32
	;; [unrolled: 1-line block ×20, first 2 shown]
	v_cmp_lt_u32_e64 s2, 40, v0
	s_waitcnt vmcnt(0)
	ds_store_b64 v90, v[87:88]
	s_waitcnt lgkmcnt(0)
	s_waitcnt_vscnt null, 0x0
	s_barrier
	buffer_gl0_inv
	s_and_saveexec_b32 s1, s2
	s_cbranch_execz .LBB106_18
; %bb.11:
	s_and_not1_b32 vcc_lo, exec_lo, s3
	s_cbranch_vccnz .LBB106_13
; %bb.12:
	scratch_load_b64 v[87:88], v91, off
	ds_load_b64 v[112:113], v90
	s_waitcnt vmcnt(0) lgkmcnt(0)
	v_mul_f64 v[87:88], v[87:88], v[112:113]
	s_cbranch_execz .LBB106_14
	s_branch .LBB106_15
.LBB106_13:
                                        ; implicit-def: $vgpr87_vgpr88
.LBB106_14:
	ds_load_b64 v[87:88], v90
.LBB106_15:
	s_and_saveexec_b32 s4, s0
	s_cbranch_execz .LBB106_17
; %bb.16:
	scratch_load_b64 v[112:113], off, off offset:328
	v_mov_b32_e32 v114, 0
	ds_load_b64 v[114:115], v114 offset:680
	s_waitcnt vmcnt(0) lgkmcnt(0)
	v_fma_f64 v[87:88], v[112:113], v[114:115], v[87:88]
.LBB106_17:
	s_or_b32 exec_lo, exec_lo, s4
	v_mov_b32_e32 v112, 0
	ds_load_b64 v[112:113], v112 offset:320
	s_waitcnt lgkmcnt(0)
	v_mul_f64 v[87:88], v[87:88], v[112:113]
	scratch_store_b64 off, v[87:88], off offset:320
.LBB106_18:
	s_or_b32 exec_lo, exec_lo, s1
	scratch_load_b64 v[87:88], off, off offset:312
	v_cmp_lt_u32_e64 s1, 39, v0
	s_waitcnt vmcnt(0)
	ds_store_b64 v90, v[87:88]
	s_waitcnt lgkmcnt(0)
	s_waitcnt_vscnt null, 0x0
	s_barrier
	buffer_gl0_inv
	s_and_saveexec_b32 s0, s1
	s_cbranch_execz .LBB106_28
; %bb.19:
	s_and_not1_b32 vcc_lo, exec_lo, s3
	s_cbranch_vccnz .LBB106_21
; %bb.20:
	scratch_load_b64 v[87:88], v91, off
	ds_load_b64 v[112:113], v90
	s_waitcnt vmcnt(0) lgkmcnt(0)
	v_mul_f64 v[87:88], v[87:88], v[112:113]
	s_cbranch_execz .LBB106_22
	s_branch .LBB106_23
.LBB106_21:
                                        ; implicit-def: $vgpr87_vgpr88
.LBB106_22:
	ds_load_b64 v[87:88], v90
.LBB106_23:
	s_and_saveexec_b32 s4, s2
	s_cbranch_execz .LBB106_27
; %bb.24:
	v_subrev_nc_u32_e32 v112, 40, v0
	s_movk_i32 s5, 0x2a0
	s_mov_b32 s2, 0
.LBB106_25:                             ; =>This Inner Loop Header: Depth=1
	scratch_load_b64 v[113:114], v111, off
	v_dual_mov_b32 v115, s5 :: v_dual_add_nc_u32 v112, -1, v112
	v_add_nc_u32_e32 v111, 8, v111
	s_add_i32 s5, s5, 8
	ds_load_b64 v[115:116], v115
	v_cmp_eq_u32_e32 vcc_lo, 0, v112
	s_or_b32 s2, vcc_lo, s2
	s_waitcnt vmcnt(0) lgkmcnt(0)
	v_fma_f64 v[87:88], v[113:114], v[115:116], v[87:88]
	s_and_not1_b32 exec_lo, exec_lo, s2
	s_cbranch_execnz .LBB106_25
; %bb.26:
	s_or_b32 exec_lo, exec_lo, s2
.LBB106_27:
	s_delay_alu instid0(SALU_CYCLE_1)
	s_or_b32 exec_lo, exec_lo, s4
	v_mov_b32_e32 v111, 0
	ds_load_b64 v[111:112], v111 offset:312
	s_waitcnt lgkmcnt(0)
	v_mul_f64 v[87:88], v[87:88], v[111:112]
	scratch_store_b64 off, v[87:88], off offset:312
.LBB106_28:
	s_or_b32 exec_lo, exec_lo, s0
	scratch_load_b64 v[87:88], off, off offset:304
	v_cmp_lt_u32_e64 s0, 38, v0
	s_waitcnt vmcnt(0)
	ds_store_b64 v90, v[87:88]
	s_waitcnt lgkmcnt(0)
	s_waitcnt_vscnt null, 0x0
	s_barrier
	buffer_gl0_inv
	s_and_saveexec_b32 s2, s0
	s_cbranch_execz .LBB106_38
; %bb.29:
	s_and_not1_b32 vcc_lo, exec_lo, s3
	s_cbranch_vccnz .LBB106_31
; %bb.30:
	scratch_load_b64 v[87:88], v91, off
	ds_load_b64 v[111:112], v90
	s_waitcnt vmcnt(0) lgkmcnt(0)
	v_mul_f64 v[87:88], v[87:88], v[111:112]
	s_cbranch_execz .LBB106_32
	s_branch .LBB106_33
.LBB106_31:
                                        ; implicit-def: $vgpr87_vgpr88
.LBB106_32:
	ds_load_b64 v[87:88], v90
.LBB106_33:
	s_and_saveexec_b32 s4, s1
	s_cbranch_execz .LBB106_37
; %bb.34:
	v_mov_b32_e32 v111, 0
	v_subrev_nc_u32_e32 v112, 39, v0
	s_movk_i32 s5, 0x298
	s_mov_b32 s1, 0
	s_delay_alu instid0(VALU_DEP_2)
	v_add_nc_u32_e32 v111, 0x138, v111
.LBB106_35:                             ; =>This Inner Loop Header: Depth=1
	scratch_load_b64 v[113:114], v111, off
	v_dual_mov_b32 v115, s5 :: v_dual_add_nc_u32 v112, -1, v112
	v_add_nc_u32_e32 v111, 8, v111
	s_add_i32 s5, s5, 8
	ds_load_b64 v[115:116], v115
	v_cmp_eq_u32_e32 vcc_lo, 0, v112
	s_or_b32 s1, vcc_lo, s1
	s_waitcnt vmcnt(0) lgkmcnt(0)
	v_fma_f64 v[87:88], v[113:114], v[115:116], v[87:88]
	s_and_not1_b32 exec_lo, exec_lo, s1
	s_cbranch_execnz .LBB106_35
; %bb.36:
	s_or_b32 exec_lo, exec_lo, s1
.LBB106_37:
	s_delay_alu instid0(SALU_CYCLE_1)
	s_or_b32 exec_lo, exec_lo, s4
	v_mov_b32_e32 v111, 0
	ds_load_b64 v[111:112], v111 offset:304
	s_waitcnt lgkmcnt(0)
	v_mul_f64 v[87:88], v[87:88], v[111:112]
	scratch_store_b64 off, v[87:88], off offset:304
.LBB106_38:
	s_or_b32 exec_lo, exec_lo, s2
	scratch_load_b64 v[87:88], off, off offset:296
	v_cmp_lt_u32_e64 s1, 37, v0
	s_waitcnt vmcnt(0)
	ds_store_b64 v90, v[87:88]
	s_waitcnt lgkmcnt(0)
	s_waitcnt_vscnt null, 0x0
	s_barrier
	buffer_gl0_inv
	s_and_saveexec_b32 s2, s1
	s_cbranch_execz .LBB106_48
; %bb.39:
	s_and_not1_b32 vcc_lo, exec_lo, s3
	s_cbranch_vccnz .LBB106_41
; %bb.40:
	scratch_load_b64 v[87:88], v91, off
	ds_load_b64 v[111:112], v90
	s_waitcnt vmcnt(0) lgkmcnt(0)
	v_mul_f64 v[87:88], v[87:88], v[111:112]
	s_cbranch_execz .LBB106_42
	s_branch .LBB106_43
.LBB106_41:
                                        ; implicit-def: $vgpr87_vgpr88
.LBB106_42:
	ds_load_b64 v[87:88], v90
.LBB106_43:
	s_and_saveexec_b32 s4, s0
	s_cbranch_execz .LBB106_47
; %bb.44:
	v_subrev_nc_u32_e32 v111, 38, v0
	s_movk_i32 s5, 0x290
	s_mov_b32 s0, 0
.LBB106_45:                             ; =>This Inner Loop Header: Depth=1
	scratch_load_b64 v[112:113], v110, off
	v_dual_mov_b32 v114, s5 :: v_dual_add_nc_u32 v111, -1, v111
	v_add_nc_u32_e32 v110, 8, v110
	s_add_i32 s5, s5, 8
	ds_load_b64 v[114:115], v114
	v_cmp_eq_u32_e32 vcc_lo, 0, v111
	s_or_b32 s0, vcc_lo, s0
	s_waitcnt vmcnt(0) lgkmcnt(0)
	v_fma_f64 v[87:88], v[112:113], v[114:115], v[87:88]
	s_and_not1_b32 exec_lo, exec_lo, s0
	s_cbranch_execnz .LBB106_45
; %bb.46:
	s_or_b32 exec_lo, exec_lo, s0
.LBB106_47:
	s_delay_alu instid0(SALU_CYCLE_1)
	s_or_b32 exec_lo, exec_lo, s4
	v_mov_b32_e32 v110, 0
	ds_load_b64 v[110:111], v110 offset:296
	s_waitcnt lgkmcnt(0)
	v_mul_f64 v[87:88], v[87:88], v[110:111]
	scratch_store_b64 off, v[87:88], off offset:296
.LBB106_48:
	s_or_b32 exec_lo, exec_lo, s2
	scratch_load_b64 v[87:88], off, off offset:288
	v_cmp_lt_u32_e64 s0, 36, v0
	s_waitcnt vmcnt(0)
	ds_store_b64 v90, v[87:88]
	s_waitcnt lgkmcnt(0)
	s_waitcnt_vscnt null, 0x0
	s_barrier
	buffer_gl0_inv
	s_and_saveexec_b32 s2, s0
	s_cbranch_execz .LBB106_58
; %bb.49:
	s_and_not1_b32 vcc_lo, exec_lo, s3
	s_cbranch_vccnz .LBB106_51
; %bb.50:
	scratch_load_b64 v[87:88], v91, off
	ds_load_b64 v[110:111], v90
	s_waitcnt vmcnt(0) lgkmcnt(0)
	v_mul_f64 v[87:88], v[87:88], v[110:111]
	s_cbranch_execz .LBB106_52
	s_branch .LBB106_53
.LBB106_51:
                                        ; implicit-def: $vgpr87_vgpr88
.LBB106_52:
	ds_load_b64 v[87:88], v90
.LBB106_53:
	s_and_saveexec_b32 s4, s1
	s_cbranch_execz .LBB106_57
; %bb.54:
	v_mov_b32_e32 v110, 0
	v_subrev_nc_u32_e32 v111, 37, v0
	s_movk_i32 s5, 0x288
	s_mov_b32 s1, 0
	s_delay_alu instid0(VALU_DEP_2)
	v_add_nc_u32_e32 v110, 0x128, v110
.LBB106_55:                             ; =>This Inner Loop Header: Depth=1
	scratch_load_b64 v[112:113], v110, off
	v_dual_mov_b32 v114, s5 :: v_dual_add_nc_u32 v111, -1, v111
	v_add_nc_u32_e32 v110, 8, v110
	s_add_i32 s5, s5, 8
	ds_load_b64 v[114:115], v114
	v_cmp_eq_u32_e32 vcc_lo, 0, v111
	s_or_b32 s1, vcc_lo, s1
	s_waitcnt vmcnt(0) lgkmcnt(0)
	v_fma_f64 v[87:88], v[112:113], v[114:115], v[87:88]
	s_and_not1_b32 exec_lo, exec_lo, s1
	s_cbranch_execnz .LBB106_55
; %bb.56:
	s_or_b32 exec_lo, exec_lo, s1
.LBB106_57:
	s_delay_alu instid0(SALU_CYCLE_1)
	s_or_b32 exec_lo, exec_lo, s4
	v_mov_b32_e32 v110, 0
	ds_load_b64 v[110:111], v110 offset:288
	s_waitcnt lgkmcnt(0)
	v_mul_f64 v[87:88], v[87:88], v[110:111]
	scratch_store_b64 off, v[87:88], off offset:288
.LBB106_58:
	s_or_b32 exec_lo, exec_lo, s2
	scratch_load_b64 v[87:88], off, off offset:280
	v_cmp_lt_u32_e64 s1, 35, v0
	s_waitcnt vmcnt(0)
	ds_store_b64 v90, v[87:88]
	s_waitcnt lgkmcnt(0)
	s_waitcnt_vscnt null, 0x0
	s_barrier
	buffer_gl0_inv
	s_and_saveexec_b32 s2, s1
	s_cbranch_execz .LBB106_68
; %bb.59:
	s_and_not1_b32 vcc_lo, exec_lo, s3
	s_cbranch_vccnz .LBB106_61
; %bb.60:
	scratch_load_b64 v[87:88], v91, off
	ds_load_b64 v[110:111], v90
	s_waitcnt vmcnt(0) lgkmcnt(0)
	v_mul_f64 v[87:88], v[87:88], v[110:111]
	s_cbranch_execz .LBB106_62
	s_branch .LBB106_63
.LBB106_61:
                                        ; implicit-def: $vgpr87_vgpr88
.LBB106_62:
	ds_load_b64 v[87:88], v90
.LBB106_63:
	s_and_saveexec_b32 s4, s0
	s_cbranch_execz .LBB106_67
; %bb.64:
	v_subrev_nc_u32_e32 v110, 36, v0
	s_movk_i32 s5, 0x280
	s_mov_b32 s0, 0
.LBB106_65:                             ; =>This Inner Loop Header: Depth=1
	scratch_load_b64 v[111:112], v109, off
	v_dual_mov_b32 v113, s5 :: v_dual_add_nc_u32 v110, -1, v110
	v_add_nc_u32_e32 v109, 8, v109
	s_add_i32 s5, s5, 8
	ds_load_b64 v[113:114], v113
	v_cmp_eq_u32_e32 vcc_lo, 0, v110
	s_or_b32 s0, vcc_lo, s0
	s_waitcnt vmcnt(0) lgkmcnt(0)
	v_fma_f64 v[87:88], v[111:112], v[113:114], v[87:88]
	s_and_not1_b32 exec_lo, exec_lo, s0
	s_cbranch_execnz .LBB106_65
; %bb.66:
	s_or_b32 exec_lo, exec_lo, s0
.LBB106_67:
	s_delay_alu instid0(SALU_CYCLE_1)
	s_or_b32 exec_lo, exec_lo, s4
	v_mov_b32_e32 v109, 0
	ds_load_b64 v[109:110], v109 offset:280
	s_waitcnt lgkmcnt(0)
	v_mul_f64 v[87:88], v[87:88], v[109:110]
	scratch_store_b64 off, v[87:88], off offset:280
.LBB106_68:
	s_or_b32 exec_lo, exec_lo, s2
	scratch_load_b64 v[87:88], off, off offset:272
	v_cmp_lt_u32_e64 s0, 34, v0
	s_waitcnt vmcnt(0)
	ds_store_b64 v90, v[87:88]
	s_waitcnt lgkmcnt(0)
	s_waitcnt_vscnt null, 0x0
	s_barrier
	buffer_gl0_inv
	s_and_saveexec_b32 s2, s0
	s_cbranch_execz .LBB106_78
; %bb.69:
	s_and_not1_b32 vcc_lo, exec_lo, s3
	s_cbranch_vccnz .LBB106_71
; %bb.70:
	scratch_load_b64 v[87:88], v91, off
	ds_load_b64 v[109:110], v90
	s_waitcnt vmcnt(0) lgkmcnt(0)
	v_mul_f64 v[87:88], v[87:88], v[109:110]
	s_cbranch_execz .LBB106_72
	s_branch .LBB106_73
.LBB106_71:
                                        ; implicit-def: $vgpr87_vgpr88
.LBB106_72:
	ds_load_b64 v[87:88], v90
.LBB106_73:
	s_and_saveexec_b32 s4, s1
	s_cbranch_execz .LBB106_77
; %bb.74:
	v_mov_b32_e32 v109, 0
	v_subrev_nc_u32_e32 v110, 35, v0
	s_movk_i32 s5, 0x278
	s_mov_b32 s1, 0
	s_delay_alu instid0(VALU_DEP_2)
	v_add_nc_u32_e32 v109, 0x118, v109
.LBB106_75:                             ; =>This Inner Loop Header: Depth=1
	scratch_load_b64 v[111:112], v109, off
	v_dual_mov_b32 v113, s5 :: v_dual_add_nc_u32 v110, -1, v110
	v_add_nc_u32_e32 v109, 8, v109
	s_add_i32 s5, s5, 8
	ds_load_b64 v[113:114], v113
	v_cmp_eq_u32_e32 vcc_lo, 0, v110
	s_or_b32 s1, vcc_lo, s1
	s_waitcnt vmcnt(0) lgkmcnt(0)
	v_fma_f64 v[87:88], v[111:112], v[113:114], v[87:88]
	s_and_not1_b32 exec_lo, exec_lo, s1
	s_cbranch_execnz .LBB106_75
; %bb.76:
	s_or_b32 exec_lo, exec_lo, s1
.LBB106_77:
	s_delay_alu instid0(SALU_CYCLE_1)
	s_or_b32 exec_lo, exec_lo, s4
	v_mov_b32_e32 v109, 0
	ds_load_b64 v[109:110], v109 offset:272
	s_waitcnt lgkmcnt(0)
	v_mul_f64 v[87:88], v[87:88], v[109:110]
	scratch_store_b64 off, v[87:88], off offset:272
.LBB106_78:
	s_or_b32 exec_lo, exec_lo, s2
	scratch_load_b64 v[87:88], off, off offset:264
	v_cmp_lt_u32_e64 s1, 33, v0
	s_waitcnt vmcnt(0)
	ds_store_b64 v90, v[87:88]
	s_waitcnt lgkmcnt(0)
	s_waitcnt_vscnt null, 0x0
	s_barrier
	buffer_gl0_inv
	s_and_saveexec_b32 s2, s1
	s_cbranch_execz .LBB106_88
; %bb.79:
	s_and_not1_b32 vcc_lo, exec_lo, s3
	s_cbranch_vccnz .LBB106_81
; %bb.80:
	scratch_load_b64 v[87:88], v91, off
	ds_load_b64 v[109:110], v90
	s_waitcnt vmcnt(0) lgkmcnt(0)
	v_mul_f64 v[87:88], v[87:88], v[109:110]
	s_cbranch_execz .LBB106_82
	s_branch .LBB106_83
.LBB106_81:
                                        ; implicit-def: $vgpr87_vgpr88
.LBB106_82:
	ds_load_b64 v[87:88], v90
.LBB106_83:
	s_and_saveexec_b32 s4, s0
	s_cbranch_execz .LBB106_87
; %bb.84:
	v_subrev_nc_u32_e32 v109, 34, v0
	s_movk_i32 s5, 0x270
	s_mov_b32 s0, 0
.LBB106_85:                             ; =>This Inner Loop Header: Depth=1
	scratch_load_b64 v[110:111], v108, off
	v_dual_mov_b32 v112, s5 :: v_dual_add_nc_u32 v109, -1, v109
	v_add_nc_u32_e32 v108, 8, v108
	s_add_i32 s5, s5, 8
	ds_load_b64 v[112:113], v112
	v_cmp_eq_u32_e32 vcc_lo, 0, v109
	s_or_b32 s0, vcc_lo, s0
	s_waitcnt vmcnt(0) lgkmcnt(0)
	v_fma_f64 v[87:88], v[110:111], v[112:113], v[87:88]
	s_and_not1_b32 exec_lo, exec_lo, s0
	s_cbranch_execnz .LBB106_85
; %bb.86:
	s_or_b32 exec_lo, exec_lo, s0
.LBB106_87:
	s_delay_alu instid0(SALU_CYCLE_1)
	s_or_b32 exec_lo, exec_lo, s4
	v_mov_b32_e32 v108, 0
	ds_load_b64 v[108:109], v108 offset:264
	s_waitcnt lgkmcnt(0)
	v_mul_f64 v[87:88], v[87:88], v[108:109]
	scratch_store_b64 off, v[87:88], off offset:264
.LBB106_88:
	s_or_b32 exec_lo, exec_lo, s2
	scratch_load_b64 v[87:88], off, off offset:256
	v_cmp_lt_u32_e64 s0, 32, v0
	s_waitcnt vmcnt(0)
	ds_store_b64 v90, v[87:88]
	s_waitcnt lgkmcnt(0)
	s_waitcnt_vscnt null, 0x0
	s_barrier
	buffer_gl0_inv
	s_and_saveexec_b32 s2, s0
	s_cbranch_execz .LBB106_98
; %bb.89:
	s_and_not1_b32 vcc_lo, exec_lo, s3
	s_cbranch_vccnz .LBB106_91
; %bb.90:
	scratch_load_b64 v[87:88], v91, off
	ds_load_b64 v[108:109], v90
	s_waitcnt vmcnt(0) lgkmcnt(0)
	v_mul_f64 v[87:88], v[87:88], v[108:109]
	s_cbranch_execz .LBB106_92
	s_branch .LBB106_93
.LBB106_91:
                                        ; implicit-def: $vgpr87_vgpr88
.LBB106_92:
	ds_load_b64 v[87:88], v90
.LBB106_93:
	s_and_saveexec_b32 s4, s1
	s_cbranch_execz .LBB106_97
; %bb.94:
	v_mov_b32_e32 v108, 0
	v_subrev_nc_u32_e32 v109, 33, v0
	s_movk_i32 s5, 0x268
	s_mov_b32 s1, 0
	s_delay_alu instid0(VALU_DEP_2)
	v_add_nc_u32_e32 v108, 0x108, v108
.LBB106_95:                             ; =>This Inner Loop Header: Depth=1
	scratch_load_b64 v[110:111], v108, off
	v_dual_mov_b32 v112, s5 :: v_dual_add_nc_u32 v109, -1, v109
	v_add_nc_u32_e32 v108, 8, v108
	s_add_i32 s5, s5, 8
	ds_load_b64 v[112:113], v112
	v_cmp_eq_u32_e32 vcc_lo, 0, v109
	s_or_b32 s1, vcc_lo, s1
	s_waitcnt vmcnt(0) lgkmcnt(0)
	v_fma_f64 v[87:88], v[110:111], v[112:113], v[87:88]
	s_and_not1_b32 exec_lo, exec_lo, s1
	s_cbranch_execnz .LBB106_95
; %bb.96:
	s_or_b32 exec_lo, exec_lo, s1
.LBB106_97:
	s_delay_alu instid0(SALU_CYCLE_1)
	s_or_b32 exec_lo, exec_lo, s4
	v_mov_b32_e32 v108, 0
	ds_load_b64 v[108:109], v108 offset:256
	s_waitcnt lgkmcnt(0)
	v_mul_f64 v[87:88], v[87:88], v[108:109]
	scratch_store_b64 off, v[87:88], off offset:256
.LBB106_98:
	s_or_b32 exec_lo, exec_lo, s2
	scratch_load_b64 v[87:88], off, off offset:248
	v_cmp_lt_u32_e64 s1, 31, v0
	s_waitcnt vmcnt(0)
	ds_store_b64 v90, v[87:88]
	s_waitcnt lgkmcnt(0)
	s_waitcnt_vscnt null, 0x0
	s_barrier
	buffer_gl0_inv
	s_and_saveexec_b32 s2, s1
	s_cbranch_execz .LBB106_108
; %bb.99:
	s_and_not1_b32 vcc_lo, exec_lo, s3
	s_cbranch_vccnz .LBB106_101
; %bb.100:
	scratch_load_b64 v[87:88], v91, off
	ds_load_b64 v[108:109], v90
	s_waitcnt vmcnt(0) lgkmcnt(0)
	v_mul_f64 v[87:88], v[87:88], v[108:109]
	s_cbranch_execz .LBB106_102
	s_branch .LBB106_103
.LBB106_101:
                                        ; implicit-def: $vgpr87_vgpr88
.LBB106_102:
	ds_load_b64 v[87:88], v90
.LBB106_103:
	s_and_saveexec_b32 s4, s0
	s_cbranch_execz .LBB106_107
; %bb.104:
	v_subrev_nc_u32_e32 v108, 32, v0
	s_movk_i32 s5, 0x260
	s_mov_b32 s0, 0
.LBB106_105:                            ; =>This Inner Loop Header: Depth=1
	scratch_load_b64 v[109:110], v107, off
	v_dual_mov_b32 v111, s5 :: v_dual_add_nc_u32 v108, -1, v108
	v_add_nc_u32_e32 v107, 8, v107
	s_add_i32 s5, s5, 8
	ds_load_b64 v[111:112], v111
	v_cmp_eq_u32_e32 vcc_lo, 0, v108
	s_or_b32 s0, vcc_lo, s0
	s_waitcnt vmcnt(0) lgkmcnt(0)
	v_fma_f64 v[87:88], v[109:110], v[111:112], v[87:88]
	s_and_not1_b32 exec_lo, exec_lo, s0
	s_cbranch_execnz .LBB106_105
; %bb.106:
	s_or_b32 exec_lo, exec_lo, s0
.LBB106_107:
	s_delay_alu instid0(SALU_CYCLE_1)
	s_or_b32 exec_lo, exec_lo, s4
	v_mov_b32_e32 v107, 0
	ds_load_b64 v[107:108], v107 offset:248
	s_waitcnt lgkmcnt(0)
	v_mul_f64 v[87:88], v[87:88], v[107:108]
	scratch_store_b64 off, v[87:88], off offset:248
.LBB106_108:
	s_or_b32 exec_lo, exec_lo, s2
	scratch_load_b64 v[87:88], off, off offset:240
	v_cmp_lt_u32_e64 s0, 30, v0
	s_waitcnt vmcnt(0)
	ds_store_b64 v90, v[87:88]
	s_waitcnt lgkmcnt(0)
	s_waitcnt_vscnt null, 0x0
	s_barrier
	buffer_gl0_inv
	s_and_saveexec_b32 s2, s0
	s_cbranch_execz .LBB106_118
; %bb.109:
	s_and_not1_b32 vcc_lo, exec_lo, s3
	s_cbranch_vccnz .LBB106_111
; %bb.110:
	scratch_load_b64 v[87:88], v91, off
	ds_load_b64 v[107:108], v90
	s_waitcnt vmcnt(0) lgkmcnt(0)
	v_mul_f64 v[87:88], v[87:88], v[107:108]
	s_cbranch_execz .LBB106_112
	s_branch .LBB106_113
.LBB106_111:
                                        ; implicit-def: $vgpr87_vgpr88
.LBB106_112:
	ds_load_b64 v[87:88], v90
.LBB106_113:
	s_and_saveexec_b32 s4, s1
	s_cbranch_execz .LBB106_117
; %bb.114:
	v_mov_b32_e32 v107, 0
	v_subrev_nc_u32_e32 v108, 31, v0
	s_movk_i32 s5, 0x258
	s_mov_b32 s1, 0
	s_delay_alu instid0(VALU_DEP_2)
	v_add_nc_u32_e32 v107, 0xf8, v107
.LBB106_115:                            ; =>This Inner Loop Header: Depth=1
	scratch_load_b64 v[109:110], v107, off
	v_dual_mov_b32 v111, s5 :: v_dual_add_nc_u32 v108, -1, v108
	v_add_nc_u32_e32 v107, 8, v107
	s_add_i32 s5, s5, 8
	ds_load_b64 v[111:112], v111
	v_cmp_eq_u32_e32 vcc_lo, 0, v108
	s_or_b32 s1, vcc_lo, s1
	s_waitcnt vmcnt(0) lgkmcnt(0)
	v_fma_f64 v[87:88], v[109:110], v[111:112], v[87:88]
	s_and_not1_b32 exec_lo, exec_lo, s1
	s_cbranch_execnz .LBB106_115
; %bb.116:
	s_or_b32 exec_lo, exec_lo, s1
.LBB106_117:
	s_delay_alu instid0(SALU_CYCLE_1)
	s_or_b32 exec_lo, exec_lo, s4
	v_mov_b32_e32 v107, 0
	ds_load_b64 v[107:108], v107 offset:240
	s_waitcnt lgkmcnt(0)
	v_mul_f64 v[87:88], v[87:88], v[107:108]
	scratch_store_b64 off, v[87:88], off offset:240
.LBB106_118:
	s_or_b32 exec_lo, exec_lo, s2
	scratch_load_b64 v[87:88], off, off offset:232
	v_cmp_lt_u32_e64 s1, 29, v0
	s_waitcnt vmcnt(0)
	ds_store_b64 v90, v[87:88]
	s_waitcnt lgkmcnt(0)
	s_waitcnt_vscnt null, 0x0
	s_barrier
	buffer_gl0_inv
	s_and_saveexec_b32 s2, s1
	s_cbranch_execz .LBB106_128
; %bb.119:
	s_and_not1_b32 vcc_lo, exec_lo, s3
	s_cbranch_vccnz .LBB106_121
; %bb.120:
	scratch_load_b64 v[87:88], v91, off
	ds_load_b64 v[107:108], v90
	s_waitcnt vmcnt(0) lgkmcnt(0)
	v_mul_f64 v[87:88], v[87:88], v[107:108]
	s_cbranch_execz .LBB106_122
	s_branch .LBB106_123
.LBB106_121:
                                        ; implicit-def: $vgpr87_vgpr88
.LBB106_122:
	ds_load_b64 v[87:88], v90
.LBB106_123:
	s_and_saveexec_b32 s4, s0
	s_cbranch_execz .LBB106_127
; %bb.124:
	v_subrev_nc_u32_e32 v107, 30, v0
	s_movk_i32 s5, 0x250
	s_mov_b32 s0, 0
.LBB106_125:                            ; =>This Inner Loop Header: Depth=1
	scratch_load_b64 v[108:109], v106, off
	v_dual_mov_b32 v110, s5 :: v_dual_add_nc_u32 v107, -1, v107
	v_add_nc_u32_e32 v106, 8, v106
	s_add_i32 s5, s5, 8
	ds_load_b64 v[110:111], v110
	v_cmp_eq_u32_e32 vcc_lo, 0, v107
	s_or_b32 s0, vcc_lo, s0
	s_waitcnt vmcnt(0) lgkmcnt(0)
	v_fma_f64 v[87:88], v[108:109], v[110:111], v[87:88]
	s_and_not1_b32 exec_lo, exec_lo, s0
	s_cbranch_execnz .LBB106_125
; %bb.126:
	s_or_b32 exec_lo, exec_lo, s0
.LBB106_127:
	s_delay_alu instid0(SALU_CYCLE_1)
	s_or_b32 exec_lo, exec_lo, s4
	v_mov_b32_e32 v106, 0
	ds_load_b64 v[106:107], v106 offset:232
	s_waitcnt lgkmcnt(0)
	v_mul_f64 v[87:88], v[87:88], v[106:107]
	scratch_store_b64 off, v[87:88], off offset:232
.LBB106_128:
	s_or_b32 exec_lo, exec_lo, s2
	scratch_load_b64 v[87:88], off, off offset:224
	v_cmp_lt_u32_e64 s0, 28, v0
	s_waitcnt vmcnt(0)
	ds_store_b64 v90, v[87:88]
	s_waitcnt lgkmcnt(0)
	s_waitcnt_vscnt null, 0x0
	s_barrier
	buffer_gl0_inv
	s_and_saveexec_b32 s2, s0
	s_cbranch_execz .LBB106_138
; %bb.129:
	s_and_not1_b32 vcc_lo, exec_lo, s3
	s_cbranch_vccnz .LBB106_131
; %bb.130:
	scratch_load_b64 v[87:88], v91, off
	ds_load_b64 v[106:107], v90
	s_waitcnt vmcnt(0) lgkmcnt(0)
	v_mul_f64 v[87:88], v[87:88], v[106:107]
	s_cbranch_execz .LBB106_132
	s_branch .LBB106_133
.LBB106_131:
                                        ; implicit-def: $vgpr87_vgpr88
.LBB106_132:
	ds_load_b64 v[87:88], v90
.LBB106_133:
	s_and_saveexec_b32 s4, s1
	s_cbranch_execz .LBB106_137
; %bb.134:
	v_mov_b32_e32 v106, 0
	v_subrev_nc_u32_e32 v107, 29, v0
	s_movk_i32 s5, 0x248
	s_mov_b32 s1, 0
	s_delay_alu instid0(VALU_DEP_2)
	v_add_nc_u32_e32 v106, 0xe8, v106
.LBB106_135:                            ; =>This Inner Loop Header: Depth=1
	scratch_load_b64 v[108:109], v106, off
	v_dual_mov_b32 v110, s5 :: v_dual_add_nc_u32 v107, -1, v107
	v_add_nc_u32_e32 v106, 8, v106
	s_add_i32 s5, s5, 8
	ds_load_b64 v[110:111], v110
	v_cmp_eq_u32_e32 vcc_lo, 0, v107
	s_or_b32 s1, vcc_lo, s1
	s_waitcnt vmcnt(0) lgkmcnt(0)
	v_fma_f64 v[87:88], v[108:109], v[110:111], v[87:88]
	s_and_not1_b32 exec_lo, exec_lo, s1
	s_cbranch_execnz .LBB106_135
; %bb.136:
	s_or_b32 exec_lo, exec_lo, s1
.LBB106_137:
	s_delay_alu instid0(SALU_CYCLE_1)
	s_or_b32 exec_lo, exec_lo, s4
	v_mov_b32_e32 v106, 0
	ds_load_b64 v[106:107], v106 offset:224
	s_waitcnt lgkmcnt(0)
	v_mul_f64 v[87:88], v[87:88], v[106:107]
	scratch_store_b64 off, v[87:88], off offset:224
.LBB106_138:
	s_or_b32 exec_lo, exec_lo, s2
	scratch_load_b64 v[87:88], off, off offset:216
	v_cmp_lt_u32_e64 s1, 27, v0
	s_waitcnt vmcnt(0)
	ds_store_b64 v90, v[87:88]
	s_waitcnt lgkmcnt(0)
	s_waitcnt_vscnt null, 0x0
	s_barrier
	buffer_gl0_inv
	s_and_saveexec_b32 s2, s1
	s_cbranch_execz .LBB106_148
; %bb.139:
	s_and_not1_b32 vcc_lo, exec_lo, s3
	s_cbranch_vccnz .LBB106_141
; %bb.140:
	scratch_load_b64 v[87:88], v91, off
	ds_load_b64 v[106:107], v90
	s_waitcnt vmcnt(0) lgkmcnt(0)
	v_mul_f64 v[87:88], v[87:88], v[106:107]
	s_cbranch_execz .LBB106_142
	s_branch .LBB106_143
.LBB106_141:
                                        ; implicit-def: $vgpr87_vgpr88
.LBB106_142:
	ds_load_b64 v[87:88], v90
.LBB106_143:
	s_and_saveexec_b32 s4, s0
	s_cbranch_execz .LBB106_147
; %bb.144:
	v_subrev_nc_u32_e32 v106, 28, v0
	s_movk_i32 s5, 0x240
	s_mov_b32 s0, 0
.LBB106_145:                            ; =>This Inner Loop Header: Depth=1
	scratch_load_b64 v[107:108], v105, off
	v_dual_mov_b32 v109, s5 :: v_dual_add_nc_u32 v106, -1, v106
	v_add_nc_u32_e32 v105, 8, v105
	s_add_i32 s5, s5, 8
	ds_load_b64 v[109:110], v109
	v_cmp_eq_u32_e32 vcc_lo, 0, v106
	s_or_b32 s0, vcc_lo, s0
	s_waitcnt vmcnt(0) lgkmcnt(0)
	v_fma_f64 v[87:88], v[107:108], v[109:110], v[87:88]
	s_and_not1_b32 exec_lo, exec_lo, s0
	s_cbranch_execnz .LBB106_145
; %bb.146:
	s_or_b32 exec_lo, exec_lo, s0
.LBB106_147:
	s_delay_alu instid0(SALU_CYCLE_1)
	s_or_b32 exec_lo, exec_lo, s4
	v_mov_b32_e32 v105, 0
	ds_load_b64 v[105:106], v105 offset:216
	s_waitcnt lgkmcnt(0)
	v_mul_f64 v[87:88], v[87:88], v[105:106]
	scratch_store_b64 off, v[87:88], off offset:216
.LBB106_148:
	s_or_b32 exec_lo, exec_lo, s2
	scratch_load_b64 v[87:88], off, off offset:208
	v_cmp_lt_u32_e64 s0, 26, v0
	s_waitcnt vmcnt(0)
	ds_store_b64 v90, v[87:88]
	s_waitcnt lgkmcnt(0)
	s_waitcnt_vscnt null, 0x0
	s_barrier
	buffer_gl0_inv
	s_and_saveexec_b32 s2, s0
	s_cbranch_execz .LBB106_158
; %bb.149:
	s_and_not1_b32 vcc_lo, exec_lo, s3
	s_cbranch_vccnz .LBB106_151
; %bb.150:
	scratch_load_b64 v[87:88], v91, off
	ds_load_b64 v[105:106], v90
	s_waitcnt vmcnt(0) lgkmcnt(0)
	v_mul_f64 v[87:88], v[87:88], v[105:106]
	s_cbranch_execz .LBB106_152
	s_branch .LBB106_153
.LBB106_151:
                                        ; implicit-def: $vgpr87_vgpr88
.LBB106_152:
	ds_load_b64 v[87:88], v90
.LBB106_153:
	s_and_saveexec_b32 s4, s1
	s_cbranch_execz .LBB106_157
; %bb.154:
	v_mov_b32_e32 v105, 0
	v_subrev_nc_u32_e32 v106, 27, v0
	s_movk_i32 s5, 0x238
	s_mov_b32 s1, 0
	s_delay_alu instid0(VALU_DEP_2)
	v_add_nc_u32_e32 v105, 0xd8, v105
.LBB106_155:                            ; =>This Inner Loop Header: Depth=1
	scratch_load_b64 v[107:108], v105, off
	v_dual_mov_b32 v109, s5 :: v_dual_add_nc_u32 v106, -1, v106
	v_add_nc_u32_e32 v105, 8, v105
	s_add_i32 s5, s5, 8
	ds_load_b64 v[109:110], v109
	v_cmp_eq_u32_e32 vcc_lo, 0, v106
	s_or_b32 s1, vcc_lo, s1
	s_waitcnt vmcnt(0) lgkmcnt(0)
	v_fma_f64 v[87:88], v[107:108], v[109:110], v[87:88]
	s_and_not1_b32 exec_lo, exec_lo, s1
	s_cbranch_execnz .LBB106_155
; %bb.156:
	s_or_b32 exec_lo, exec_lo, s1
.LBB106_157:
	s_delay_alu instid0(SALU_CYCLE_1)
	s_or_b32 exec_lo, exec_lo, s4
	v_mov_b32_e32 v105, 0
	ds_load_b64 v[105:106], v105 offset:208
	s_waitcnt lgkmcnt(0)
	v_mul_f64 v[87:88], v[87:88], v[105:106]
	scratch_store_b64 off, v[87:88], off offset:208
.LBB106_158:
	s_or_b32 exec_lo, exec_lo, s2
	scratch_load_b64 v[87:88], off, off offset:200
	v_cmp_lt_u32_e64 s1, 25, v0
	s_waitcnt vmcnt(0)
	ds_store_b64 v90, v[87:88]
	s_waitcnt lgkmcnt(0)
	s_waitcnt_vscnt null, 0x0
	s_barrier
	buffer_gl0_inv
	s_and_saveexec_b32 s2, s1
	s_cbranch_execz .LBB106_168
; %bb.159:
	s_and_not1_b32 vcc_lo, exec_lo, s3
	s_cbranch_vccnz .LBB106_161
; %bb.160:
	scratch_load_b64 v[87:88], v91, off
	ds_load_b64 v[105:106], v90
	s_waitcnt vmcnt(0) lgkmcnt(0)
	v_mul_f64 v[87:88], v[87:88], v[105:106]
	s_cbranch_execz .LBB106_162
	s_branch .LBB106_163
.LBB106_161:
                                        ; implicit-def: $vgpr87_vgpr88
.LBB106_162:
	ds_load_b64 v[87:88], v90
.LBB106_163:
	s_and_saveexec_b32 s4, s0
	s_cbranch_execz .LBB106_167
; %bb.164:
	v_subrev_nc_u32_e32 v105, 26, v0
	s_movk_i32 s5, 0x230
	s_mov_b32 s0, 0
.LBB106_165:                            ; =>This Inner Loop Header: Depth=1
	scratch_load_b64 v[106:107], v104, off
	v_dual_mov_b32 v108, s5 :: v_dual_add_nc_u32 v105, -1, v105
	v_add_nc_u32_e32 v104, 8, v104
	s_add_i32 s5, s5, 8
	ds_load_b64 v[108:109], v108
	v_cmp_eq_u32_e32 vcc_lo, 0, v105
	s_or_b32 s0, vcc_lo, s0
	s_waitcnt vmcnt(0) lgkmcnt(0)
	v_fma_f64 v[87:88], v[106:107], v[108:109], v[87:88]
	s_and_not1_b32 exec_lo, exec_lo, s0
	s_cbranch_execnz .LBB106_165
; %bb.166:
	s_or_b32 exec_lo, exec_lo, s0
.LBB106_167:
	s_delay_alu instid0(SALU_CYCLE_1)
	s_or_b32 exec_lo, exec_lo, s4
	v_mov_b32_e32 v104, 0
	ds_load_b64 v[104:105], v104 offset:200
	s_waitcnt lgkmcnt(0)
	v_mul_f64 v[87:88], v[87:88], v[104:105]
	scratch_store_b64 off, v[87:88], off offset:200
.LBB106_168:
	s_or_b32 exec_lo, exec_lo, s2
	scratch_load_b64 v[87:88], off, off offset:192
	v_cmp_lt_u32_e64 s0, 24, v0
	s_waitcnt vmcnt(0)
	ds_store_b64 v90, v[87:88]
	s_waitcnt lgkmcnt(0)
	s_waitcnt_vscnt null, 0x0
	s_barrier
	buffer_gl0_inv
	s_and_saveexec_b32 s2, s0
	s_cbranch_execz .LBB106_178
; %bb.169:
	s_and_not1_b32 vcc_lo, exec_lo, s3
	s_cbranch_vccnz .LBB106_171
; %bb.170:
	scratch_load_b64 v[87:88], v91, off
	ds_load_b64 v[104:105], v90
	s_waitcnt vmcnt(0) lgkmcnt(0)
	v_mul_f64 v[87:88], v[87:88], v[104:105]
	s_cbranch_execz .LBB106_172
	s_branch .LBB106_173
.LBB106_171:
                                        ; implicit-def: $vgpr87_vgpr88
.LBB106_172:
	ds_load_b64 v[87:88], v90
.LBB106_173:
	s_and_saveexec_b32 s4, s1
	s_cbranch_execz .LBB106_177
; %bb.174:
	v_mov_b32_e32 v104, 0
	v_subrev_nc_u32_e32 v105, 25, v0
	s_movk_i32 s5, 0x228
	s_mov_b32 s1, 0
	s_delay_alu instid0(VALU_DEP_2)
	v_add_nc_u32_e32 v104, 0xc8, v104
.LBB106_175:                            ; =>This Inner Loop Header: Depth=1
	scratch_load_b64 v[106:107], v104, off
	v_dual_mov_b32 v108, s5 :: v_dual_add_nc_u32 v105, -1, v105
	v_add_nc_u32_e32 v104, 8, v104
	s_add_i32 s5, s5, 8
	ds_load_b64 v[108:109], v108
	v_cmp_eq_u32_e32 vcc_lo, 0, v105
	s_or_b32 s1, vcc_lo, s1
	s_waitcnt vmcnt(0) lgkmcnt(0)
	v_fma_f64 v[87:88], v[106:107], v[108:109], v[87:88]
	s_and_not1_b32 exec_lo, exec_lo, s1
	s_cbranch_execnz .LBB106_175
; %bb.176:
	s_or_b32 exec_lo, exec_lo, s1
.LBB106_177:
	s_delay_alu instid0(SALU_CYCLE_1)
	s_or_b32 exec_lo, exec_lo, s4
	v_mov_b32_e32 v104, 0
	ds_load_b64 v[104:105], v104 offset:192
	s_waitcnt lgkmcnt(0)
	v_mul_f64 v[87:88], v[87:88], v[104:105]
	scratch_store_b64 off, v[87:88], off offset:192
.LBB106_178:
	s_or_b32 exec_lo, exec_lo, s2
	scratch_load_b64 v[87:88], off, off offset:184
	v_cmp_lt_u32_e64 s1, 23, v0
	s_waitcnt vmcnt(0)
	ds_store_b64 v90, v[87:88]
	s_waitcnt lgkmcnt(0)
	s_waitcnt_vscnt null, 0x0
	s_barrier
	buffer_gl0_inv
	s_and_saveexec_b32 s2, s1
	s_cbranch_execz .LBB106_188
; %bb.179:
	s_and_not1_b32 vcc_lo, exec_lo, s3
	s_cbranch_vccnz .LBB106_181
; %bb.180:
	scratch_load_b64 v[87:88], v91, off
	ds_load_b64 v[104:105], v90
	s_waitcnt vmcnt(0) lgkmcnt(0)
	v_mul_f64 v[87:88], v[87:88], v[104:105]
	s_cbranch_execz .LBB106_182
	s_branch .LBB106_183
.LBB106_181:
                                        ; implicit-def: $vgpr87_vgpr88
.LBB106_182:
	ds_load_b64 v[87:88], v90
.LBB106_183:
	s_and_saveexec_b32 s4, s0
	s_cbranch_execz .LBB106_187
; %bb.184:
	v_subrev_nc_u32_e32 v104, 24, v0
	s_movk_i32 s5, 0x220
	s_mov_b32 s0, 0
.LBB106_185:                            ; =>This Inner Loop Header: Depth=1
	scratch_load_b64 v[105:106], v103, off
	v_dual_mov_b32 v107, s5 :: v_dual_add_nc_u32 v104, -1, v104
	v_add_nc_u32_e32 v103, 8, v103
	s_add_i32 s5, s5, 8
	ds_load_b64 v[107:108], v107
	v_cmp_eq_u32_e32 vcc_lo, 0, v104
	s_or_b32 s0, vcc_lo, s0
	s_waitcnt vmcnt(0) lgkmcnt(0)
	v_fma_f64 v[87:88], v[105:106], v[107:108], v[87:88]
	s_and_not1_b32 exec_lo, exec_lo, s0
	s_cbranch_execnz .LBB106_185
; %bb.186:
	s_or_b32 exec_lo, exec_lo, s0
.LBB106_187:
	s_delay_alu instid0(SALU_CYCLE_1)
	s_or_b32 exec_lo, exec_lo, s4
	v_mov_b32_e32 v103, 0
	ds_load_b64 v[103:104], v103 offset:184
	s_waitcnt lgkmcnt(0)
	v_mul_f64 v[87:88], v[87:88], v[103:104]
	scratch_store_b64 off, v[87:88], off offset:184
.LBB106_188:
	s_or_b32 exec_lo, exec_lo, s2
	scratch_load_b64 v[87:88], off, off offset:176
	v_cmp_lt_u32_e64 s0, 22, v0
	s_waitcnt vmcnt(0)
	ds_store_b64 v90, v[87:88]
	s_waitcnt lgkmcnt(0)
	s_waitcnt_vscnt null, 0x0
	s_barrier
	buffer_gl0_inv
	s_and_saveexec_b32 s2, s0
	s_cbranch_execz .LBB106_198
; %bb.189:
	s_and_not1_b32 vcc_lo, exec_lo, s3
	s_cbranch_vccnz .LBB106_191
; %bb.190:
	scratch_load_b64 v[87:88], v91, off
	ds_load_b64 v[103:104], v90
	s_waitcnt vmcnt(0) lgkmcnt(0)
	v_mul_f64 v[87:88], v[87:88], v[103:104]
	s_cbranch_execz .LBB106_192
	s_branch .LBB106_193
.LBB106_191:
                                        ; implicit-def: $vgpr87_vgpr88
.LBB106_192:
	ds_load_b64 v[87:88], v90
.LBB106_193:
	s_and_saveexec_b32 s4, s1
	s_cbranch_execz .LBB106_197
; %bb.194:
	v_mov_b32_e32 v103, 0
	v_subrev_nc_u32_e32 v104, 23, v0
	s_movk_i32 s5, 0x218
	s_mov_b32 s1, 0
	s_delay_alu instid0(VALU_DEP_2)
	v_add_nc_u32_e32 v103, 0xb8, v103
.LBB106_195:                            ; =>This Inner Loop Header: Depth=1
	scratch_load_b64 v[105:106], v103, off
	v_dual_mov_b32 v107, s5 :: v_dual_add_nc_u32 v104, -1, v104
	v_add_nc_u32_e32 v103, 8, v103
	s_add_i32 s5, s5, 8
	ds_load_b64 v[107:108], v107
	v_cmp_eq_u32_e32 vcc_lo, 0, v104
	s_or_b32 s1, vcc_lo, s1
	s_waitcnt vmcnt(0) lgkmcnt(0)
	v_fma_f64 v[87:88], v[105:106], v[107:108], v[87:88]
	s_and_not1_b32 exec_lo, exec_lo, s1
	s_cbranch_execnz .LBB106_195
; %bb.196:
	s_or_b32 exec_lo, exec_lo, s1
.LBB106_197:
	s_delay_alu instid0(SALU_CYCLE_1)
	s_or_b32 exec_lo, exec_lo, s4
	v_mov_b32_e32 v103, 0
	ds_load_b64 v[103:104], v103 offset:176
	s_waitcnt lgkmcnt(0)
	v_mul_f64 v[87:88], v[87:88], v[103:104]
	scratch_store_b64 off, v[87:88], off offset:176
.LBB106_198:
	s_or_b32 exec_lo, exec_lo, s2
	scratch_load_b64 v[87:88], off, off offset:168
	v_cmp_lt_u32_e64 s1, 21, v0
	s_waitcnt vmcnt(0)
	ds_store_b64 v90, v[87:88]
	s_waitcnt lgkmcnt(0)
	s_waitcnt_vscnt null, 0x0
	s_barrier
	buffer_gl0_inv
	s_and_saveexec_b32 s2, s1
	s_cbranch_execz .LBB106_208
; %bb.199:
	s_and_not1_b32 vcc_lo, exec_lo, s3
	s_cbranch_vccnz .LBB106_201
; %bb.200:
	scratch_load_b64 v[87:88], v91, off
	ds_load_b64 v[103:104], v90
	s_waitcnt vmcnt(0) lgkmcnt(0)
	v_mul_f64 v[87:88], v[87:88], v[103:104]
	s_cbranch_execz .LBB106_202
	s_branch .LBB106_203
.LBB106_201:
                                        ; implicit-def: $vgpr87_vgpr88
.LBB106_202:
	ds_load_b64 v[87:88], v90
.LBB106_203:
	s_and_saveexec_b32 s4, s0
	s_cbranch_execz .LBB106_207
; %bb.204:
	v_subrev_nc_u32_e32 v103, 22, v0
	s_movk_i32 s5, 0x210
	s_mov_b32 s0, 0
.LBB106_205:                            ; =>This Inner Loop Header: Depth=1
	scratch_load_b64 v[104:105], v102, off
	v_dual_mov_b32 v106, s5 :: v_dual_add_nc_u32 v103, -1, v103
	v_add_nc_u32_e32 v102, 8, v102
	s_add_i32 s5, s5, 8
	ds_load_b64 v[106:107], v106
	v_cmp_eq_u32_e32 vcc_lo, 0, v103
	s_or_b32 s0, vcc_lo, s0
	s_waitcnt vmcnt(0) lgkmcnt(0)
	v_fma_f64 v[87:88], v[104:105], v[106:107], v[87:88]
	s_and_not1_b32 exec_lo, exec_lo, s0
	s_cbranch_execnz .LBB106_205
; %bb.206:
	s_or_b32 exec_lo, exec_lo, s0
.LBB106_207:
	s_delay_alu instid0(SALU_CYCLE_1)
	s_or_b32 exec_lo, exec_lo, s4
	v_mov_b32_e32 v102, 0
	ds_load_b64 v[102:103], v102 offset:168
	s_waitcnt lgkmcnt(0)
	v_mul_f64 v[87:88], v[87:88], v[102:103]
	scratch_store_b64 off, v[87:88], off offset:168
.LBB106_208:
	s_or_b32 exec_lo, exec_lo, s2
	scratch_load_b64 v[87:88], off, off offset:160
	v_cmp_lt_u32_e64 s0, 20, v0
	s_waitcnt vmcnt(0)
	ds_store_b64 v90, v[87:88]
	s_waitcnt lgkmcnt(0)
	s_waitcnt_vscnt null, 0x0
	s_barrier
	buffer_gl0_inv
	s_and_saveexec_b32 s2, s0
	s_cbranch_execz .LBB106_218
; %bb.209:
	s_and_not1_b32 vcc_lo, exec_lo, s3
	s_cbranch_vccnz .LBB106_211
; %bb.210:
	scratch_load_b64 v[87:88], v91, off
	ds_load_b64 v[102:103], v90
	s_waitcnt vmcnt(0) lgkmcnt(0)
	v_mul_f64 v[87:88], v[87:88], v[102:103]
	s_cbranch_execz .LBB106_212
	s_branch .LBB106_213
.LBB106_211:
                                        ; implicit-def: $vgpr87_vgpr88
.LBB106_212:
	ds_load_b64 v[87:88], v90
.LBB106_213:
	s_and_saveexec_b32 s4, s1
	s_cbranch_execz .LBB106_217
; %bb.214:
	v_mov_b32_e32 v102, 0
	v_subrev_nc_u32_e32 v103, 21, v0
	s_movk_i32 s5, 0x208
	s_mov_b32 s1, 0
	s_delay_alu instid0(VALU_DEP_2)
	v_add_nc_u32_e32 v102, 0xa8, v102
.LBB106_215:                            ; =>This Inner Loop Header: Depth=1
	scratch_load_b64 v[104:105], v102, off
	v_dual_mov_b32 v106, s5 :: v_dual_add_nc_u32 v103, -1, v103
	v_add_nc_u32_e32 v102, 8, v102
	s_add_i32 s5, s5, 8
	ds_load_b64 v[106:107], v106
	v_cmp_eq_u32_e32 vcc_lo, 0, v103
	s_or_b32 s1, vcc_lo, s1
	s_waitcnt vmcnt(0) lgkmcnt(0)
	v_fma_f64 v[87:88], v[104:105], v[106:107], v[87:88]
	s_and_not1_b32 exec_lo, exec_lo, s1
	s_cbranch_execnz .LBB106_215
; %bb.216:
	s_or_b32 exec_lo, exec_lo, s1
.LBB106_217:
	s_delay_alu instid0(SALU_CYCLE_1)
	s_or_b32 exec_lo, exec_lo, s4
	v_mov_b32_e32 v102, 0
	ds_load_b64 v[102:103], v102 offset:160
	s_waitcnt lgkmcnt(0)
	v_mul_f64 v[87:88], v[87:88], v[102:103]
	scratch_store_b64 off, v[87:88], off offset:160
.LBB106_218:
	s_or_b32 exec_lo, exec_lo, s2
	scratch_load_b64 v[87:88], off, off offset:152
	v_cmp_lt_u32_e64 s1, 19, v0
	s_waitcnt vmcnt(0)
	ds_store_b64 v90, v[87:88]
	s_waitcnt lgkmcnt(0)
	s_waitcnt_vscnt null, 0x0
	s_barrier
	buffer_gl0_inv
	s_and_saveexec_b32 s2, s1
	s_cbranch_execz .LBB106_228
; %bb.219:
	s_and_not1_b32 vcc_lo, exec_lo, s3
	s_cbranch_vccnz .LBB106_221
; %bb.220:
	scratch_load_b64 v[87:88], v91, off
	ds_load_b64 v[102:103], v90
	s_waitcnt vmcnt(0) lgkmcnt(0)
	v_mul_f64 v[87:88], v[87:88], v[102:103]
	s_cbranch_execz .LBB106_222
	s_branch .LBB106_223
.LBB106_221:
                                        ; implicit-def: $vgpr87_vgpr88
.LBB106_222:
	ds_load_b64 v[87:88], v90
.LBB106_223:
	s_and_saveexec_b32 s4, s0
	s_cbranch_execz .LBB106_227
; %bb.224:
	v_subrev_nc_u32_e32 v102, 20, v0
	s_movk_i32 s5, 0x200
	s_mov_b32 s0, 0
.LBB106_225:                            ; =>This Inner Loop Header: Depth=1
	scratch_load_b64 v[103:104], v101, off
	v_dual_mov_b32 v105, s5 :: v_dual_add_nc_u32 v102, -1, v102
	v_add_nc_u32_e32 v101, 8, v101
	s_add_i32 s5, s5, 8
	ds_load_b64 v[105:106], v105
	v_cmp_eq_u32_e32 vcc_lo, 0, v102
	s_or_b32 s0, vcc_lo, s0
	s_waitcnt vmcnt(0) lgkmcnt(0)
	v_fma_f64 v[87:88], v[103:104], v[105:106], v[87:88]
	s_and_not1_b32 exec_lo, exec_lo, s0
	s_cbranch_execnz .LBB106_225
; %bb.226:
	s_or_b32 exec_lo, exec_lo, s0
.LBB106_227:
	s_delay_alu instid0(SALU_CYCLE_1)
	s_or_b32 exec_lo, exec_lo, s4
	v_mov_b32_e32 v101, 0
	ds_load_b64 v[101:102], v101 offset:152
	s_waitcnt lgkmcnt(0)
	v_mul_f64 v[87:88], v[87:88], v[101:102]
	scratch_store_b64 off, v[87:88], off offset:152
.LBB106_228:
	s_or_b32 exec_lo, exec_lo, s2
	scratch_load_b64 v[87:88], off, off offset:144
	v_cmp_lt_u32_e64 s0, 18, v0
	s_waitcnt vmcnt(0)
	ds_store_b64 v90, v[87:88]
	s_waitcnt lgkmcnt(0)
	s_waitcnt_vscnt null, 0x0
	s_barrier
	buffer_gl0_inv
	s_and_saveexec_b32 s2, s0
	s_cbranch_execz .LBB106_238
; %bb.229:
	s_and_not1_b32 vcc_lo, exec_lo, s3
	s_cbranch_vccnz .LBB106_231
; %bb.230:
	scratch_load_b64 v[87:88], v91, off
	ds_load_b64 v[101:102], v90
	s_waitcnt vmcnt(0) lgkmcnt(0)
	v_mul_f64 v[87:88], v[87:88], v[101:102]
	s_cbranch_execz .LBB106_232
	s_branch .LBB106_233
.LBB106_231:
                                        ; implicit-def: $vgpr87_vgpr88
.LBB106_232:
	ds_load_b64 v[87:88], v90
.LBB106_233:
	s_and_saveexec_b32 s4, s1
	s_cbranch_execz .LBB106_237
; %bb.234:
	v_mov_b32_e32 v101, 0
	v_subrev_nc_u32_e32 v102, 19, v0
	s_movk_i32 s5, 0x1f8
	s_mov_b32 s1, 0
	s_delay_alu instid0(VALU_DEP_2)
	v_add_nc_u32_e32 v101, 0x98, v101
.LBB106_235:                            ; =>This Inner Loop Header: Depth=1
	scratch_load_b64 v[103:104], v101, off
	v_dual_mov_b32 v105, s5 :: v_dual_add_nc_u32 v102, -1, v102
	v_add_nc_u32_e32 v101, 8, v101
	s_add_i32 s5, s5, 8
	ds_load_b64 v[105:106], v105
	v_cmp_eq_u32_e32 vcc_lo, 0, v102
	s_or_b32 s1, vcc_lo, s1
	s_waitcnt vmcnt(0) lgkmcnt(0)
	v_fma_f64 v[87:88], v[103:104], v[105:106], v[87:88]
	s_and_not1_b32 exec_lo, exec_lo, s1
	s_cbranch_execnz .LBB106_235
; %bb.236:
	s_or_b32 exec_lo, exec_lo, s1
.LBB106_237:
	s_delay_alu instid0(SALU_CYCLE_1)
	s_or_b32 exec_lo, exec_lo, s4
	v_mov_b32_e32 v101, 0
	ds_load_b64 v[101:102], v101 offset:144
	s_waitcnt lgkmcnt(0)
	v_mul_f64 v[87:88], v[87:88], v[101:102]
	scratch_store_b64 off, v[87:88], off offset:144
.LBB106_238:
	s_or_b32 exec_lo, exec_lo, s2
	scratch_load_b64 v[87:88], off, off offset:136
	v_cmp_lt_u32_e64 s1, 17, v0
	s_waitcnt vmcnt(0)
	ds_store_b64 v90, v[87:88]
	s_waitcnt lgkmcnt(0)
	s_waitcnt_vscnt null, 0x0
	s_barrier
	buffer_gl0_inv
	s_and_saveexec_b32 s2, s1
	s_cbranch_execz .LBB106_248
; %bb.239:
	s_and_not1_b32 vcc_lo, exec_lo, s3
	s_cbranch_vccnz .LBB106_241
; %bb.240:
	scratch_load_b64 v[87:88], v91, off
	ds_load_b64 v[101:102], v90
	s_waitcnt vmcnt(0) lgkmcnt(0)
	v_mul_f64 v[87:88], v[87:88], v[101:102]
	s_cbranch_execz .LBB106_242
	s_branch .LBB106_243
.LBB106_241:
                                        ; implicit-def: $vgpr87_vgpr88
.LBB106_242:
	ds_load_b64 v[87:88], v90
.LBB106_243:
	s_and_saveexec_b32 s4, s0
	s_cbranch_execz .LBB106_247
; %bb.244:
	v_subrev_nc_u32_e32 v101, 18, v0
	s_movk_i32 s5, 0x1f0
	s_mov_b32 s0, 0
.LBB106_245:                            ; =>This Inner Loop Header: Depth=1
	scratch_load_b64 v[102:103], v100, off
	v_dual_mov_b32 v104, s5 :: v_dual_add_nc_u32 v101, -1, v101
	v_add_nc_u32_e32 v100, 8, v100
	s_add_i32 s5, s5, 8
	ds_load_b64 v[104:105], v104
	v_cmp_eq_u32_e32 vcc_lo, 0, v101
	s_or_b32 s0, vcc_lo, s0
	s_waitcnt vmcnt(0) lgkmcnt(0)
	v_fma_f64 v[87:88], v[102:103], v[104:105], v[87:88]
	s_and_not1_b32 exec_lo, exec_lo, s0
	s_cbranch_execnz .LBB106_245
; %bb.246:
	s_or_b32 exec_lo, exec_lo, s0
.LBB106_247:
	s_delay_alu instid0(SALU_CYCLE_1)
	s_or_b32 exec_lo, exec_lo, s4
	v_mov_b32_e32 v100, 0
	ds_load_b64 v[100:101], v100 offset:136
	s_waitcnt lgkmcnt(0)
	v_mul_f64 v[87:88], v[87:88], v[100:101]
	scratch_store_b64 off, v[87:88], off offset:136
.LBB106_248:
	s_or_b32 exec_lo, exec_lo, s2
	scratch_load_b64 v[87:88], off, off offset:128
	v_cmp_lt_u32_e64 s0, 16, v0
	s_waitcnt vmcnt(0)
	ds_store_b64 v90, v[87:88]
	s_waitcnt lgkmcnt(0)
	s_waitcnt_vscnt null, 0x0
	s_barrier
	buffer_gl0_inv
	s_and_saveexec_b32 s2, s0
	s_cbranch_execz .LBB106_258
; %bb.249:
	s_and_not1_b32 vcc_lo, exec_lo, s3
	s_cbranch_vccnz .LBB106_251
; %bb.250:
	scratch_load_b64 v[87:88], v91, off
	ds_load_b64 v[100:101], v90
	s_waitcnt vmcnt(0) lgkmcnt(0)
	v_mul_f64 v[87:88], v[87:88], v[100:101]
	s_cbranch_execz .LBB106_252
	s_branch .LBB106_253
.LBB106_251:
                                        ; implicit-def: $vgpr87_vgpr88
.LBB106_252:
	ds_load_b64 v[87:88], v90
.LBB106_253:
	s_and_saveexec_b32 s4, s1
	s_cbranch_execz .LBB106_257
; %bb.254:
	v_mov_b32_e32 v100, 0
	v_subrev_nc_u32_e32 v101, 17, v0
	s_movk_i32 s5, 0x1e8
	s_mov_b32 s1, 0
	s_delay_alu instid0(VALU_DEP_2)
	v_add_nc_u32_e32 v100, 0x88, v100
.LBB106_255:                            ; =>This Inner Loop Header: Depth=1
	scratch_load_b64 v[102:103], v100, off
	v_dual_mov_b32 v104, s5 :: v_dual_add_nc_u32 v101, -1, v101
	v_add_nc_u32_e32 v100, 8, v100
	s_add_i32 s5, s5, 8
	ds_load_b64 v[104:105], v104
	v_cmp_eq_u32_e32 vcc_lo, 0, v101
	s_or_b32 s1, vcc_lo, s1
	s_waitcnt vmcnt(0) lgkmcnt(0)
	v_fma_f64 v[87:88], v[102:103], v[104:105], v[87:88]
	s_and_not1_b32 exec_lo, exec_lo, s1
	s_cbranch_execnz .LBB106_255
; %bb.256:
	s_or_b32 exec_lo, exec_lo, s1
.LBB106_257:
	s_delay_alu instid0(SALU_CYCLE_1)
	s_or_b32 exec_lo, exec_lo, s4
	v_mov_b32_e32 v100, 0
	ds_load_b64 v[100:101], v100 offset:128
	s_waitcnt lgkmcnt(0)
	v_mul_f64 v[87:88], v[87:88], v[100:101]
	scratch_store_b64 off, v[87:88], off offset:128
.LBB106_258:
	s_or_b32 exec_lo, exec_lo, s2
	scratch_load_b64 v[87:88], off, off offset:120
	v_cmp_lt_u32_e64 s1, 15, v0
	s_waitcnt vmcnt(0)
	ds_store_b64 v90, v[87:88]
	s_waitcnt lgkmcnt(0)
	s_waitcnt_vscnt null, 0x0
	s_barrier
	buffer_gl0_inv
	s_and_saveexec_b32 s2, s1
	s_cbranch_execz .LBB106_268
; %bb.259:
	s_and_not1_b32 vcc_lo, exec_lo, s3
	s_cbranch_vccnz .LBB106_261
; %bb.260:
	scratch_load_b64 v[87:88], v91, off
	ds_load_b64 v[100:101], v90
	s_waitcnt vmcnt(0) lgkmcnt(0)
	v_mul_f64 v[87:88], v[87:88], v[100:101]
	s_cbranch_execz .LBB106_262
	s_branch .LBB106_263
.LBB106_261:
                                        ; implicit-def: $vgpr87_vgpr88
.LBB106_262:
	ds_load_b64 v[87:88], v90
.LBB106_263:
	s_and_saveexec_b32 s4, s0
	s_cbranch_execz .LBB106_267
; %bb.264:
	v_add_nc_u32_e32 v100, -16, v0
	s_movk_i32 s5, 0x1e0
	s_mov_b32 s0, 0
.LBB106_265:                            ; =>This Inner Loop Header: Depth=1
	scratch_load_b64 v[101:102], v99, off
	v_dual_mov_b32 v103, s5 :: v_dual_add_nc_u32 v100, -1, v100
	v_add_nc_u32_e32 v99, 8, v99
	s_add_i32 s5, s5, 8
	ds_load_b64 v[103:104], v103
	v_cmp_eq_u32_e32 vcc_lo, 0, v100
	s_or_b32 s0, vcc_lo, s0
	s_waitcnt vmcnt(0) lgkmcnt(0)
	v_fma_f64 v[87:88], v[101:102], v[103:104], v[87:88]
	s_and_not1_b32 exec_lo, exec_lo, s0
	s_cbranch_execnz .LBB106_265
; %bb.266:
	s_or_b32 exec_lo, exec_lo, s0
.LBB106_267:
	s_delay_alu instid0(SALU_CYCLE_1)
	s_or_b32 exec_lo, exec_lo, s4
	v_mov_b32_e32 v99, 0
	ds_load_b64 v[99:100], v99 offset:120
	s_waitcnt lgkmcnt(0)
	v_mul_f64 v[87:88], v[87:88], v[99:100]
	scratch_store_b64 off, v[87:88], off offset:120
.LBB106_268:
	s_or_b32 exec_lo, exec_lo, s2
	scratch_load_b64 v[87:88], off, off offset:112
	v_cmp_lt_u32_e64 s0, 14, v0
	s_waitcnt vmcnt(0)
	ds_store_b64 v90, v[87:88]
	s_waitcnt lgkmcnt(0)
	s_waitcnt_vscnt null, 0x0
	s_barrier
	buffer_gl0_inv
	s_and_saveexec_b32 s2, s0
	s_cbranch_execz .LBB106_278
; %bb.269:
	s_and_not1_b32 vcc_lo, exec_lo, s3
	s_cbranch_vccnz .LBB106_271
; %bb.270:
	scratch_load_b64 v[87:88], v91, off
	ds_load_b64 v[99:100], v90
	s_waitcnt vmcnt(0) lgkmcnt(0)
	v_mul_f64 v[87:88], v[87:88], v[99:100]
	s_cbranch_execz .LBB106_272
	s_branch .LBB106_273
.LBB106_271:
                                        ; implicit-def: $vgpr87_vgpr88
.LBB106_272:
	ds_load_b64 v[87:88], v90
.LBB106_273:
	s_and_saveexec_b32 s4, s1
	s_cbranch_execz .LBB106_277
; %bb.274:
	v_dual_mov_b32 v99, 0 :: v_dual_add_nc_u32 v100, -15, v0
	s_movk_i32 s5, 0x1d8
	s_mov_b32 s1, 0
	s_delay_alu instid0(VALU_DEP_1)
	v_add_nc_u32_e32 v99, 0x78, v99
.LBB106_275:                            ; =>This Inner Loop Header: Depth=1
	scratch_load_b64 v[101:102], v99, off
	v_dual_mov_b32 v103, s5 :: v_dual_add_nc_u32 v100, -1, v100
	v_add_nc_u32_e32 v99, 8, v99
	s_add_i32 s5, s5, 8
	ds_load_b64 v[103:104], v103
	v_cmp_eq_u32_e32 vcc_lo, 0, v100
	s_or_b32 s1, vcc_lo, s1
	s_waitcnt vmcnt(0) lgkmcnt(0)
	v_fma_f64 v[87:88], v[101:102], v[103:104], v[87:88]
	s_and_not1_b32 exec_lo, exec_lo, s1
	s_cbranch_execnz .LBB106_275
; %bb.276:
	s_or_b32 exec_lo, exec_lo, s1
.LBB106_277:
	s_delay_alu instid0(SALU_CYCLE_1)
	s_or_b32 exec_lo, exec_lo, s4
	v_mov_b32_e32 v99, 0
	ds_load_b64 v[99:100], v99 offset:112
	s_waitcnt lgkmcnt(0)
	v_mul_f64 v[87:88], v[87:88], v[99:100]
	scratch_store_b64 off, v[87:88], off offset:112
.LBB106_278:
	s_or_b32 exec_lo, exec_lo, s2
	scratch_load_b64 v[87:88], off, off offset:104
	v_cmp_lt_u32_e64 s1, 13, v0
	s_waitcnt vmcnt(0)
	ds_store_b64 v90, v[87:88]
	s_waitcnt lgkmcnt(0)
	s_waitcnt_vscnt null, 0x0
	s_barrier
	buffer_gl0_inv
	s_and_saveexec_b32 s2, s1
	s_cbranch_execz .LBB106_288
; %bb.279:
	s_and_not1_b32 vcc_lo, exec_lo, s3
	s_cbranch_vccnz .LBB106_281
; %bb.280:
	scratch_load_b64 v[87:88], v91, off
	ds_load_b64 v[99:100], v90
	s_waitcnt vmcnt(0) lgkmcnt(0)
	v_mul_f64 v[87:88], v[87:88], v[99:100]
	s_cbranch_execz .LBB106_282
	s_branch .LBB106_283
.LBB106_281:
                                        ; implicit-def: $vgpr87_vgpr88
.LBB106_282:
	ds_load_b64 v[87:88], v90
.LBB106_283:
	s_and_saveexec_b32 s4, s0
	s_cbranch_execz .LBB106_287
; %bb.284:
	v_add_nc_u32_e32 v99, -14, v0
	s_movk_i32 s5, 0x1d0
	s_mov_b32 s0, 0
.LBB106_285:                            ; =>This Inner Loop Header: Depth=1
	scratch_load_b64 v[100:101], v98, off
	v_dual_mov_b32 v102, s5 :: v_dual_add_nc_u32 v99, -1, v99
	v_add_nc_u32_e32 v98, 8, v98
	s_add_i32 s5, s5, 8
	ds_load_b64 v[102:103], v102
	v_cmp_eq_u32_e32 vcc_lo, 0, v99
	s_or_b32 s0, vcc_lo, s0
	s_waitcnt vmcnt(0) lgkmcnt(0)
	v_fma_f64 v[87:88], v[100:101], v[102:103], v[87:88]
	s_and_not1_b32 exec_lo, exec_lo, s0
	s_cbranch_execnz .LBB106_285
; %bb.286:
	s_or_b32 exec_lo, exec_lo, s0
.LBB106_287:
	s_delay_alu instid0(SALU_CYCLE_1)
	s_or_b32 exec_lo, exec_lo, s4
	v_mov_b32_e32 v98, 0
	ds_load_b64 v[98:99], v98 offset:104
	s_waitcnt lgkmcnt(0)
	v_mul_f64 v[87:88], v[87:88], v[98:99]
	scratch_store_b64 off, v[87:88], off offset:104
.LBB106_288:
	s_or_b32 exec_lo, exec_lo, s2
	scratch_load_b64 v[87:88], off, off offset:96
	v_cmp_lt_u32_e64 s0, 12, v0
	s_waitcnt vmcnt(0)
	ds_store_b64 v90, v[87:88]
	s_waitcnt lgkmcnt(0)
	s_waitcnt_vscnt null, 0x0
	s_barrier
	buffer_gl0_inv
	s_and_saveexec_b32 s2, s0
	s_cbranch_execz .LBB106_298
; %bb.289:
	s_and_not1_b32 vcc_lo, exec_lo, s3
	s_cbranch_vccnz .LBB106_291
; %bb.290:
	scratch_load_b64 v[87:88], v91, off
	ds_load_b64 v[98:99], v90
	s_waitcnt vmcnt(0) lgkmcnt(0)
	v_mul_f64 v[87:88], v[87:88], v[98:99]
	s_cbranch_execz .LBB106_292
	s_branch .LBB106_293
.LBB106_291:
                                        ; implicit-def: $vgpr87_vgpr88
.LBB106_292:
	ds_load_b64 v[87:88], v90
.LBB106_293:
	s_and_saveexec_b32 s4, s1
	s_cbranch_execz .LBB106_297
; %bb.294:
	v_dual_mov_b32 v98, 0 :: v_dual_add_nc_u32 v99, -13, v0
	s_movk_i32 s5, 0x1c8
	s_mov_b32 s1, 0
	s_delay_alu instid0(VALU_DEP_1)
	v_add_nc_u32_e32 v98, 0x68, v98
.LBB106_295:                            ; =>This Inner Loop Header: Depth=1
	scratch_load_b64 v[100:101], v98, off
	v_dual_mov_b32 v102, s5 :: v_dual_add_nc_u32 v99, -1, v99
	v_add_nc_u32_e32 v98, 8, v98
	s_add_i32 s5, s5, 8
	ds_load_b64 v[102:103], v102
	v_cmp_eq_u32_e32 vcc_lo, 0, v99
	s_or_b32 s1, vcc_lo, s1
	s_waitcnt vmcnt(0) lgkmcnt(0)
	v_fma_f64 v[87:88], v[100:101], v[102:103], v[87:88]
	s_and_not1_b32 exec_lo, exec_lo, s1
	s_cbranch_execnz .LBB106_295
; %bb.296:
	s_or_b32 exec_lo, exec_lo, s1
.LBB106_297:
	s_delay_alu instid0(SALU_CYCLE_1)
	s_or_b32 exec_lo, exec_lo, s4
	v_mov_b32_e32 v98, 0
	ds_load_b64 v[98:99], v98 offset:96
	s_waitcnt lgkmcnt(0)
	v_mul_f64 v[87:88], v[87:88], v[98:99]
	scratch_store_b64 off, v[87:88], off offset:96
.LBB106_298:
	s_or_b32 exec_lo, exec_lo, s2
	scratch_load_b64 v[87:88], off, off offset:88
	v_cmp_lt_u32_e64 s1, 11, v0
	s_waitcnt vmcnt(0)
	ds_store_b64 v90, v[87:88]
	s_waitcnt lgkmcnt(0)
	s_waitcnt_vscnt null, 0x0
	s_barrier
	buffer_gl0_inv
	s_and_saveexec_b32 s2, s1
	s_cbranch_execz .LBB106_308
; %bb.299:
	s_and_not1_b32 vcc_lo, exec_lo, s3
	s_cbranch_vccnz .LBB106_301
; %bb.300:
	scratch_load_b64 v[87:88], v91, off
	ds_load_b64 v[98:99], v90
	s_waitcnt vmcnt(0) lgkmcnt(0)
	v_mul_f64 v[87:88], v[87:88], v[98:99]
	s_cbranch_execz .LBB106_302
	s_branch .LBB106_303
.LBB106_301:
                                        ; implicit-def: $vgpr87_vgpr88
.LBB106_302:
	ds_load_b64 v[87:88], v90
.LBB106_303:
	s_and_saveexec_b32 s4, s0
	s_cbranch_execz .LBB106_307
; %bb.304:
	v_add_nc_u32_e32 v98, -12, v0
	s_movk_i32 s5, 0x1c0
	s_mov_b32 s0, 0
.LBB106_305:                            ; =>This Inner Loop Header: Depth=1
	scratch_load_b64 v[99:100], v97, off
	v_dual_mov_b32 v101, s5 :: v_dual_add_nc_u32 v98, -1, v98
	v_add_nc_u32_e32 v97, 8, v97
	s_add_i32 s5, s5, 8
	ds_load_b64 v[101:102], v101
	v_cmp_eq_u32_e32 vcc_lo, 0, v98
	s_or_b32 s0, vcc_lo, s0
	s_waitcnt vmcnt(0) lgkmcnt(0)
	v_fma_f64 v[87:88], v[99:100], v[101:102], v[87:88]
	s_and_not1_b32 exec_lo, exec_lo, s0
	s_cbranch_execnz .LBB106_305
; %bb.306:
	s_or_b32 exec_lo, exec_lo, s0
.LBB106_307:
	s_delay_alu instid0(SALU_CYCLE_1)
	s_or_b32 exec_lo, exec_lo, s4
	v_mov_b32_e32 v97, 0
	ds_load_b64 v[97:98], v97 offset:88
	s_waitcnt lgkmcnt(0)
	v_mul_f64 v[87:88], v[87:88], v[97:98]
	scratch_store_b64 off, v[87:88], off offset:88
.LBB106_308:
	s_or_b32 exec_lo, exec_lo, s2
	scratch_load_b64 v[87:88], off, off offset:80
	v_cmp_lt_u32_e64 s0, 10, v0
	s_waitcnt vmcnt(0)
	ds_store_b64 v90, v[87:88]
	s_waitcnt lgkmcnt(0)
	s_waitcnt_vscnt null, 0x0
	s_barrier
	buffer_gl0_inv
	s_and_saveexec_b32 s2, s0
	s_cbranch_execz .LBB106_318
; %bb.309:
	s_and_not1_b32 vcc_lo, exec_lo, s3
	s_cbranch_vccnz .LBB106_311
; %bb.310:
	scratch_load_b64 v[87:88], v91, off
	ds_load_b64 v[97:98], v90
	s_waitcnt vmcnt(0) lgkmcnt(0)
	v_mul_f64 v[87:88], v[87:88], v[97:98]
	s_cbranch_execz .LBB106_312
	s_branch .LBB106_313
.LBB106_311:
                                        ; implicit-def: $vgpr87_vgpr88
.LBB106_312:
	ds_load_b64 v[87:88], v90
.LBB106_313:
	s_and_saveexec_b32 s4, s1
	s_cbranch_execz .LBB106_317
; %bb.314:
	v_dual_mov_b32 v97, 0 :: v_dual_add_nc_u32 v98, -11, v0
	s_movk_i32 s5, 0x1b8
	s_mov_b32 s1, 0
	s_delay_alu instid0(VALU_DEP_1)
	v_add_nc_u32_e32 v97, 0x58, v97
.LBB106_315:                            ; =>This Inner Loop Header: Depth=1
	scratch_load_b64 v[99:100], v97, off
	v_dual_mov_b32 v101, s5 :: v_dual_add_nc_u32 v98, -1, v98
	v_add_nc_u32_e32 v97, 8, v97
	s_add_i32 s5, s5, 8
	ds_load_b64 v[101:102], v101
	v_cmp_eq_u32_e32 vcc_lo, 0, v98
	s_or_b32 s1, vcc_lo, s1
	s_waitcnt vmcnt(0) lgkmcnt(0)
	v_fma_f64 v[87:88], v[99:100], v[101:102], v[87:88]
	s_and_not1_b32 exec_lo, exec_lo, s1
	s_cbranch_execnz .LBB106_315
; %bb.316:
	s_or_b32 exec_lo, exec_lo, s1
.LBB106_317:
	s_delay_alu instid0(SALU_CYCLE_1)
	s_or_b32 exec_lo, exec_lo, s4
	v_mov_b32_e32 v97, 0
	ds_load_b64 v[97:98], v97 offset:80
	s_waitcnt lgkmcnt(0)
	v_mul_f64 v[87:88], v[87:88], v[97:98]
	scratch_store_b64 off, v[87:88], off offset:80
.LBB106_318:
	s_or_b32 exec_lo, exec_lo, s2
	scratch_load_b64 v[87:88], off, off offset:72
	v_cmp_lt_u32_e64 s1, 9, v0
	s_waitcnt vmcnt(0)
	ds_store_b64 v90, v[87:88]
	s_waitcnt lgkmcnt(0)
	s_waitcnt_vscnt null, 0x0
	s_barrier
	buffer_gl0_inv
	s_and_saveexec_b32 s2, s1
	s_cbranch_execz .LBB106_328
; %bb.319:
	s_and_not1_b32 vcc_lo, exec_lo, s3
	s_cbranch_vccnz .LBB106_321
; %bb.320:
	scratch_load_b64 v[87:88], v91, off
	ds_load_b64 v[97:98], v90
	s_waitcnt vmcnt(0) lgkmcnt(0)
	v_mul_f64 v[87:88], v[87:88], v[97:98]
	s_cbranch_execz .LBB106_322
	s_branch .LBB106_323
.LBB106_321:
                                        ; implicit-def: $vgpr87_vgpr88
.LBB106_322:
	ds_load_b64 v[87:88], v90
.LBB106_323:
	s_and_saveexec_b32 s4, s0
	s_cbranch_execz .LBB106_327
; %bb.324:
	v_add_nc_u32_e32 v97, -10, v0
	s_movk_i32 s5, 0x1b0
	s_mov_b32 s0, 0
.LBB106_325:                            ; =>This Inner Loop Header: Depth=1
	scratch_load_b64 v[98:99], v96, off
	v_dual_mov_b32 v100, s5 :: v_dual_add_nc_u32 v97, -1, v97
	v_add_nc_u32_e32 v96, 8, v96
	s_add_i32 s5, s5, 8
	ds_load_b64 v[100:101], v100
	v_cmp_eq_u32_e32 vcc_lo, 0, v97
	s_or_b32 s0, vcc_lo, s0
	s_waitcnt vmcnt(0) lgkmcnt(0)
	v_fma_f64 v[87:88], v[98:99], v[100:101], v[87:88]
	s_and_not1_b32 exec_lo, exec_lo, s0
	s_cbranch_execnz .LBB106_325
; %bb.326:
	s_or_b32 exec_lo, exec_lo, s0
.LBB106_327:
	s_delay_alu instid0(SALU_CYCLE_1)
	s_or_b32 exec_lo, exec_lo, s4
	v_mov_b32_e32 v96, 0
	ds_load_b64 v[96:97], v96 offset:72
	s_waitcnt lgkmcnt(0)
	v_mul_f64 v[87:88], v[87:88], v[96:97]
	scratch_store_b64 off, v[87:88], off offset:72
.LBB106_328:
	s_or_b32 exec_lo, exec_lo, s2
	scratch_load_b64 v[87:88], off, off offset:64
	v_cmp_lt_u32_e64 s0, 8, v0
	s_waitcnt vmcnt(0)
	ds_store_b64 v90, v[87:88]
	s_waitcnt lgkmcnt(0)
	s_waitcnt_vscnt null, 0x0
	s_barrier
	buffer_gl0_inv
	s_and_saveexec_b32 s2, s0
	s_cbranch_execz .LBB106_338
; %bb.329:
	s_and_not1_b32 vcc_lo, exec_lo, s3
	s_cbranch_vccnz .LBB106_331
; %bb.330:
	scratch_load_b64 v[87:88], v91, off
	ds_load_b64 v[96:97], v90
	s_waitcnt vmcnt(0) lgkmcnt(0)
	v_mul_f64 v[87:88], v[87:88], v[96:97]
	s_cbranch_execz .LBB106_332
	s_branch .LBB106_333
.LBB106_331:
                                        ; implicit-def: $vgpr87_vgpr88
.LBB106_332:
	ds_load_b64 v[87:88], v90
.LBB106_333:
	s_and_saveexec_b32 s4, s1
	s_cbranch_execz .LBB106_337
; %bb.334:
	v_dual_mov_b32 v96, 0 :: v_dual_add_nc_u32 v97, -9, v0
	s_movk_i32 s5, 0x1a8
	s_mov_b32 s1, 0
	s_delay_alu instid0(VALU_DEP_1)
	v_add_nc_u32_e32 v96, 0x48, v96
.LBB106_335:                            ; =>This Inner Loop Header: Depth=1
	scratch_load_b64 v[98:99], v96, off
	v_dual_mov_b32 v100, s5 :: v_dual_add_nc_u32 v97, -1, v97
	v_add_nc_u32_e32 v96, 8, v96
	s_add_i32 s5, s5, 8
	ds_load_b64 v[100:101], v100
	v_cmp_eq_u32_e32 vcc_lo, 0, v97
	s_or_b32 s1, vcc_lo, s1
	s_waitcnt vmcnt(0) lgkmcnt(0)
	v_fma_f64 v[87:88], v[98:99], v[100:101], v[87:88]
	s_and_not1_b32 exec_lo, exec_lo, s1
	s_cbranch_execnz .LBB106_335
; %bb.336:
	s_or_b32 exec_lo, exec_lo, s1
.LBB106_337:
	s_delay_alu instid0(SALU_CYCLE_1)
	s_or_b32 exec_lo, exec_lo, s4
	v_mov_b32_e32 v96, 0
	ds_load_b64 v[96:97], v96 offset:64
	s_waitcnt lgkmcnt(0)
	v_mul_f64 v[87:88], v[87:88], v[96:97]
	scratch_store_b64 off, v[87:88], off offset:64
.LBB106_338:
	s_or_b32 exec_lo, exec_lo, s2
	scratch_load_b64 v[87:88], off, off offset:56
	v_cmp_lt_u32_e64 s1, 7, v0
	s_waitcnt vmcnt(0)
	ds_store_b64 v90, v[87:88]
	s_waitcnt lgkmcnt(0)
	s_waitcnt_vscnt null, 0x0
	s_barrier
	buffer_gl0_inv
	s_and_saveexec_b32 s2, s1
	s_cbranch_execz .LBB106_348
; %bb.339:
	s_and_not1_b32 vcc_lo, exec_lo, s3
	s_cbranch_vccnz .LBB106_341
; %bb.340:
	scratch_load_b64 v[87:88], v91, off
	ds_load_b64 v[96:97], v90
	s_waitcnt vmcnt(0) lgkmcnt(0)
	v_mul_f64 v[87:88], v[87:88], v[96:97]
	s_cbranch_execz .LBB106_342
	s_branch .LBB106_343
.LBB106_341:
                                        ; implicit-def: $vgpr87_vgpr88
.LBB106_342:
	ds_load_b64 v[87:88], v90
.LBB106_343:
	s_and_saveexec_b32 s4, s0
	s_cbranch_execz .LBB106_347
; %bb.344:
	v_add_nc_u32_e32 v96, -8, v0
	s_movk_i32 s5, 0x1a0
	s_mov_b32 s0, 0
.LBB106_345:                            ; =>This Inner Loop Header: Depth=1
	scratch_load_b64 v[97:98], v95, off
	v_dual_mov_b32 v99, s5 :: v_dual_add_nc_u32 v96, -1, v96
	v_add_nc_u32_e32 v95, 8, v95
	s_add_i32 s5, s5, 8
	ds_load_b64 v[99:100], v99
	v_cmp_eq_u32_e32 vcc_lo, 0, v96
	s_or_b32 s0, vcc_lo, s0
	s_waitcnt vmcnt(0) lgkmcnt(0)
	v_fma_f64 v[87:88], v[97:98], v[99:100], v[87:88]
	s_and_not1_b32 exec_lo, exec_lo, s0
	s_cbranch_execnz .LBB106_345
; %bb.346:
	s_or_b32 exec_lo, exec_lo, s0
.LBB106_347:
	s_delay_alu instid0(SALU_CYCLE_1)
	s_or_b32 exec_lo, exec_lo, s4
	v_mov_b32_e32 v95, 0
	ds_load_b64 v[95:96], v95 offset:56
	s_waitcnt lgkmcnt(0)
	v_mul_f64 v[87:88], v[87:88], v[95:96]
	scratch_store_b64 off, v[87:88], off offset:56
.LBB106_348:
	s_or_b32 exec_lo, exec_lo, s2
	scratch_load_b64 v[87:88], off, off offset:48
	v_cmp_lt_u32_e64 s0, 6, v0
	s_waitcnt vmcnt(0)
	ds_store_b64 v90, v[87:88]
	s_waitcnt lgkmcnt(0)
	s_waitcnt_vscnt null, 0x0
	s_barrier
	buffer_gl0_inv
	s_and_saveexec_b32 s2, s0
	s_cbranch_execz .LBB106_358
; %bb.349:
	s_and_not1_b32 vcc_lo, exec_lo, s3
	s_cbranch_vccnz .LBB106_351
; %bb.350:
	scratch_load_b64 v[87:88], v91, off
	ds_load_b64 v[95:96], v90
	s_waitcnt vmcnt(0) lgkmcnt(0)
	v_mul_f64 v[87:88], v[87:88], v[95:96]
	s_cbranch_execz .LBB106_352
	s_branch .LBB106_353
.LBB106_351:
                                        ; implicit-def: $vgpr87_vgpr88
.LBB106_352:
	ds_load_b64 v[87:88], v90
.LBB106_353:
	s_and_saveexec_b32 s4, s1
	s_cbranch_execz .LBB106_357
; %bb.354:
	v_add_nc_u32_e64 v95, 0, 56
	v_add_nc_u32_e32 v96, -7, v0
	s_movk_i32 s5, 0x198
	s_mov_b32 s1, 0
.LBB106_355:                            ; =>This Inner Loop Header: Depth=1
	scratch_load_b64 v[97:98], v95, off
	v_dual_mov_b32 v99, s5 :: v_dual_add_nc_u32 v96, -1, v96
	v_add_nc_u32_e32 v95, 8, v95
	s_add_i32 s5, s5, 8
	ds_load_b64 v[99:100], v99
	v_cmp_eq_u32_e32 vcc_lo, 0, v96
	s_or_b32 s1, vcc_lo, s1
	s_waitcnt vmcnt(0) lgkmcnt(0)
	v_fma_f64 v[87:88], v[97:98], v[99:100], v[87:88]
	s_and_not1_b32 exec_lo, exec_lo, s1
	s_cbranch_execnz .LBB106_355
; %bb.356:
	s_or_b32 exec_lo, exec_lo, s1
.LBB106_357:
	s_delay_alu instid0(SALU_CYCLE_1)
	s_or_b32 exec_lo, exec_lo, s4
	v_mov_b32_e32 v95, 0
	ds_load_b64 v[95:96], v95 offset:48
	s_waitcnt lgkmcnt(0)
	v_mul_f64 v[87:88], v[87:88], v[95:96]
	scratch_store_b64 off, v[87:88], off offset:48
.LBB106_358:
	s_or_b32 exec_lo, exec_lo, s2
	scratch_load_b64 v[87:88], off, off offset:40
	v_cmp_lt_u32_e64 s1, 5, v0
	s_waitcnt vmcnt(0)
	ds_store_b64 v90, v[87:88]
	s_waitcnt lgkmcnt(0)
	s_waitcnt_vscnt null, 0x0
	s_barrier
	buffer_gl0_inv
	s_and_saveexec_b32 s2, s1
	s_cbranch_execz .LBB106_368
; %bb.359:
	s_and_not1_b32 vcc_lo, exec_lo, s3
	s_cbranch_vccnz .LBB106_361
; %bb.360:
	scratch_load_b64 v[87:88], v91, off
	ds_load_b64 v[95:96], v90
	s_waitcnt vmcnt(0) lgkmcnt(0)
	v_mul_f64 v[87:88], v[87:88], v[95:96]
	s_cbranch_execz .LBB106_362
	s_branch .LBB106_363
.LBB106_361:
                                        ; implicit-def: $vgpr87_vgpr88
.LBB106_362:
	ds_load_b64 v[87:88], v90
.LBB106_363:
	s_and_saveexec_b32 s4, s0
	s_cbranch_execz .LBB106_367
; %bb.364:
	v_add_nc_u32_e32 v95, -6, v0
	s_movk_i32 s5, 0x190
	s_mov_b32 s0, 0
.LBB106_365:                            ; =>This Inner Loop Header: Depth=1
	scratch_load_b64 v[96:97], v94, off
	v_dual_mov_b32 v98, s5 :: v_dual_add_nc_u32 v95, -1, v95
	v_add_nc_u32_e32 v94, 8, v94
	s_add_i32 s5, s5, 8
	ds_load_b64 v[98:99], v98
	v_cmp_eq_u32_e32 vcc_lo, 0, v95
	s_or_b32 s0, vcc_lo, s0
	s_waitcnt vmcnt(0) lgkmcnt(0)
	v_fma_f64 v[87:88], v[96:97], v[98:99], v[87:88]
	s_and_not1_b32 exec_lo, exec_lo, s0
	s_cbranch_execnz .LBB106_365
; %bb.366:
	s_or_b32 exec_lo, exec_lo, s0
.LBB106_367:
	s_delay_alu instid0(SALU_CYCLE_1)
	s_or_b32 exec_lo, exec_lo, s4
	v_mov_b32_e32 v94, 0
	ds_load_b64 v[94:95], v94 offset:40
	s_waitcnt lgkmcnt(0)
	v_mul_f64 v[87:88], v[87:88], v[94:95]
	scratch_store_b64 off, v[87:88], off offset:40
.LBB106_368:
	s_or_b32 exec_lo, exec_lo, s2
	scratch_load_b64 v[87:88], off, off offset:32
	v_cmp_lt_u32_e64 s0, 4, v0
	s_waitcnt vmcnt(0)
	ds_store_b64 v90, v[87:88]
	s_waitcnt lgkmcnt(0)
	s_waitcnt_vscnt null, 0x0
	s_barrier
	buffer_gl0_inv
	s_and_saveexec_b32 s2, s0
	s_cbranch_execz .LBB106_378
; %bb.369:
	s_and_not1_b32 vcc_lo, exec_lo, s3
	s_cbranch_vccnz .LBB106_371
; %bb.370:
	scratch_load_b64 v[87:88], v91, off
	ds_load_b64 v[94:95], v90
	s_waitcnt vmcnt(0) lgkmcnt(0)
	v_mul_f64 v[87:88], v[87:88], v[94:95]
	s_cbranch_execz .LBB106_372
	s_branch .LBB106_373
.LBB106_371:
                                        ; implicit-def: $vgpr87_vgpr88
.LBB106_372:
	ds_load_b64 v[87:88], v90
.LBB106_373:
	s_and_saveexec_b32 s4, s1
	s_cbranch_execz .LBB106_377
; %bb.374:
	v_add_nc_u32_e64 v94, 0, 40
	v_add_nc_u32_e32 v95, -5, v0
	s_movk_i32 s5, 0x188
	s_mov_b32 s1, 0
.LBB106_375:                            ; =>This Inner Loop Header: Depth=1
	scratch_load_b64 v[96:97], v94, off
	v_dual_mov_b32 v98, s5 :: v_dual_add_nc_u32 v95, -1, v95
	v_add_nc_u32_e32 v94, 8, v94
	s_add_i32 s5, s5, 8
	ds_load_b64 v[98:99], v98
	v_cmp_eq_u32_e32 vcc_lo, 0, v95
	s_or_b32 s1, vcc_lo, s1
	s_waitcnt vmcnt(0) lgkmcnt(0)
	v_fma_f64 v[87:88], v[96:97], v[98:99], v[87:88]
	s_and_not1_b32 exec_lo, exec_lo, s1
	s_cbranch_execnz .LBB106_375
; %bb.376:
	s_or_b32 exec_lo, exec_lo, s1
.LBB106_377:
	s_delay_alu instid0(SALU_CYCLE_1)
	s_or_b32 exec_lo, exec_lo, s4
	v_mov_b32_e32 v94, 0
	ds_load_b64 v[94:95], v94 offset:32
	s_waitcnt lgkmcnt(0)
	v_mul_f64 v[87:88], v[87:88], v[94:95]
	scratch_store_b64 off, v[87:88], off offset:32
.LBB106_378:
	s_or_b32 exec_lo, exec_lo, s2
	scratch_load_b64 v[87:88], off, off offset:24
	v_cmp_lt_u32_e64 s1, 3, v0
	s_waitcnt vmcnt(0)
	ds_store_b64 v90, v[87:88]
	s_waitcnt lgkmcnt(0)
	s_waitcnt_vscnt null, 0x0
	s_barrier
	buffer_gl0_inv
	s_and_saveexec_b32 s2, s1
	s_cbranch_execz .LBB106_388
; %bb.379:
	s_and_not1_b32 vcc_lo, exec_lo, s3
	s_cbranch_vccnz .LBB106_381
; %bb.380:
	scratch_load_b64 v[87:88], v91, off
	ds_load_b64 v[94:95], v90
	s_waitcnt vmcnt(0) lgkmcnt(0)
	v_mul_f64 v[87:88], v[87:88], v[94:95]
	s_cbranch_execz .LBB106_382
	s_branch .LBB106_383
.LBB106_381:
                                        ; implicit-def: $vgpr87_vgpr88
.LBB106_382:
	ds_load_b64 v[87:88], v90
.LBB106_383:
	s_and_saveexec_b32 s4, s0
	s_cbranch_execz .LBB106_387
; %bb.384:
	v_add_nc_u32_e32 v94, -4, v0
	s_movk_i32 s5, 0x180
	s_mov_b32 s0, 0
.LBB106_385:                            ; =>This Inner Loop Header: Depth=1
	scratch_load_b64 v[95:96], v93, off
	v_dual_mov_b32 v97, s5 :: v_dual_add_nc_u32 v94, -1, v94
	v_add_nc_u32_e32 v93, 8, v93
	s_add_i32 s5, s5, 8
	ds_load_b64 v[97:98], v97
	v_cmp_eq_u32_e32 vcc_lo, 0, v94
	s_or_b32 s0, vcc_lo, s0
	s_waitcnt vmcnt(0) lgkmcnt(0)
	v_fma_f64 v[87:88], v[95:96], v[97:98], v[87:88]
	s_and_not1_b32 exec_lo, exec_lo, s0
	s_cbranch_execnz .LBB106_385
; %bb.386:
	s_or_b32 exec_lo, exec_lo, s0
.LBB106_387:
	s_delay_alu instid0(SALU_CYCLE_1)
	s_or_b32 exec_lo, exec_lo, s4
	v_mov_b32_e32 v93, 0
	ds_load_b64 v[93:94], v93 offset:24
	s_waitcnt lgkmcnt(0)
	v_mul_f64 v[87:88], v[87:88], v[93:94]
	scratch_store_b64 off, v[87:88], off offset:24
.LBB106_388:
	s_or_b32 exec_lo, exec_lo, s2
	scratch_load_b64 v[87:88], off, off offset:16
	v_cmp_lt_u32_e64 s0, 2, v0
	s_waitcnt vmcnt(0)
	ds_store_b64 v90, v[87:88]
	s_waitcnt lgkmcnt(0)
	s_waitcnt_vscnt null, 0x0
	s_barrier
	buffer_gl0_inv
	s_and_saveexec_b32 s2, s0
	s_cbranch_execz .LBB106_398
; %bb.389:
	s_and_not1_b32 vcc_lo, exec_lo, s3
	s_cbranch_vccnz .LBB106_391
; %bb.390:
	scratch_load_b64 v[87:88], v91, off
	ds_load_b64 v[93:94], v90
	s_waitcnt vmcnt(0) lgkmcnt(0)
	v_mul_f64 v[87:88], v[87:88], v[93:94]
	s_cbranch_execz .LBB106_392
	s_branch .LBB106_393
.LBB106_391:
                                        ; implicit-def: $vgpr87_vgpr88
.LBB106_392:
	ds_load_b64 v[87:88], v90
.LBB106_393:
	s_and_saveexec_b32 s4, s1
	s_cbranch_execz .LBB106_397
; %bb.394:
	v_add_nc_u32_e64 v93, 0, 24
	v_add_nc_u32_e32 v94, -3, v0
	s_movk_i32 s5, 0x178
	s_mov_b32 s1, 0
.LBB106_395:                            ; =>This Inner Loop Header: Depth=1
	scratch_load_b64 v[95:96], v93, off
	v_dual_mov_b32 v97, s5 :: v_dual_add_nc_u32 v94, -1, v94
	v_add_nc_u32_e32 v93, 8, v93
	s_add_i32 s5, s5, 8
	ds_load_b64 v[97:98], v97
	v_cmp_eq_u32_e32 vcc_lo, 0, v94
	s_or_b32 s1, vcc_lo, s1
	s_waitcnt vmcnt(0) lgkmcnt(0)
	v_fma_f64 v[87:88], v[95:96], v[97:98], v[87:88]
	s_and_not1_b32 exec_lo, exec_lo, s1
	s_cbranch_execnz .LBB106_395
; %bb.396:
	s_or_b32 exec_lo, exec_lo, s1
.LBB106_397:
	s_delay_alu instid0(SALU_CYCLE_1)
	s_or_b32 exec_lo, exec_lo, s4
	v_mov_b32_e32 v93, 0
	ds_load_b64 v[93:94], v93 offset:16
	s_waitcnt lgkmcnt(0)
	v_mul_f64 v[87:88], v[87:88], v[93:94]
	scratch_store_b64 off, v[87:88], off offset:16
.LBB106_398:
	s_or_b32 exec_lo, exec_lo, s2
	scratch_load_b64 v[87:88], off, off offset:8
	v_cmp_lt_u32_e64 s1, 1, v0
	s_waitcnt vmcnt(0)
	ds_store_b64 v90, v[87:88]
	s_waitcnt lgkmcnt(0)
	s_waitcnt_vscnt null, 0x0
	s_barrier
	buffer_gl0_inv
	s_and_saveexec_b32 s2, s1
	s_cbranch_execz .LBB106_408
; %bb.399:
	s_and_not1_b32 vcc_lo, exec_lo, s3
	s_cbranch_vccnz .LBB106_401
; %bb.400:
	scratch_load_b64 v[87:88], v91, off
	ds_load_b64 v[93:94], v90
	s_waitcnt vmcnt(0) lgkmcnt(0)
	v_mul_f64 v[87:88], v[87:88], v[93:94]
	s_cbranch_execz .LBB106_402
	s_branch .LBB106_403
.LBB106_401:
                                        ; implicit-def: $vgpr87_vgpr88
.LBB106_402:
	ds_load_b64 v[87:88], v90
.LBB106_403:
	s_and_saveexec_b32 s4, s0
	s_cbranch_execz .LBB106_407
; %bb.404:
	v_add_nc_u32_e32 v93, -2, v0
	s_movk_i32 s5, 0x170
	s_mov_b32 s0, 0
.LBB106_405:                            ; =>This Inner Loop Header: Depth=1
	scratch_load_b64 v[94:95], v92, off
	v_dual_mov_b32 v96, s5 :: v_dual_add_nc_u32 v93, -1, v93
	v_add_nc_u32_e32 v92, 8, v92
	s_add_i32 s5, s5, 8
	ds_load_b64 v[96:97], v96
	v_cmp_eq_u32_e32 vcc_lo, 0, v93
	s_or_b32 s0, vcc_lo, s0
	s_waitcnt vmcnt(0) lgkmcnt(0)
	v_fma_f64 v[87:88], v[94:95], v[96:97], v[87:88]
	s_and_not1_b32 exec_lo, exec_lo, s0
	s_cbranch_execnz .LBB106_405
; %bb.406:
	s_or_b32 exec_lo, exec_lo, s0
.LBB106_407:
	s_delay_alu instid0(SALU_CYCLE_1)
	s_or_b32 exec_lo, exec_lo, s4
	v_mov_b32_e32 v92, 0
	ds_load_b64 v[92:93], v92 offset:8
	s_waitcnt lgkmcnt(0)
	v_mul_f64 v[87:88], v[87:88], v[92:93]
	scratch_store_b64 off, v[87:88], off offset:8
.LBB106_408:
	s_or_b32 exec_lo, exec_lo, s2
	scratch_load_b64 v[87:88], off, off
	s_mov_b32 s0, 0
	s_mov_b32 s2, exec_lo
	s_waitcnt vmcnt(0)
	ds_store_b64 v90, v[87:88]
	s_waitcnt lgkmcnt(0)
	s_waitcnt_vscnt null, 0x0
	s_barrier
	buffer_gl0_inv
	v_cmpx_ne_u32_e32 0, v0
	s_cbranch_execz .LBB106_418
; %bb.409:
	s_and_not1_b32 vcc_lo, exec_lo, s3
	s_cbranch_vccnz .LBB106_411
; %bb.410:
	scratch_load_b64 v[87:88], v91, off
	ds_load_b64 v[92:93], v90
	s_waitcnt vmcnt(0) lgkmcnt(0)
	v_mul_f64 v[87:88], v[87:88], v[92:93]
	s_cbranch_execz .LBB106_412
	s_branch .LBB106_413
.LBB106_411:
                                        ; implicit-def: $vgpr87_vgpr88
.LBB106_412:
	ds_load_b64 v[87:88], v90
.LBB106_413:
	s_and_saveexec_b32 s4, s1
	s_cbranch_execz .LBB106_417
; %bb.414:
	v_or_b32_e64 v92, 0, 8
	v_add_nc_u32_e32 v93, -1, v0
	s_movk_i32 s5, 0x168
	s_mov_b32 s1, 0
.LBB106_415:                            ; =>This Inner Loop Header: Depth=1
	scratch_load_b64 v[94:95], v92, off
	v_dual_mov_b32 v96, s5 :: v_dual_add_nc_u32 v93, -1, v93
	v_add_nc_u32_e32 v92, 8, v92
	s_add_i32 s5, s5, 8
	ds_load_b64 v[96:97], v96
	v_cmp_eq_u32_e32 vcc_lo, 0, v93
	s_or_b32 s1, vcc_lo, s1
	s_waitcnt vmcnt(0) lgkmcnt(0)
	v_fma_f64 v[87:88], v[94:95], v[96:97], v[87:88]
	s_and_not1_b32 exec_lo, exec_lo, s1
	s_cbranch_execnz .LBB106_415
; %bb.416:
	s_or_b32 exec_lo, exec_lo, s1
.LBB106_417:
	s_delay_alu instid0(SALU_CYCLE_1)
	s_or_b32 exec_lo, exec_lo, s4
	v_mov_b32_e32 v92, 0
	ds_load_b64 v[92:93], v92
	s_waitcnt lgkmcnt(0)
	v_mul_f64 v[87:88], v[87:88], v[92:93]
	scratch_store_b64 off, v[87:88], off
.LBB106_418:
	s_or_b32 exec_lo, exec_lo, s2
.LBB106_419:
	s_delay_alu instid0(SALU_CYCLE_1)
	s_and_b32 vcc_lo, exec_lo, s0
	s_cbranch_vccz .LBB106_835
; %bb.420:
	scratch_load_b64 v[87:88], off, off offset:8
	v_cmp_eq_u32_e64 s0, 0, v0
	s_waitcnt vmcnt(0)
	ds_store_b64 v90, v[87:88]
	s_waitcnt lgkmcnt(0)
	s_waitcnt_vscnt null, 0x0
	s_barrier
	buffer_gl0_inv
	s_and_saveexec_b32 s1, s0
	s_cbranch_execz .LBB106_426
; %bb.421:
	s_and_b32 vcc_lo, exec_lo, s3
	s_cbranch_vccz .LBB106_423
; %bb.422:
	scratch_load_b64 v[87:88], v91, off
	ds_load_b64 v[92:93], v90
	s_waitcnt vmcnt(0) lgkmcnt(0)
	v_mul_f64 v[87:88], v[87:88], v[92:93]
	s_cbranch_execz .LBB106_424
	s_branch .LBB106_425
.LBB106_423:
                                        ; implicit-def: $vgpr87_vgpr88
.LBB106_424:
	ds_load_b64 v[87:88], v90
.LBB106_425:
	v_mov_b32_e32 v92, 0
	ds_load_b64 v[92:93], v92 offset:8
	s_waitcnt lgkmcnt(0)
	v_mul_f64 v[87:88], v[87:88], v[92:93]
	scratch_store_b64 off, v[87:88], off offset:8
.LBB106_426:
	s_or_b32 exec_lo, exec_lo, s1
	scratch_load_b64 v[87:88], off, off offset:16
	v_cndmask_b32_e64 v92, 0, 1, s3
	s_mov_b32 s1, exec_lo
	s_waitcnt vmcnt(0)
	ds_store_b64 v90, v[87:88]
	s_waitcnt lgkmcnt(0)
	s_waitcnt_vscnt null, 0x0
	s_barrier
	buffer_gl0_inv
	v_cmpx_gt_u32_e32 2, v0
	s_cbranch_execz .LBB106_434
; %bb.427:
	s_and_not1_b32 vcc_lo, exec_lo, s3
	s_cbranch_vccnz .LBB106_429
; %bb.428:
	scratch_load_b64 v[87:88], v91, off
	ds_load_b64 v[93:94], v90
	s_waitcnt vmcnt(0) lgkmcnt(0)
	v_mul_f64 v[87:88], v[87:88], v[93:94]
	s_cbranch_execz .LBB106_430
	s_branch .LBB106_431
.LBB106_429:
                                        ; implicit-def: $vgpr87_vgpr88
.LBB106_430:
	ds_load_b64 v[87:88], v90
.LBB106_431:
	s_and_saveexec_b32 s2, s0
	s_cbranch_execz .LBB106_433
; %bb.432:
	scratch_load_b64 v[93:94], v91, off offset:8
	ds_load_b64 v[95:96], v90 offset:8
	s_waitcnt vmcnt(0) lgkmcnt(0)
	v_fma_f64 v[87:88], v[93:94], v[95:96], v[87:88]
.LBB106_433:
	s_or_b32 exec_lo, exec_lo, s2
	v_mov_b32_e32 v93, 0
	ds_load_b64 v[93:94], v93 offset:16
	s_waitcnt lgkmcnt(0)
	v_mul_f64 v[87:88], v[87:88], v[93:94]
	scratch_store_b64 off, v[87:88], off offset:16
.LBB106_434:
	s_or_b32 exec_lo, exec_lo, s1
	scratch_load_b64 v[87:88], off, off offset:24
	s_mov_b32 s1, exec_lo
	s_waitcnt vmcnt(0)
	ds_store_b64 v90, v[87:88]
	s_waitcnt lgkmcnt(0)
	s_waitcnt_vscnt null, 0x0
	s_barrier
	buffer_gl0_inv
	v_cmpx_gt_u32_e32 3, v0
	s_cbranch_execz .LBB106_444
; %bb.435:
	v_cmp_ne_u32_e32 vcc_lo, 1, v92
	s_cbranch_vccnz .LBB106_437
; %bb.436:
	scratch_load_b64 v[87:88], v91, off
	ds_load_b64 v[93:94], v90
	s_waitcnt vmcnt(0) lgkmcnt(0)
	v_mul_f64 v[87:88], v[87:88], v[93:94]
	s_cbranch_execz .LBB106_438
	s_branch .LBB106_439
.LBB106_437:
                                        ; implicit-def: $vgpr87_vgpr88
.LBB106_438:
	ds_load_b64 v[87:88], v90
.LBB106_439:
	s_mov_b32 s2, exec_lo
	v_cmpx_ne_u32_e32 2, v0
	s_cbranch_execz .LBB106_443
; %bb.440:
	scratch_load_b64 v[93:94], v91, off offset:8
	ds_load_b64 v[95:96], v90 offset:8
	s_waitcnt vmcnt(0) lgkmcnt(0)
	v_fma_f64 v[87:88], v[93:94], v[95:96], v[87:88]
	s_and_saveexec_b32 s3, s0
	s_cbranch_execz .LBB106_442
; %bb.441:
	scratch_load_b64 v[93:94], off, off offset:16
	v_mov_b32_e32 v95, 0
	ds_load_b64 v[95:96], v95 offset:368
	s_waitcnt vmcnt(0) lgkmcnt(0)
	v_fma_f64 v[87:88], v[93:94], v[95:96], v[87:88]
.LBB106_442:
	s_or_b32 exec_lo, exec_lo, s3
.LBB106_443:
	s_delay_alu instid0(SALU_CYCLE_1)
	s_or_b32 exec_lo, exec_lo, s2
	v_mov_b32_e32 v93, 0
	ds_load_b64 v[93:94], v93 offset:24
	s_waitcnt lgkmcnt(0)
	v_mul_f64 v[87:88], v[87:88], v[93:94]
	scratch_store_b64 off, v[87:88], off offset:24
.LBB106_444:
	s_or_b32 exec_lo, exec_lo, s1
	scratch_load_b64 v[87:88], off, off offset:32
	s_mov_b32 s0, exec_lo
	s_waitcnt vmcnt(0)
	ds_store_b64 v90, v[87:88]
	s_waitcnt lgkmcnt(0)
	s_waitcnt_vscnt null, 0x0
	s_barrier
	buffer_gl0_inv
	v_cmpx_gt_u32_e32 4, v0
	s_cbranch_execz .LBB106_454
; %bb.445:
	v_cmp_ne_u32_e32 vcc_lo, 1, v92
	s_cbranch_vccnz .LBB106_447
; %bb.446:
	scratch_load_b64 v[87:88], v91, off
	ds_load_b64 v[93:94], v90
	s_waitcnt vmcnt(0) lgkmcnt(0)
	v_mul_f64 v[87:88], v[87:88], v[93:94]
	s_cbranch_execz .LBB106_448
	s_branch .LBB106_449
.LBB106_447:
                                        ; implicit-def: $vgpr87_vgpr88
.LBB106_448:
	ds_load_b64 v[87:88], v90
.LBB106_449:
	s_mov_b32 s1, exec_lo
	v_cmpx_ne_u32_e32 3, v0
	s_cbranch_execz .LBB106_453
; %bb.450:
	v_add_nc_u32_e32 v93, 0x168, v89
	v_add3_u32 v94, 0, v89, 8
	v_mov_b32_e32 v95, v0
	s_mov_b32 s2, 0
.LBB106_451:                            ; =>This Inner Loop Header: Depth=1
	scratch_load_b64 v[96:97], v94, off
	ds_load_b64 v[98:99], v93
	v_add_nc_u32_e32 v95, 1, v95
	v_add_nc_u32_e32 v93, 8, v93
	v_add_nc_u32_e32 v94, 8, v94
	s_delay_alu instid0(VALU_DEP_3)
	v_cmp_lt_u32_e32 vcc_lo, 2, v95
	s_or_b32 s2, vcc_lo, s2
	s_waitcnt vmcnt(0) lgkmcnt(0)
	v_fma_f64 v[87:88], v[96:97], v[98:99], v[87:88]
	s_and_not1_b32 exec_lo, exec_lo, s2
	s_cbranch_execnz .LBB106_451
; %bb.452:
	s_or_b32 exec_lo, exec_lo, s2
.LBB106_453:
	s_delay_alu instid0(SALU_CYCLE_1)
	s_or_b32 exec_lo, exec_lo, s1
	v_mov_b32_e32 v93, 0
	ds_load_b64 v[93:94], v93 offset:32
	s_waitcnt lgkmcnt(0)
	v_mul_f64 v[87:88], v[87:88], v[93:94]
	scratch_store_b64 off, v[87:88], off offset:32
.LBB106_454:
	s_or_b32 exec_lo, exec_lo, s0
	scratch_load_b64 v[87:88], off, off offset:40
	s_mov_b32 s0, exec_lo
	s_waitcnt vmcnt(0)
	ds_store_b64 v90, v[87:88]
	s_waitcnt lgkmcnt(0)
	s_waitcnt_vscnt null, 0x0
	s_barrier
	buffer_gl0_inv
	v_cmpx_gt_u32_e32 5, v0
	s_cbranch_execz .LBB106_464
; %bb.455:
	v_cmp_ne_u32_e32 vcc_lo, 1, v92
	s_cbranch_vccnz .LBB106_457
; %bb.456:
	scratch_load_b64 v[87:88], v91, off
	ds_load_b64 v[93:94], v90
	s_waitcnt vmcnt(0) lgkmcnt(0)
	v_mul_f64 v[87:88], v[87:88], v[93:94]
	s_cbranch_execz .LBB106_458
	s_branch .LBB106_459
.LBB106_457:
                                        ; implicit-def: $vgpr87_vgpr88
.LBB106_458:
	ds_load_b64 v[87:88], v90
.LBB106_459:
	s_mov_b32 s1, exec_lo
	v_cmpx_ne_u32_e32 4, v0
	s_cbranch_execz .LBB106_463
; %bb.460:
	v_add_nc_u32_e32 v93, 0x168, v89
	v_add3_u32 v94, 0, v89, 8
	v_mov_b32_e32 v95, v0
	s_mov_b32 s2, 0
.LBB106_461:                            ; =>This Inner Loop Header: Depth=1
	scratch_load_b64 v[96:97], v94, off
	ds_load_b64 v[98:99], v93
	v_add_nc_u32_e32 v95, 1, v95
	v_add_nc_u32_e32 v93, 8, v93
	v_add_nc_u32_e32 v94, 8, v94
	s_delay_alu instid0(VALU_DEP_3)
	v_cmp_lt_u32_e32 vcc_lo, 3, v95
	s_or_b32 s2, vcc_lo, s2
	s_waitcnt vmcnt(0) lgkmcnt(0)
	v_fma_f64 v[87:88], v[96:97], v[98:99], v[87:88]
	s_and_not1_b32 exec_lo, exec_lo, s2
	s_cbranch_execnz .LBB106_461
; %bb.462:
	s_or_b32 exec_lo, exec_lo, s2
.LBB106_463:
	s_delay_alu instid0(SALU_CYCLE_1)
	s_or_b32 exec_lo, exec_lo, s1
	v_mov_b32_e32 v93, 0
	ds_load_b64 v[93:94], v93 offset:40
	s_waitcnt lgkmcnt(0)
	v_mul_f64 v[87:88], v[87:88], v[93:94]
	scratch_store_b64 off, v[87:88], off offset:40
.LBB106_464:
	;; [unrolled: 58-line block ×37, first 2 shown]
	s_or_b32 exec_lo, exec_lo, s0
	scratch_load_b64 v[87:88], off, off offset:328
	v_cmp_gt_u32_e64 s0, 41, v0
	s_waitcnt vmcnt(0)
	ds_store_b64 v90, v[87:88]
	s_waitcnt lgkmcnt(0)
	s_waitcnt_vscnt null, 0x0
	s_barrier
	buffer_gl0_inv
	s_and_saveexec_b32 s1, s0
	s_cbranch_execz .LBB106_824
; %bb.815:
	v_cmp_ne_u32_e32 vcc_lo, 1, v92
	s_cbranch_vccnz .LBB106_817
; %bb.816:
	scratch_load_b64 v[87:88], v91, off
	ds_load_b64 v[93:94], v90
	s_waitcnt vmcnt(0) lgkmcnt(0)
	v_mul_f64 v[87:88], v[87:88], v[93:94]
	s_cbranch_execz .LBB106_818
	s_branch .LBB106_819
.LBB106_817:
                                        ; implicit-def: $vgpr87_vgpr88
.LBB106_818:
	ds_load_b64 v[87:88], v90
.LBB106_819:
	s_mov_b32 s2, exec_lo
	v_cmpx_ne_u32_e32 40, v0
	s_cbranch_execz .LBB106_823
; %bb.820:
	v_add_nc_u32_e32 v93, 0x168, v89
	v_add3_u32 v94, 0, v89, 8
	v_mov_b32_e32 v95, v0
	s_mov_b32 s3, 0
.LBB106_821:                            ; =>This Inner Loop Header: Depth=1
	scratch_load_b64 v[96:97], v94, off
	ds_load_b64 v[98:99], v93
	v_add_nc_u32_e32 v95, 1, v95
	v_add_nc_u32_e32 v93, 8, v93
	;; [unrolled: 1-line block ×3, first 2 shown]
	s_delay_alu instid0(VALU_DEP_3)
	v_cmp_lt_u32_e32 vcc_lo, 39, v95
	s_or_b32 s3, vcc_lo, s3
	s_waitcnt vmcnt(0) lgkmcnt(0)
	v_fma_f64 v[87:88], v[96:97], v[98:99], v[87:88]
	s_and_not1_b32 exec_lo, exec_lo, s3
	s_cbranch_execnz .LBB106_821
; %bb.822:
	s_or_b32 exec_lo, exec_lo, s3
.LBB106_823:
	s_delay_alu instid0(SALU_CYCLE_1)
	s_or_b32 exec_lo, exec_lo, s2
	v_mov_b32_e32 v93, 0
	ds_load_b64 v[93:94], v93 offset:328
	s_waitcnt lgkmcnt(0)
	v_mul_f64 v[87:88], v[87:88], v[93:94]
	scratch_store_b64 off, v[87:88], off offset:328
.LBB106_824:
	s_or_b32 exec_lo, exec_lo, s1
	scratch_load_b64 v[87:88], off, off offset:336
	s_mov_b32 s1, exec_lo
	s_waitcnt vmcnt(0)
	ds_store_b64 v90, v[87:88]
	s_waitcnt lgkmcnt(0)
	s_waitcnt_vscnt null, 0x0
	s_barrier
	buffer_gl0_inv
	v_cmpx_ne_u32_e32 42, v0
	s_cbranch_execz .LBB106_834
; %bb.825:
	v_cmp_ne_u32_e32 vcc_lo, 1, v92
	s_cbranch_vccnz .LBB106_827
; %bb.826:
	scratch_load_b64 v[87:88], v91, off
	ds_load_b64 v[91:92], v90
	s_waitcnt vmcnt(0) lgkmcnt(0)
	v_mul_f64 v[87:88], v[87:88], v[91:92]
	s_cbranch_execz .LBB106_828
	s_branch .LBB106_829
.LBB106_827:
                                        ; implicit-def: $vgpr87_vgpr88
.LBB106_828:
	ds_load_b64 v[87:88], v90
.LBB106_829:
	s_and_saveexec_b32 s2, s0
	s_cbranch_execz .LBB106_833
; %bb.830:
	v_add_nc_u32_e32 v90, 0x168, v89
	v_add3_u32 v89, 0, v89, 8
	s_mov_b32 s0, 0
.LBB106_831:                            ; =>This Inner Loop Header: Depth=1
	scratch_load_b64 v[91:92], v89, off
	ds_load_b64 v[93:94], v90
	v_add_nc_u32_e32 v0, 1, v0
	v_add_nc_u32_e32 v90, 8, v90
	;; [unrolled: 1-line block ×3, first 2 shown]
	s_delay_alu instid0(VALU_DEP_3)
	v_cmp_lt_u32_e32 vcc_lo, 40, v0
	s_or_b32 s0, vcc_lo, s0
	s_waitcnt vmcnt(0) lgkmcnt(0)
	v_fma_f64 v[87:88], v[91:92], v[93:94], v[87:88]
	s_and_not1_b32 exec_lo, exec_lo, s0
	s_cbranch_execnz .LBB106_831
; %bb.832:
	s_or_b32 exec_lo, exec_lo, s0
.LBB106_833:
	s_delay_alu instid0(SALU_CYCLE_1)
	s_or_b32 exec_lo, exec_lo, s2
	v_mov_b32_e32 v0, 0
	ds_load_b64 v[89:90], v0 offset:336
	s_waitcnt lgkmcnt(0)
	v_mul_f64 v[87:88], v[87:88], v[89:90]
	scratch_store_b64 off, v[87:88], off offset:336
.LBB106_834:
	s_or_b32 exec_lo, exec_lo, s1
.LBB106_835:
	s_clause 0x8
	scratch_load_b128 v[87:90], off, off
	scratch_load_b128 v[91:94], off, off offset:16
	scratch_load_b128 v[95:98], off, off offset:32
	;; [unrolled: 1-line block ×8, first 2 shown]
	s_waitcnt vmcnt(8)
	s_clause 0x1
	global_store_b64 v[9:10], v[87:88], off
	global_store_b64 v[15:16], v[89:90], off
	s_waitcnt vmcnt(7)
	s_clause 0x1
	global_store_b64 v[1:2], v[91:92], off
	global_store_b64 v[3:4], v[93:94], off
	scratch_load_b128 v[0:3], off, off offset:160
	s_waitcnt vmcnt(7)
	s_clause 0x1
	global_store_b64 v[7:8], v[95:96], off
	global_store_b64 v[5:6], v[97:98], off
	s_waitcnt vmcnt(6)
	s_clause 0x1
	global_store_b64 v[13:14], v[99:100], off
	global_store_b64 v[35:36], v[101:102], off
	;; [unrolled: 4-line block ×5, first 2 shown]
	s_clause 0xb
	scratch_load_b128 v[87:90], off, off offset:128
	scratch_load_b128 v[7:10], off, off offset:176
	;; [unrolled: 1-line block ×11, first 2 shown]
	scratch_load_b64 v[4:5], off, off offset:336
	s_waitcnt vmcnt(14)
	s_clause 0x1
	global_store_b64 v[17:18], v[115:116], off
	global_store_b64 v[19:20], v[117:118], off
	s_waitcnt vmcnt(11)
	s_clause 0x5
	global_store_b64 v[21:22], v[87:88], off
	global_store_b64 v[23:24], v[89:90], off
	;; [unrolled: 1-line block ×6, first 2 shown]
	s_waitcnt vmcnt(10)
	s_clause 0x1
	global_store_b64 v[47:48], v[7:8], off
	global_store_b64 v[49:50], v[9:10], off
	s_waitcnt vmcnt(9)
	s_clause 0x1
	global_store_b64 v[51:52], v[91:92], off
	global_store_b64 v[53:54], v[93:94], off
	;; [unrolled: 4-line block ×10, first 2 shown]
	s_waitcnt vmcnt(0)
	global_store_b64 v[11:12], v[4:5], off
.LBB106_836:
	s_endpgm
	.section	.rodata,"a",@progbits
	.p2align	6, 0x0
	.amdhsa_kernel _ZN9rocsolver6v33100L18trti2_kernel_smallILi43EdPKPdEEv13rocblas_fill_17rocblas_diagonal_T1_iil
		.amdhsa_group_segment_fixed_size 696
		.amdhsa_private_segment_fixed_size 352
		.amdhsa_kernarg_size 32
		.amdhsa_user_sgpr_count 15
		.amdhsa_user_sgpr_dispatch_ptr 0
		.amdhsa_user_sgpr_queue_ptr 0
		.amdhsa_user_sgpr_kernarg_segment_ptr 1
		.amdhsa_user_sgpr_dispatch_id 0
		.amdhsa_user_sgpr_private_segment_size 0
		.amdhsa_wavefront_size32 1
		.amdhsa_uses_dynamic_stack 0
		.amdhsa_enable_private_segment 1
		.amdhsa_system_sgpr_workgroup_id_x 1
		.amdhsa_system_sgpr_workgroup_id_y 0
		.amdhsa_system_sgpr_workgroup_id_z 0
		.amdhsa_system_sgpr_workgroup_info 0
		.amdhsa_system_vgpr_workitem_id 0
		.amdhsa_next_free_vgpr 132
		.amdhsa_next_free_sgpr 19
		.amdhsa_reserve_vcc 1
		.amdhsa_float_round_mode_32 0
		.amdhsa_float_round_mode_16_64 0
		.amdhsa_float_denorm_mode_32 3
		.amdhsa_float_denorm_mode_16_64 3
		.amdhsa_dx10_clamp 1
		.amdhsa_ieee_mode 1
		.amdhsa_fp16_overflow 0
		.amdhsa_workgroup_processor_mode 1
		.amdhsa_memory_ordered 1
		.amdhsa_forward_progress 0
		.amdhsa_shared_vgpr_count 0
		.amdhsa_exception_fp_ieee_invalid_op 0
		.amdhsa_exception_fp_denorm_src 0
		.amdhsa_exception_fp_ieee_div_zero 0
		.amdhsa_exception_fp_ieee_overflow 0
		.amdhsa_exception_fp_ieee_underflow 0
		.amdhsa_exception_fp_ieee_inexact 0
		.amdhsa_exception_int_div_zero 0
	.end_amdhsa_kernel
	.section	.text._ZN9rocsolver6v33100L18trti2_kernel_smallILi43EdPKPdEEv13rocblas_fill_17rocblas_diagonal_T1_iil,"axG",@progbits,_ZN9rocsolver6v33100L18trti2_kernel_smallILi43EdPKPdEEv13rocblas_fill_17rocblas_diagonal_T1_iil,comdat
.Lfunc_end106:
	.size	_ZN9rocsolver6v33100L18trti2_kernel_smallILi43EdPKPdEEv13rocblas_fill_17rocblas_diagonal_T1_iil, .Lfunc_end106-_ZN9rocsolver6v33100L18trti2_kernel_smallILi43EdPKPdEEv13rocblas_fill_17rocblas_diagonal_T1_iil
                                        ; -- End function
	.section	.AMDGPU.csdata,"",@progbits
; Kernel info:
; codeLenInByte = 23476
; NumSgprs: 21
; NumVgprs: 132
; ScratchSize: 352
; MemoryBound: 0
; FloatMode: 240
; IeeeMode: 1
; LDSByteSize: 696 bytes/workgroup (compile time only)
; SGPRBlocks: 2
; VGPRBlocks: 16
; NumSGPRsForWavesPerEU: 21
; NumVGPRsForWavesPerEU: 132
; Occupancy: 10
; WaveLimiterHint : 1
; COMPUTE_PGM_RSRC2:SCRATCH_EN: 1
; COMPUTE_PGM_RSRC2:USER_SGPR: 15
; COMPUTE_PGM_RSRC2:TRAP_HANDLER: 0
; COMPUTE_PGM_RSRC2:TGID_X_EN: 1
; COMPUTE_PGM_RSRC2:TGID_Y_EN: 0
; COMPUTE_PGM_RSRC2:TGID_Z_EN: 0
; COMPUTE_PGM_RSRC2:TIDIG_COMP_CNT: 0
	.section	.text._ZN9rocsolver6v33100L18trti2_kernel_smallILi44EdPKPdEEv13rocblas_fill_17rocblas_diagonal_T1_iil,"axG",@progbits,_ZN9rocsolver6v33100L18trti2_kernel_smallILi44EdPKPdEEv13rocblas_fill_17rocblas_diagonal_T1_iil,comdat
	.globl	_ZN9rocsolver6v33100L18trti2_kernel_smallILi44EdPKPdEEv13rocblas_fill_17rocblas_diagonal_T1_iil ; -- Begin function _ZN9rocsolver6v33100L18trti2_kernel_smallILi44EdPKPdEEv13rocblas_fill_17rocblas_diagonal_T1_iil
	.p2align	8
	.type	_ZN9rocsolver6v33100L18trti2_kernel_smallILi44EdPKPdEEv13rocblas_fill_17rocblas_diagonal_T1_iil,@function
_ZN9rocsolver6v33100L18trti2_kernel_smallILi44EdPKPdEEv13rocblas_fill_17rocblas_diagonal_T1_iil: ; @_ZN9rocsolver6v33100L18trti2_kernel_smallILi44EdPKPdEEv13rocblas_fill_17rocblas_diagonal_T1_iil
; %bb.0:
	s_mov_b32 s2, exec_lo
	v_cmpx_gt_u32_e32 44, v0
	s_cbranch_execz .LBB107_856
; %bb.1:
	s_clause 0x1
	s_load_b64 s[4:5], s[0:1], 0x10
	s_load_b128 s[0:3], s[0:1], 0x0
	s_mov_b32 s6, s15
	s_ashr_i32 s7, s15, 31
	v_lshlrev_b32_e32 v91, 3, v0
	s_lshl_b64 s[6:7], s[6:7], 3
	s_waitcnt lgkmcnt(0)
	s_ashr_i32 s9, s4, 31
	s_add_u32 s2, s2, s6
	v_add3_u32 v1, s5, s5, v0
	s_addc_u32 s3, s3, s7
	s_mov_b32 s8, s4
	s_load_b64 s[2:3], s[2:3], 0x0
	s_lshl_b64 s[8:9], s[8:9], 3
	v_add_nc_u32_e32 v3, s5, v1
	v_ashrrev_i32_e32 v2, 31, v1
	s_mov_b32 s6, s5
	s_delay_alu instid0(VALU_DEP_2) | instskip(NEXT) | instid1(VALU_DEP_2)
	v_add_nc_u32_e32 v5, s5, v3
	v_lshlrev_b64 v[1:2], 3, v[1:2]
	v_ashrrev_i32_e32 v4, 31, v3
	s_delay_alu instid0(VALU_DEP_3) | instskip(SKIP_1) | instid1(VALU_DEP_3)
	v_add_nc_u32_e32 v7, s5, v5
	v_ashrrev_i32_e32 v6, 31, v5
	v_lshlrev_b64 v[3:4], 3, v[3:4]
	s_delay_alu instid0(VALU_DEP_3) | instskip(SKIP_1) | instid1(VALU_DEP_4)
	v_add_nc_u32_e32 v9, s5, v7
	v_ashrrev_i32_e32 v8, 31, v7
	v_lshlrev_b64 v[5:6], 3, v[5:6]
	s_waitcnt lgkmcnt(0)
	s_add_u32 s2, s2, s8
	s_addc_u32 s3, s3, s9
	v_add_co_u32 v31, s4, s2, v91
	v_add_nc_u32_e32 v11, s5, v9
	s_ashr_i32 s7, s5, 31
	v_add_co_ci_u32_e64 v32, null, s3, 0, s4
	v_add_co_u32 v23, vcc_lo, s2, v1
	s_lshl_b64 s[6:7], s[6:7], 3
	v_add_co_ci_u32_e32 v24, vcc_lo, s3, v2, vcc_lo
	v_add_co_u32 v29, vcc_lo, v31, s6
	v_ashrrev_i32_e32 v10, 31, v9
	v_add_nc_u32_e32 v1, s5, v11
	v_add_co_ci_u32_e32 v30, vcc_lo, s7, v32, vcc_lo
	v_lshlrev_b64 v[7:8], 3, v[7:8]
	v_add_co_u32 v17, vcc_lo, s2, v3
	v_ashrrev_i32_e32 v12, 31, v11
	v_add_co_ci_u32_e32 v18, vcc_lo, s3, v4, vcc_lo
	v_add_co_u32 v15, vcc_lo, s2, v5
	v_lshlrev_b64 v[3:4], 3, v[9:10]
	v_add_nc_u32_e32 v5, s5, v1
	v_ashrrev_i32_e32 v2, 31, v1
	v_add_co_ci_u32_e32 v16, vcc_lo, s3, v6, vcc_lo
	v_add_co_u32 v13, vcc_lo, s2, v7
	v_lshlrev_b64 v[6:7], 3, v[11:12]
	v_add_co_ci_u32_e32 v14, vcc_lo, s3, v8, vcc_lo
	v_add_nc_u32_e32 v19, s5, v5
	v_add_co_u32 v9, vcc_lo, s2, v3
	v_lshlrev_b64 v[1:2], 3, v[1:2]
	v_add_co_ci_u32_e32 v10, vcc_lo, s3, v4, vcc_lo
	v_add_co_u32 v3, vcc_lo, s2, v6
	v_ashrrev_i32_e32 v6, 31, v5
	v_add_nc_u32_e32 v21, s5, v19
	v_add_co_ci_u32_e32 v4, vcc_lo, s3, v7, vcc_lo
	v_ashrrev_i32_e32 v20, 31, v19
	v_add_co_u32 v11, vcc_lo, s2, v1
	v_add_co_ci_u32_e32 v12, vcc_lo, s3, v2, vcc_lo
	v_lshlrev_b64 v[1:2], 3, v[5:6]
	v_ashrrev_i32_e32 v22, 31, v21
	v_lshlrev_b64 v[5:6], 3, v[19:20]
	v_add_nc_u32_e32 v25, s5, v21
	s_clause 0x4
	global_load_b64 v[53:54], v91, s[2:3]
	global_load_b64 v[55:56], v[29:30], off
	global_load_b64 v[57:58], v[23:24], off
	;; [unrolled: 1-line block ×4, first 2 shown]
	v_add_co_u32 v7, vcc_lo, s2, v1
	v_lshlrev_b64 v[20:21], 3, v[21:22]
	v_add_co_ci_u32_e32 v8, vcc_lo, s3, v2, vcc_lo
	v_add_nc_u32_e32 v19, s5, v25
	v_add_co_u32 v1, vcc_lo, s2, v5
	v_add_co_ci_u32_e32 v2, vcc_lo, s3, v6, vcc_lo
	v_add_co_u32 v5, vcc_lo, s2, v20
	v_ashrrev_i32_e32 v26, 31, v25
	v_add_co_ci_u32_e32 v6, vcc_lo, s3, v21, vcc_lo
	v_add_nc_u32_e32 v21, s5, v19
	v_ashrrev_i32_e32 v20, 31, v19
	s_delay_alu instid0(VALU_DEP_4)
	v_lshlrev_b64 v[25:26], 3, v[25:26]
	s_clause 0x3
	global_load_b64 v[63:64], v[13:14], off
	global_load_b64 v[65:66], v[9:10], off
	;; [unrolled: 1-line block ×4, first 2 shown]
	v_add_nc_u32_e32 v33, s5, v21
	v_lshlrev_b64 v[27:28], 3, v[19:20]
	v_ashrrev_i32_e32 v22, 31, v21
	v_add_co_u32 v19, vcc_lo, s2, v25
	s_delay_alu instid0(VALU_DEP_4) | instskip(SKIP_1) | instid1(VALU_DEP_4)
	v_ashrrev_i32_e32 v34, 31, v33
	v_add_co_ci_u32_e32 v20, vcc_lo, s3, v26, vcc_lo
	v_lshlrev_b64 v[25:26], 3, v[21:22]
	v_add_co_u32 v21, vcc_lo, s2, v27
	v_add_co_ci_u32_e32 v22, vcc_lo, s3, v28, vcc_lo
	v_lshlrev_b64 v[27:28], 3, v[33:34]
	v_add_nc_u32_e32 v33, s5, v33
	s_clause 0x2
	global_load_b64 v[71:72], v[7:8], off
	global_load_b64 v[73:74], v[1:2], off
	;; [unrolled: 1-line block ×3, first 2 shown]
	v_add_co_u32 v25, vcc_lo, s2, v25
	v_add_co_ci_u32_e32 v26, vcc_lo, s3, v26, vcc_lo
	v_add_nc_u32_e32 v35, s5, v33
	v_add_co_u32 v27, vcc_lo, s2, v27
	v_ashrrev_i32_e32 v34, 31, v33
	v_add_co_ci_u32_e32 v28, vcc_lo, s3, v28, vcc_lo
	s_delay_alu instid0(VALU_DEP_4)
	v_add_nc_u32_e32 v37, s5, v35
	v_ashrrev_i32_e32 v36, 31, v35
	s_clause 0x3
	global_load_b64 v[77:78], v[19:20], off
	global_load_b64 v[79:80], v[21:22], off
	;; [unrolled: 1-line block ×4, first 2 shown]
	v_lshlrev_b64 v[33:34], 3, v[33:34]
	s_cmpk_lg_i32 s1, 0x84
	v_add_nc_u32_e32 v41, s5, v37
	v_ashrrev_i32_e32 v38, 31, v37
	v_lshlrev_b64 v[35:36], 3, v[35:36]
	s_delay_alu instid0(VALU_DEP_4) | instskip(NEXT) | instid1(VALU_DEP_4)
	v_add_co_u32 v33, vcc_lo, s2, v33
	v_ashrrev_i32_e32 v42, 31, v41
	s_delay_alu instid0(VALU_DEP_4) | instskip(SKIP_2) | instid1(VALU_DEP_4)
	v_lshlrev_b64 v[37:38], 3, v[37:38]
	v_add_co_ci_u32_e32 v34, vcc_lo, s3, v34, vcc_lo
	v_add_co_u32 v35, vcc_lo, s2, v35
	v_lshlrev_b64 v[39:40], 3, v[41:42]
	v_add_co_ci_u32_e32 v36, vcc_lo, s3, v36, vcc_lo
	v_add_co_u32 v37, vcc_lo, s2, v37
	v_add_co_ci_u32_e32 v38, vcc_lo, s3, v38, vcc_lo
	s_delay_alu instid0(VALU_DEP_4)
	v_add_co_u32 v39, vcc_lo, s2, v39
	v_add_co_ci_u32_e32 v40, vcc_lo, s3, v40, vcc_lo
	s_clause 0x3
	global_load_b64 v[92:93], v[33:34], off
	global_load_b64 v[94:95], v[35:36], off
	;; [unrolled: 1-line block ×4, first 2 shown]
	v_add_nc_u32_e32 v41, s5, v41
	s_delay_alu instid0(VALU_DEP_1) | instskip(SKIP_1) | instid1(VALU_DEP_2)
	v_add_nc_u32_e32 v43, s5, v41
	v_ashrrev_i32_e32 v42, 31, v41
	v_add_nc_u32_e32 v45, s5, v43
	v_ashrrev_i32_e32 v44, 31, v43
	s_delay_alu instid0(VALU_DEP_3) | instskip(NEXT) | instid1(VALU_DEP_3)
	v_lshlrev_b64 v[41:42], 3, v[41:42]
	v_add_nc_u32_e32 v47, s5, v45
	v_ashrrev_i32_e32 v46, 31, v45
	s_delay_alu instid0(VALU_DEP_4) | instskip(NEXT) | instid1(VALU_DEP_4)
	v_lshlrev_b64 v[43:44], 3, v[43:44]
	v_add_co_u32 v41, vcc_lo, s2, v41
	s_delay_alu instid0(VALU_DEP_4) | instskip(SKIP_3) | instid1(VALU_DEP_4)
	v_add_nc_u32_e32 v49, s5, v47
	v_ashrrev_i32_e32 v48, 31, v47
	v_add_co_ci_u32_e32 v42, vcc_lo, s3, v42, vcc_lo
	v_lshlrev_b64 v[102:103], 3, v[45:46]
	v_add_nc_u32_e32 v51, s5, v49
	v_add_co_u32 v45, vcc_lo, s2, v43
	v_add_co_ci_u32_e32 v46, vcc_lo, s3, v44, vcc_lo
	s_delay_alu instid0(VALU_DEP_3) | instskip(SKIP_3) | instid1(VALU_DEP_4)
	v_add_nc_u32_e32 v85, s5, v51
	v_lshlrev_b64 v[43:44], 3, v[47:48]
	v_ashrrev_i32_e32 v50, 31, v49
	v_add_co_u32 v47, vcc_lo, s2, v102
	v_add_nc_u32_e32 v87, s5, v85
	v_add_co_ci_u32_e32 v48, vcc_lo, s3, v103, vcc_lo
	v_ashrrev_i32_e32 v52, 31, v51
	v_lshlrev_b64 v[102:103], 3, v[49:50]
	s_delay_alu instid0(VALU_DEP_4) | instskip(SKIP_2) | instid1(VALU_DEP_3)
	v_add_nc_u32_e32 v89, s5, v87
	v_add_co_u32 v49, vcc_lo, s2, v43
	v_add_co_ci_u32_e32 v50, vcc_lo, s3, v44, vcc_lo
	v_add_nc_u32_e32 v104, s5, v89
	v_ashrrev_i32_e32 v86, 31, v85
	v_lshlrev_b64 v[115:116], 3, v[51:52]
	v_ashrrev_i32_e32 v88, 31, v87
	v_ashrrev_i32_e32 v90, 31, v89
	v_add_nc_u32_e32 v114, s5, v104
	v_lshlrev_b64 v[85:86], 3, v[85:86]
	global_load_b64 v[100:101], v[41:42], off
	v_add_nc_u32_e32 v122, s5, v114
	s_delay_alu instid0(VALU_DEP_1) | instskip(SKIP_1) | instid1(VALU_DEP_2)
	v_add_nc_u32_e32 v124, s5, v122
	v_ashrrev_i32_e32 v123, 31, v122
	v_add_nc_u32_e32 v126, s5, v124
	v_ashrrev_i32_e32 v125, 31, v124
	s_delay_alu instid0(VALU_DEP_2) | instskip(SKIP_1) | instid1(VALU_DEP_2)
	v_add_nc_u32_e32 v128, s5, v126
	v_ashrrev_i32_e32 v127, 31, v126
	v_add_nc_u32_e32 v130, s5, v128
	v_ashrrev_i32_e32 v129, 31, v128
	s_delay_alu instid0(VALU_DEP_2) | instskip(SKIP_1) | instid1(VALU_DEP_2)
	v_add_nc_u32_e32 v132, s5, v130
	v_ashrrev_i32_e32 v131, 31, v130
	v_add_nc_u32_e32 v134, s5, v132
	v_ashrrev_i32_e32 v133, 31, v132
	s_delay_alu instid0(VALU_DEP_2) | instskip(SKIP_1) | instid1(VALU_DEP_2)
	v_add_nc_u32_e32 v136, s5, v134
	v_ashrrev_i32_e32 v135, 31, v134
	v_add_nc_u32_e32 v138, s5, v136
	v_ashrrev_i32_e32 v137, 31, v136
	s_delay_alu instid0(VALU_DEP_2) | instskip(SKIP_1) | instid1(VALU_DEP_2)
	v_add_nc_u32_e32 v140, s5, v138
	v_ashrrev_i32_e32 v139, 31, v138
	v_add_nc_u32_e32 v142, s5, v140
	v_ashrrev_i32_e32 v141, 31, v140
	s_delay_alu instid0(VALU_DEP_2) | instskip(SKIP_1) | instid1(VALU_DEP_2)
	v_add_nc_u32_e32 v144, s5, v142
	v_ashrrev_i32_e32 v143, 31, v142
	v_add_nc_u32_e32 v105, s5, v144
	v_ashrrev_i32_e32 v145, 31, v144
	s_delay_alu instid0(VALU_DEP_2) | instskip(NEXT) | instid1(VALU_DEP_1)
	v_ashrrev_i32_e32 v106, 31, v105
	v_lshlrev_b64 v[105:106], 3, v[105:106]
	s_delay_alu instid0(VALU_DEP_1) | instskip(NEXT) | instid1(VALU_DEP_2)
	v_add_co_u32 v43, vcc_lo, s2, v105
	v_add_co_ci_u32_e32 v44, vcc_lo, s3, v106, vcc_lo
	v_add_co_u32 v51, vcc_lo, s2, v102
	v_add_co_ci_u32_e32 v52, vcc_lo, s3, v103, vcc_lo
	global_load_b64 v[106:107], v[43:44], off
	s_waitcnt vmcnt(20)
	scratch_store_b128 off, v[53:56], off
	s_waitcnt vmcnt(18)
	scratch_store_b128 off, v[57:60], off offset:16
	v_add_co_u32 v53, vcc_lo, s2, v115
	v_lshlrev_b64 v[57:58], 3, v[87:88]
	v_lshlrev_b64 v[59:60], 3, v[89:90]
	v_mov_b32_e32 v89, 0
	v_ashrrev_i32_e32 v105, 31, v104
	v_add_co_ci_u32_e32 v54, vcc_lo, s3, v116, vcc_lo
	v_add_co_u32 v55, vcc_lo, s2, v85
	v_ashrrev_i32_e32 v115, 31, v114
	v_add_co_ci_u32_e32 v56, vcc_lo, s3, v86, vcc_lo
	v_add_co_u32 v57, vcc_lo, s2, v57
	v_lshlrev_b64 v[85:86], 3, v[104:105]
	v_add_co_ci_u32_e32 v58, vcc_lo, s3, v58, vcc_lo
	v_add_co_u32 v59, vcc_lo, s2, v59
	v_lshlrev_b64 v[87:88], 3, v[114:115]
	v_add_co_ci_u32_e32 v60, vcc_lo, s3, v60, vcc_lo
	s_clause 0x3
	global_load_b64 v[102:103], v[45:46], off
	global_load_b64 v[108:109], v[47:48], off
	global_load_b64 v[110:111], v[49:50], off
	global_load_b64 v[112:113], v[51:52], off
	s_waitcnt vmcnt(20)
	scratch_store_b128 off, v[61:64], off offset:32
	s_waitcnt vmcnt(18)
	scratch_store_b128 off, v[65:68], off offset:48
	v_add_co_u32 v61, vcc_lo, s2, v85
	v_lshlrev_b64 v[65:66], 3, v[122:123]
	v_add_co_ci_u32_e32 v62, vcc_lo, s3, v86, vcc_lo
	v_add_co_u32 v63, vcc_lo, s2, v87
	v_lshlrev_b64 v[67:68], 3, v[124:125]
	v_add_co_ci_u32_e32 v64, vcc_lo, s3, v88, vcc_lo
	v_add_co_u32 v65, vcc_lo, s2, v65
	v_lshlrev_b64 v[85:86], 3, v[126:127]
	v_add_co_ci_u32_e32 v66, vcc_lo, s3, v66, vcc_lo
	v_add_co_u32 v67, vcc_lo, s2, v67
	v_lshlrev_b64 v[87:88], 3, v[128:129]
	v_add_co_ci_u32_e32 v68, vcc_lo, s3, v68, vcc_lo
	s_clause 0x3
	global_load_b64 v[114:115], v[53:54], off
	global_load_b64 v[116:117], v[55:56], off
	global_load_b64 v[118:119], v[57:58], off
	global_load_b64 v[120:121], v[59:60], off
	s_waitcnt vmcnt(20)
	scratch_store_b128 off, v[69:72], off offset:64
	s_waitcnt vmcnt(18)
	scratch_store_b128 off, v[73:76], off offset:80
	v_add_co_u32 v69, vcc_lo, s2, v85
	v_lshlrev_b64 v[73:74], 3, v[130:131]
	v_add_co_ci_u32_e32 v70, vcc_lo, s3, v86, vcc_lo
	v_add_co_u32 v71, vcc_lo, s2, v87
	v_lshlrev_b64 v[75:76], 3, v[132:133]
	;; [unrolled: 21-line block ×3, first 2 shown]
	v_add_co_ci_u32_e32 v80, vcc_lo, s3, v88, vcc_lo
	v_add_co_u32 v81, vcc_lo, s2, v81
	v_add_co_ci_u32_e32 v82, vcc_lo, s3, v82, vcc_lo
	v_lshlrev_b64 v[87:88], 3, v[142:143]
	v_add_co_u32 v85, vcc_lo, s2, v83
	v_add_co_ci_u32_e32 v86, vcc_lo, s3, v84, vcc_lo
	v_lshlrev_b64 v[83:84], 3, v[144:145]
	s_delay_alu instid0(VALU_DEP_4)
	v_add_co_u32 v87, vcc_lo, s2, v87
	v_add_co_ci_u32_e32 v88, vcc_lo, s3, v88, vcc_lo
	s_clause 0x3
	global_load_b64 v[130:131], v[69:70], off
	global_load_b64 v[132:133], v[71:72], off
	;; [unrolled: 1-line block ×4, first 2 shown]
	v_add_co_u32 v83, vcc_lo, s2, v83
	v_add_co_ci_u32_e32 v84, vcc_lo, s3, v84, vcc_lo
	s_waitcnt vmcnt(20)
	scratch_store_b128 off, v[92:95], off offset:128
	s_clause 0x2
	global_load_b64 v[138:139], v[77:78], off
	global_load_b64 v[92:93], v[79:80], off
	;; [unrolled: 1-line block ×3, first 2 shown]
	s_waitcnt vmcnt(21)
	scratch_store_b128 off, v[96:99], off offset:144
	s_clause 0x2
	global_load_b64 v[96:97], v[85:86], off
	global_load_b64 v[98:99], v[87:88], off
	;; [unrolled: 1-line block ×3, first 2 shown]
	v_mov_b32_e32 v90, 0xbff00000
	s_cselect_b32 s2, -1, 0
	s_cmpk_eq_i32 s1, 0x84
	s_waitcnt vmcnt(21)
	scratch_store_b128 off, v[100:103], off offset:160
	s_waitcnt vmcnt(19)
	scratch_store_b128 off, v[108:111], off offset:176
	;; [unrolled: 2-line block ×12, first 2 shown]
	s_cbranch_scc1 .LBB107_3
; %bb.2:
	scratch_load_b64 v[89:90], v91, off
	s_waitcnt vmcnt(0)
	v_div_scale_f64 v[92:93], null, v[89:90], v[89:90], 1.0
	v_div_scale_f64 v[98:99], vcc_lo, 1.0, v[89:90], 1.0
	s_delay_alu instid0(VALU_DEP_2) | instskip(SKIP_2) | instid1(VALU_DEP_1)
	v_rcp_f64_e32 v[94:95], v[92:93]
	s_waitcnt_depctr 0xfff
	v_fma_f64 v[96:97], -v[92:93], v[94:95], 1.0
	v_fma_f64 v[94:95], v[94:95], v[96:97], v[94:95]
	s_delay_alu instid0(VALU_DEP_1) | instskip(NEXT) | instid1(VALU_DEP_1)
	v_fma_f64 v[96:97], -v[92:93], v[94:95], 1.0
	v_fma_f64 v[94:95], v[94:95], v[96:97], v[94:95]
	s_delay_alu instid0(VALU_DEP_1) | instskip(NEXT) | instid1(VALU_DEP_1)
	v_mul_f64 v[96:97], v[98:99], v[94:95]
	v_fma_f64 v[92:93], -v[92:93], v[96:97], v[98:99]
	s_delay_alu instid0(VALU_DEP_1) | instskip(NEXT) | instid1(VALU_DEP_1)
	v_div_fmas_f64 v[92:93], v[92:93], v[94:95], v[96:97]
	v_div_fixup_f64 v[89:90], v[92:93], v[89:90], 1.0
	scratch_store_b64 v91, v[89:90], off
	v_xor_b32_e32 v90, 0x80000000, v90
.LBB107_3:
	v_add_nc_u32_e32 v92, 0x160, v91
	v_add_nc_u32_e32 v93, 0, v91
	s_cmpk_eq_i32 s0, 0x79
	s_mov_b32 s0, -1
	ds_store_b64 v91, v[89:90]
	s_cbranch_scc1 .LBB107_429
; %bb.4:
	scratch_load_b64 v[89:90], off, off offset:336
	v_cmp_eq_u32_e64 s0, 43, v0
	s_movk_i32 s1, 0x50
	s_movk_i32 s3, 0x60
	;; [unrolled: 1-line block ×16, first 2 shown]
	s_waitcnt vmcnt(0)
	ds_store_b64 v92, v[89:90]
	s_waitcnt lgkmcnt(0)
	s_waitcnt_vscnt null, 0x0
	s_barrier
	buffer_gl0_inv
	s_and_saveexec_b32 s18, s0
	s_cbranch_execz .LBB107_10
; %bb.5:
	s_and_b32 vcc_lo, exec_lo, s2
	s_cbranch_vccz .LBB107_7
; %bb.6:
	scratch_load_b64 v[89:90], v93, off
	ds_load_b64 v[94:95], v92
	s_waitcnt vmcnt(0) lgkmcnt(0)
	v_mul_f64 v[89:90], v[89:90], v[94:95]
	s_cbranch_execz .LBB107_8
	s_branch .LBB107_9
.LBB107_7:
                                        ; implicit-def: $vgpr89_vgpr90
.LBB107_8:
	ds_load_b64 v[89:90], v92
.LBB107_9:
	v_mov_b32_e32 v94, 0
	ds_load_b64 v[94:95], v94 offset:336
	s_waitcnt lgkmcnt(0)
	v_mul_f64 v[89:90], v[89:90], v[94:95]
	scratch_store_b64 off, v[89:90], off offset:336
.LBB107_10:
	s_or_b32 exec_lo, exec_lo, s18
	scratch_load_b64 v[89:90], off, off offset:328
	v_add_nc_u32_e64 v94, 0, 16
	v_add_nc_u32_e64 v95, 0, 32
	;; [unrolled: 1-line block ×20, first 2 shown]
	v_cmp_lt_u32_e64 s1, 41, v0
	s_waitcnt vmcnt(0)
	ds_store_b64 v92, v[89:90]
	s_waitcnt lgkmcnt(0)
	s_waitcnt_vscnt null, 0x0
	s_barrier
	buffer_gl0_inv
	s_and_saveexec_b32 s3, s1
	s_cbranch_execz .LBB107_18
; %bb.11:
	s_and_not1_b32 vcc_lo, exec_lo, s2
	s_cbranch_vccnz .LBB107_13
; %bb.12:
	scratch_load_b64 v[89:90], v93, off
	ds_load_b64 v[114:115], v92
	s_waitcnt vmcnt(0) lgkmcnt(0)
	v_mul_f64 v[89:90], v[89:90], v[114:115]
	s_cbranch_execz .LBB107_14
	s_branch .LBB107_15
.LBB107_13:
                                        ; implicit-def: $vgpr89_vgpr90
.LBB107_14:
	ds_load_b64 v[89:90], v92
.LBB107_15:
	s_and_saveexec_b32 s4, s0
	s_cbranch_execz .LBB107_17
; %bb.16:
	scratch_load_b64 v[114:115], off, off offset:336
	v_mov_b32_e32 v116, 0
	ds_load_b64 v[116:117], v116 offset:688
	s_waitcnt vmcnt(0) lgkmcnt(0)
	v_fma_f64 v[89:90], v[114:115], v[116:117], v[89:90]
.LBB107_17:
	s_or_b32 exec_lo, exec_lo, s4
	v_mov_b32_e32 v114, 0
	ds_load_b64 v[114:115], v114 offset:328
	s_waitcnt lgkmcnt(0)
	v_mul_f64 v[89:90], v[89:90], v[114:115]
	scratch_store_b64 off, v[89:90], off offset:328
.LBB107_18:
	s_or_b32 exec_lo, exec_lo, s3
	scratch_load_b64 v[89:90], off, off offset:320
	v_cmp_lt_u32_e64 s0, 40, v0
	s_waitcnt vmcnt(0)
	ds_store_b64 v92, v[89:90]
	s_waitcnt lgkmcnt(0)
	s_waitcnt_vscnt null, 0x0
	s_barrier
	buffer_gl0_inv
	s_and_saveexec_b32 s3, s0
	s_cbranch_execz .LBB107_28
; %bb.19:
	s_and_not1_b32 vcc_lo, exec_lo, s2
	s_cbranch_vccnz .LBB107_21
; %bb.20:
	scratch_load_b64 v[89:90], v93, off
	ds_load_b64 v[114:115], v92
	s_waitcnt vmcnt(0) lgkmcnt(0)
	v_mul_f64 v[89:90], v[89:90], v[114:115]
	s_cbranch_execz .LBB107_22
	s_branch .LBB107_23
.LBB107_21:
                                        ; implicit-def: $vgpr89_vgpr90
.LBB107_22:
	ds_load_b64 v[89:90], v92
.LBB107_23:
	s_and_saveexec_b32 s4, s1
	s_cbranch_execz .LBB107_27
; %bb.24:
	v_mov_b32_e32 v114, 0
	v_subrev_nc_u32_e32 v115, 41, v0
	s_movk_i32 s5, 0x2a8
	s_mov_b32 s1, 0
	s_delay_alu instid0(VALU_DEP_2)
	v_add_nc_u32_e32 v114, 0x148, v114
.LBB107_25:                             ; =>This Inner Loop Header: Depth=1
	scratch_load_b64 v[116:117], v114, off
	v_dual_mov_b32 v118, s5 :: v_dual_add_nc_u32 v115, -1, v115
	v_add_nc_u32_e32 v114, 8, v114
	s_add_i32 s5, s5, 8
	ds_load_b64 v[118:119], v118
	v_cmp_eq_u32_e32 vcc_lo, 0, v115
	s_or_b32 s1, vcc_lo, s1
	s_waitcnt vmcnt(0) lgkmcnt(0)
	v_fma_f64 v[89:90], v[116:117], v[118:119], v[89:90]
	s_and_not1_b32 exec_lo, exec_lo, s1
	s_cbranch_execnz .LBB107_25
; %bb.26:
	s_or_b32 exec_lo, exec_lo, s1
.LBB107_27:
	s_delay_alu instid0(SALU_CYCLE_1)
	s_or_b32 exec_lo, exec_lo, s4
	v_mov_b32_e32 v114, 0
	ds_load_b64 v[114:115], v114 offset:320
	s_waitcnt lgkmcnt(0)
	v_mul_f64 v[89:90], v[89:90], v[114:115]
	scratch_store_b64 off, v[89:90], off offset:320
.LBB107_28:
	s_or_b32 exec_lo, exec_lo, s3
	scratch_load_b64 v[89:90], off, off offset:312
	v_cmp_lt_u32_e64 s1, 39, v0
	s_waitcnt vmcnt(0)
	ds_store_b64 v92, v[89:90]
	s_waitcnt lgkmcnt(0)
	s_waitcnt_vscnt null, 0x0
	s_barrier
	buffer_gl0_inv
	s_and_saveexec_b32 s3, s1
	s_cbranch_execz .LBB107_38
; %bb.29:
	s_and_not1_b32 vcc_lo, exec_lo, s2
	s_cbranch_vccnz .LBB107_31
; %bb.30:
	scratch_load_b64 v[89:90], v93, off
	ds_load_b64 v[114:115], v92
	s_waitcnt vmcnt(0) lgkmcnt(0)
	v_mul_f64 v[89:90], v[89:90], v[114:115]
	s_cbranch_execz .LBB107_32
	s_branch .LBB107_33
.LBB107_31:
                                        ; implicit-def: $vgpr89_vgpr90
.LBB107_32:
	ds_load_b64 v[89:90], v92
.LBB107_33:
	s_and_saveexec_b32 s4, s0
	s_cbranch_execz .LBB107_37
; %bb.34:
	v_subrev_nc_u32_e32 v114, 40, v0
	s_movk_i32 s5, 0x2a0
	s_mov_b32 s0, 0
.LBB107_35:                             ; =>This Inner Loop Header: Depth=1
	scratch_load_b64 v[115:116], v113, off
	v_dual_mov_b32 v117, s5 :: v_dual_add_nc_u32 v114, -1, v114
	v_add_nc_u32_e32 v113, 8, v113
	s_add_i32 s5, s5, 8
	ds_load_b64 v[117:118], v117
	v_cmp_eq_u32_e32 vcc_lo, 0, v114
	s_or_b32 s0, vcc_lo, s0
	s_waitcnt vmcnt(0) lgkmcnt(0)
	v_fma_f64 v[89:90], v[115:116], v[117:118], v[89:90]
	s_and_not1_b32 exec_lo, exec_lo, s0
	s_cbranch_execnz .LBB107_35
; %bb.36:
	s_or_b32 exec_lo, exec_lo, s0
.LBB107_37:
	s_delay_alu instid0(SALU_CYCLE_1)
	s_or_b32 exec_lo, exec_lo, s4
	v_mov_b32_e32 v113, 0
	ds_load_b64 v[113:114], v113 offset:312
	s_waitcnt lgkmcnt(0)
	v_mul_f64 v[89:90], v[89:90], v[113:114]
	scratch_store_b64 off, v[89:90], off offset:312
.LBB107_38:
	s_or_b32 exec_lo, exec_lo, s3
	scratch_load_b64 v[89:90], off, off offset:304
	v_cmp_lt_u32_e64 s0, 38, v0
	s_waitcnt vmcnt(0)
	ds_store_b64 v92, v[89:90]
	s_waitcnt lgkmcnt(0)
	s_waitcnt_vscnt null, 0x0
	s_barrier
	buffer_gl0_inv
	s_and_saveexec_b32 s3, s0
	s_cbranch_execz .LBB107_48
; %bb.39:
	s_and_not1_b32 vcc_lo, exec_lo, s2
	s_cbranch_vccnz .LBB107_41
; %bb.40:
	scratch_load_b64 v[89:90], v93, off
	ds_load_b64 v[113:114], v92
	s_waitcnt vmcnt(0) lgkmcnt(0)
	v_mul_f64 v[89:90], v[89:90], v[113:114]
	s_cbranch_execz .LBB107_42
	s_branch .LBB107_43
.LBB107_41:
                                        ; implicit-def: $vgpr89_vgpr90
.LBB107_42:
	ds_load_b64 v[89:90], v92
.LBB107_43:
	s_and_saveexec_b32 s4, s1
	s_cbranch_execz .LBB107_47
; %bb.44:
	v_mov_b32_e32 v113, 0
	v_subrev_nc_u32_e32 v114, 39, v0
	s_movk_i32 s5, 0x298
	s_mov_b32 s1, 0
	s_delay_alu instid0(VALU_DEP_2)
	v_add_nc_u32_e32 v113, 0x138, v113
.LBB107_45:                             ; =>This Inner Loop Header: Depth=1
	scratch_load_b64 v[115:116], v113, off
	v_dual_mov_b32 v117, s5 :: v_dual_add_nc_u32 v114, -1, v114
	v_add_nc_u32_e32 v113, 8, v113
	s_add_i32 s5, s5, 8
	ds_load_b64 v[117:118], v117
	v_cmp_eq_u32_e32 vcc_lo, 0, v114
	s_or_b32 s1, vcc_lo, s1
	s_waitcnt vmcnt(0) lgkmcnt(0)
	v_fma_f64 v[89:90], v[115:116], v[117:118], v[89:90]
	s_and_not1_b32 exec_lo, exec_lo, s1
	s_cbranch_execnz .LBB107_45
; %bb.46:
	s_or_b32 exec_lo, exec_lo, s1
.LBB107_47:
	s_delay_alu instid0(SALU_CYCLE_1)
	s_or_b32 exec_lo, exec_lo, s4
	v_mov_b32_e32 v113, 0
	ds_load_b64 v[113:114], v113 offset:304
	s_waitcnt lgkmcnt(0)
	v_mul_f64 v[89:90], v[89:90], v[113:114]
	scratch_store_b64 off, v[89:90], off offset:304
.LBB107_48:
	s_or_b32 exec_lo, exec_lo, s3
	scratch_load_b64 v[89:90], off, off offset:296
	v_cmp_lt_u32_e64 s1, 37, v0
	s_waitcnt vmcnt(0)
	ds_store_b64 v92, v[89:90]
	s_waitcnt lgkmcnt(0)
	s_waitcnt_vscnt null, 0x0
	s_barrier
	buffer_gl0_inv
	s_and_saveexec_b32 s3, s1
	s_cbranch_execz .LBB107_58
; %bb.49:
	s_and_not1_b32 vcc_lo, exec_lo, s2
	s_cbranch_vccnz .LBB107_51
; %bb.50:
	scratch_load_b64 v[89:90], v93, off
	ds_load_b64 v[113:114], v92
	s_waitcnt vmcnt(0) lgkmcnt(0)
	v_mul_f64 v[89:90], v[89:90], v[113:114]
	s_cbranch_execz .LBB107_52
	s_branch .LBB107_53
.LBB107_51:
                                        ; implicit-def: $vgpr89_vgpr90
.LBB107_52:
	ds_load_b64 v[89:90], v92
.LBB107_53:
	s_and_saveexec_b32 s4, s0
	s_cbranch_execz .LBB107_57
; %bb.54:
	v_subrev_nc_u32_e32 v113, 38, v0
	s_movk_i32 s5, 0x290
	s_mov_b32 s0, 0
.LBB107_55:                             ; =>This Inner Loop Header: Depth=1
	scratch_load_b64 v[114:115], v112, off
	v_dual_mov_b32 v116, s5 :: v_dual_add_nc_u32 v113, -1, v113
	v_add_nc_u32_e32 v112, 8, v112
	s_add_i32 s5, s5, 8
	ds_load_b64 v[116:117], v116
	v_cmp_eq_u32_e32 vcc_lo, 0, v113
	s_or_b32 s0, vcc_lo, s0
	s_waitcnt vmcnt(0) lgkmcnt(0)
	v_fma_f64 v[89:90], v[114:115], v[116:117], v[89:90]
	s_and_not1_b32 exec_lo, exec_lo, s0
	s_cbranch_execnz .LBB107_55
; %bb.56:
	s_or_b32 exec_lo, exec_lo, s0
.LBB107_57:
	s_delay_alu instid0(SALU_CYCLE_1)
	s_or_b32 exec_lo, exec_lo, s4
	v_mov_b32_e32 v112, 0
	ds_load_b64 v[112:113], v112 offset:296
	s_waitcnt lgkmcnt(0)
	v_mul_f64 v[89:90], v[89:90], v[112:113]
	scratch_store_b64 off, v[89:90], off offset:296
.LBB107_58:
	s_or_b32 exec_lo, exec_lo, s3
	scratch_load_b64 v[89:90], off, off offset:288
	v_cmp_lt_u32_e64 s0, 36, v0
	s_waitcnt vmcnt(0)
	ds_store_b64 v92, v[89:90]
	s_waitcnt lgkmcnt(0)
	s_waitcnt_vscnt null, 0x0
	s_barrier
	buffer_gl0_inv
	s_and_saveexec_b32 s3, s0
	s_cbranch_execz .LBB107_68
; %bb.59:
	s_and_not1_b32 vcc_lo, exec_lo, s2
	s_cbranch_vccnz .LBB107_61
; %bb.60:
	scratch_load_b64 v[89:90], v93, off
	ds_load_b64 v[112:113], v92
	s_waitcnt vmcnt(0) lgkmcnt(0)
	v_mul_f64 v[89:90], v[89:90], v[112:113]
	s_cbranch_execz .LBB107_62
	s_branch .LBB107_63
.LBB107_61:
                                        ; implicit-def: $vgpr89_vgpr90
.LBB107_62:
	ds_load_b64 v[89:90], v92
.LBB107_63:
	s_and_saveexec_b32 s4, s1
	s_cbranch_execz .LBB107_67
; %bb.64:
	v_mov_b32_e32 v112, 0
	v_subrev_nc_u32_e32 v113, 37, v0
	s_movk_i32 s5, 0x288
	s_mov_b32 s1, 0
	s_delay_alu instid0(VALU_DEP_2)
	v_add_nc_u32_e32 v112, 0x128, v112
.LBB107_65:                             ; =>This Inner Loop Header: Depth=1
	scratch_load_b64 v[114:115], v112, off
	v_dual_mov_b32 v116, s5 :: v_dual_add_nc_u32 v113, -1, v113
	v_add_nc_u32_e32 v112, 8, v112
	s_add_i32 s5, s5, 8
	ds_load_b64 v[116:117], v116
	v_cmp_eq_u32_e32 vcc_lo, 0, v113
	s_or_b32 s1, vcc_lo, s1
	s_waitcnt vmcnt(0) lgkmcnt(0)
	v_fma_f64 v[89:90], v[114:115], v[116:117], v[89:90]
	s_and_not1_b32 exec_lo, exec_lo, s1
	s_cbranch_execnz .LBB107_65
; %bb.66:
	s_or_b32 exec_lo, exec_lo, s1
.LBB107_67:
	s_delay_alu instid0(SALU_CYCLE_1)
	s_or_b32 exec_lo, exec_lo, s4
	v_mov_b32_e32 v112, 0
	ds_load_b64 v[112:113], v112 offset:288
	s_waitcnt lgkmcnt(0)
	v_mul_f64 v[89:90], v[89:90], v[112:113]
	scratch_store_b64 off, v[89:90], off offset:288
.LBB107_68:
	s_or_b32 exec_lo, exec_lo, s3
	scratch_load_b64 v[89:90], off, off offset:280
	v_cmp_lt_u32_e64 s1, 35, v0
	s_waitcnt vmcnt(0)
	ds_store_b64 v92, v[89:90]
	s_waitcnt lgkmcnt(0)
	s_waitcnt_vscnt null, 0x0
	s_barrier
	buffer_gl0_inv
	s_and_saveexec_b32 s3, s1
	s_cbranch_execz .LBB107_78
; %bb.69:
	s_and_not1_b32 vcc_lo, exec_lo, s2
	s_cbranch_vccnz .LBB107_71
; %bb.70:
	scratch_load_b64 v[89:90], v93, off
	ds_load_b64 v[112:113], v92
	s_waitcnt vmcnt(0) lgkmcnt(0)
	v_mul_f64 v[89:90], v[89:90], v[112:113]
	s_cbranch_execz .LBB107_72
	s_branch .LBB107_73
.LBB107_71:
                                        ; implicit-def: $vgpr89_vgpr90
.LBB107_72:
	ds_load_b64 v[89:90], v92
.LBB107_73:
	s_and_saveexec_b32 s4, s0
	s_cbranch_execz .LBB107_77
; %bb.74:
	v_subrev_nc_u32_e32 v112, 36, v0
	s_movk_i32 s5, 0x280
	s_mov_b32 s0, 0
.LBB107_75:                             ; =>This Inner Loop Header: Depth=1
	scratch_load_b64 v[113:114], v111, off
	v_dual_mov_b32 v115, s5 :: v_dual_add_nc_u32 v112, -1, v112
	v_add_nc_u32_e32 v111, 8, v111
	s_add_i32 s5, s5, 8
	ds_load_b64 v[115:116], v115
	v_cmp_eq_u32_e32 vcc_lo, 0, v112
	s_or_b32 s0, vcc_lo, s0
	s_waitcnt vmcnt(0) lgkmcnt(0)
	v_fma_f64 v[89:90], v[113:114], v[115:116], v[89:90]
	s_and_not1_b32 exec_lo, exec_lo, s0
	s_cbranch_execnz .LBB107_75
; %bb.76:
	s_or_b32 exec_lo, exec_lo, s0
.LBB107_77:
	s_delay_alu instid0(SALU_CYCLE_1)
	s_or_b32 exec_lo, exec_lo, s4
	v_mov_b32_e32 v111, 0
	ds_load_b64 v[111:112], v111 offset:280
	s_waitcnt lgkmcnt(0)
	v_mul_f64 v[89:90], v[89:90], v[111:112]
	scratch_store_b64 off, v[89:90], off offset:280
.LBB107_78:
	s_or_b32 exec_lo, exec_lo, s3
	scratch_load_b64 v[89:90], off, off offset:272
	v_cmp_lt_u32_e64 s0, 34, v0
	s_waitcnt vmcnt(0)
	ds_store_b64 v92, v[89:90]
	s_waitcnt lgkmcnt(0)
	s_waitcnt_vscnt null, 0x0
	s_barrier
	buffer_gl0_inv
	s_and_saveexec_b32 s3, s0
	s_cbranch_execz .LBB107_88
; %bb.79:
	s_and_not1_b32 vcc_lo, exec_lo, s2
	s_cbranch_vccnz .LBB107_81
; %bb.80:
	scratch_load_b64 v[89:90], v93, off
	ds_load_b64 v[111:112], v92
	s_waitcnt vmcnt(0) lgkmcnt(0)
	v_mul_f64 v[89:90], v[89:90], v[111:112]
	s_cbranch_execz .LBB107_82
	s_branch .LBB107_83
.LBB107_81:
                                        ; implicit-def: $vgpr89_vgpr90
.LBB107_82:
	ds_load_b64 v[89:90], v92
.LBB107_83:
	s_and_saveexec_b32 s4, s1
	s_cbranch_execz .LBB107_87
; %bb.84:
	v_mov_b32_e32 v111, 0
	v_subrev_nc_u32_e32 v112, 35, v0
	s_movk_i32 s5, 0x278
	s_mov_b32 s1, 0
	s_delay_alu instid0(VALU_DEP_2)
	v_add_nc_u32_e32 v111, 0x118, v111
.LBB107_85:                             ; =>This Inner Loop Header: Depth=1
	scratch_load_b64 v[113:114], v111, off
	v_dual_mov_b32 v115, s5 :: v_dual_add_nc_u32 v112, -1, v112
	v_add_nc_u32_e32 v111, 8, v111
	s_add_i32 s5, s5, 8
	ds_load_b64 v[115:116], v115
	v_cmp_eq_u32_e32 vcc_lo, 0, v112
	s_or_b32 s1, vcc_lo, s1
	s_waitcnt vmcnt(0) lgkmcnt(0)
	v_fma_f64 v[89:90], v[113:114], v[115:116], v[89:90]
	s_and_not1_b32 exec_lo, exec_lo, s1
	s_cbranch_execnz .LBB107_85
; %bb.86:
	s_or_b32 exec_lo, exec_lo, s1
.LBB107_87:
	s_delay_alu instid0(SALU_CYCLE_1)
	s_or_b32 exec_lo, exec_lo, s4
	v_mov_b32_e32 v111, 0
	ds_load_b64 v[111:112], v111 offset:272
	s_waitcnt lgkmcnt(0)
	v_mul_f64 v[89:90], v[89:90], v[111:112]
	scratch_store_b64 off, v[89:90], off offset:272
.LBB107_88:
	s_or_b32 exec_lo, exec_lo, s3
	scratch_load_b64 v[89:90], off, off offset:264
	v_cmp_lt_u32_e64 s1, 33, v0
	s_waitcnt vmcnt(0)
	ds_store_b64 v92, v[89:90]
	s_waitcnt lgkmcnt(0)
	s_waitcnt_vscnt null, 0x0
	s_barrier
	buffer_gl0_inv
	s_and_saveexec_b32 s3, s1
	s_cbranch_execz .LBB107_98
; %bb.89:
	s_and_not1_b32 vcc_lo, exec_lo, s2
	s_cbranch_vccnz .LBB107_91
; %bb.90:
	scratch_load_b64 v[89:90], v93, off
	ds_load_b64 v[111:112], v92
	s_waitcnt vmcnt(0) lgkmcnt(0)
	v_mul_f64 v[89:90], v[89:90], v[111:112]
	s_cbranch_execz .LBB107_92
	s_branch .LBB107_93
.LBB107_91:
                                        ; implicit-def: $vgpr89_vgpr90
.LBB107_92:
	ds_load_b64 v[89:90], v92
.LBB107_93:
	s_and_saveexec_b32 s4, s0
	s_cbranch_execz .LBB107_97
; %bb.94:
	v_subrev_nc_u32_e32 v111, 34, v0
	s_movk_i32 s5, 0x270
	s_mov_b32 s0, 0
.LBB107_95:                             ; =>This Inner Loop Header: Depth=1
	scratch_load_b64 v[112:113], v110, off
	v_dual_mov_b32 v114, s5 :: v_dual_add_nc_u32 v111, -1, v111
	v_add_nc_u32_e32 v110, 8, v110
	s_add_i32 s5, s5, 8
	ds_load_b64 v[114:115], v114
	v_cmp_eq_u32_e32 vcc_lo, 0, v111
	s_or_b32 s0, vcc_lo, s0
	s_waitcnt vmcnt(0) lgkmcnt(0)
	v_fma_f64 v[89:90], v[112:113], v[114:115], v[89:90]
	s_and_not1_b32 exec_lo, exec_lo, s0
	s_cbranch_execnz .LBB107_95
; %bb.96:
	s_or_b32 exec_lo, exec_lo, s0
.LBB107_97:
	s_delay_alu instid0(SALU_CYCLE_1)
	s_or_b32 exec_lo, exec_lo, s4
	v_mov_b32_e32 v110, 0
	ds_load_b64 v[110:111], v110 offset:264
	s_waitcnt lgkmcnt(0)
	v_mul_f64 v[89:90], v[89:90], v[110:111]
	scratch_store_b64 off, v[89:90], off offset:264
.LBB107_98:
	s_or_b32 exec_lo, exec_lo, s3
	scratch_load_b64 v[89:90], off, off offset:256
	v_cmp_lt_u32_e64 s0, 32, v0
	s_waitcnt vmcnt(0)
	ds_store_b64 v92, v[89:90]
	s_waitcnt lgkmcnt(0)
	s_waitcnt_vscnt null, 0x0
	s_barrier
	buffer_gl0_inv
	s_and_saveexec_b32 s3, s0
	s_cbranch_execz .LBB107_108
; %bb.99:
	s_and_not1_b32 vcc_lo, exec_lo, s2
	s_cbranch_vccnz .LBB107_101
; %bb.100:
	scratch_load_b64 v[89:90], v93, off
	ds_load_b64 v[110:111], v92
	s_waitcnt vmcnt(0) lgkmcnt(0)
	v_mul_f64 v[89:90], v[89:90], v[110:111]
	s_cbranch_execz .LBB107_102
	s_branch .LBB107_103
.LBB107_101:
                                        ; implicit-def: $vgpr89_vgpr90
.LBB107_102:
	ds_load_b64 v[89:90], v92
.LBB107_103:
	s_and_saveexec_b32 s4, s1
	s_cbranch_execz .LBB107_107
; %bb.104:
	v_mov_b32_e32 v110, 0
	v_subrev_nc_u32_e32 v111, 33, v0
	s_movk_i32 s5, 0x268
	s_mov_b32 s1, 0
	s_delay_alu instid0(VALU_DEP_2)
	v_add_nc_u32_e32 v110, 0x108, v110
.LBB107_105:                            ; =>This Inner Loop Header: Depth=1
	scratch_load_b64 v[112:113], v110, off
	v_dual_mov_b32 v114, s5 :: v_dual_add_nc_u32 v111, -1, v111
	v_add_nc_u32_e32 v110, 8, v110
	s_add_i32 s5, s5, 8
	ds_load_b64 v[114:115], v114
	v_cmp_eq_u32_e32 vcc_lo, 0, v111
	s_or_b32 s1, vcc_lo, s1
	s_waitcnt vmcnt(0) lgkmcnt(0)
	v_fma_f64 v[89:90], v[112:113], v[114:115], v[89:90]
	s_and_not1_b32 exec_lo, exec_lo, s1
	s_cbranch_execnz .LBB107_105
; %bb.106:
	s_or_b32 exec_lo, exec_lo, s1
.LBB107_107:
	s_delay_alu instid0(SALU_CYCLE_1)
	s_or_b32 exec_lo, exec_lo, s4
	v_mov_b32_e32 v110, 0
	ds_load_b64 v[110:111], v110 offset:256
	s_waitcnt lgkmcnt(0)
	v_mul_f64 v[89:90], v[89:90], v[110:111]
	scratch_store_b64 off, v[89:90], off offset:256
.LBB107_108:
	s_or_b32 exec_lo, exec_lo, s3
	scratch_load_b64 v[89:90], off, off offset:248
	v_cmp_lt_u32_e64 s1, 31, v0
	s_waitcnt vmcnt(0)
	ds_store_b64 v92, v[89:90]
	s_waitcnt lgkmcnt(0)
	s_waitcnt_vscnt null, 0x0
	s_barrier
	buffer_gl0_inv
	s_and_saveexec_b32 s3, s1
	s_cbranch_execz .LBB107_118
; %bb.109:
	s_and_not1_b32 vcc_lo, exec_lo, s2
	s_cbranch_vccnz .LBB107_111
; %bb.110:
	scratch_load_b64 v[89:90], v93, off
	ds_load_b64 v[110:111], v92
	s_waitcnt vmcnt(0) lgkmcnt(0)
	v_mul_f64 v[89:90], v[89:90], v[110:111]
	s_cbranch_execz .LBB107_112
	s_branch .LBB107_113
.LBB107_111:
                                        ; implicit-def: $vgpr89_vgpr90
.LBB107_112:
	ds_load_b64 v[89:90], v92
.LBB107_113:
	s_and_saveexec_b32 s4, s0
	s_cbranch_execz .LBB107_117
; %bb.114:
	v_subrev_nc_u32_e32 v110, 32, v0
	s_movk_i32 s5, 0x260
	s_mov_b32 s0, 0
.LBB107_115:                            ; =>This Inner Loop Header: Depth=1
	scratch_load_b64 v[111:112], v109, off
	v_dual_mov_b32 v113, s5 :: v_dual_add_nc_u32 v110, -1, v110
	v_add_nc_u32_e32 v109, 8, v109
	s_add_i32 s5, s5, 8
	ds_load_b64 v[113:114], v113
	v_cmp_eq_u32_e32 vcc_lo, 0, v110
	s_or_b32 s0, vcc_lo, s0
	s_waitcnt vmcnt(0) lgkmcnt(0)
	v_fma_f64 v[89:90], v[111:112], v[113:114], v[89:90]
	s_and_not1_b32 exec_lo, exec_lo, s0
	s_cbranch_execnz .LBB107_115
; %bb.116:
	s_or_b32 exec_lo, exec_lo, s0
.LBB107_117:
	s_delay_alu instid0(SALU_CYCLE_1)
	s_or_b32 exec_lo, exec_lo, s4
	v_mov_b32_e32 v109, 0
	ds_load_b64 v[109:110], v109 offset:248
	s_waitcnt lgkmcnt(0)
	v_mul_f64 v[89:90], v[89:90], v[109:110]
	scratch_store_b64 off, v[89:90], off offset:248
.LBB107_118:
	s_or_b32 exec_lo, exec_lo, s3
	scratch_load_b64 v[89:90], off, off offset:240
	v_cmp_lt_u32_e64 s0, 30, v0
	s_waitcnt vmcnt(0)
	ds_store_b64 v92, v[89:90]
	s_waitcnt lgkmcnt(0)
	s_waitcnt_vscnt null, 0x0
	s_barrier
	buffer_gl0_inv
	s_and_saveexec_b32 s3, s0
	s_cbranch_execz .LBB107_128
; %bb.119:
	s_and_not1_b32 vcc_lo, exec_lo, s2
	s_cbranch_vccnz .LBB107_121
; %bb.120:
	scratch_load_b64 v[89:90], v93, off
	ds_load_b64 v[109:110], v92
	s_waitcnt vmcnt(0) lgkmcnt(0)
	v_mul_f64 v[89:90], v[89:90], v[109:110]
	s_cbranch_execz .LBB107_122
	s_branch .LBB107_123
.LBB107_121:
                                        ; implicit-def: $vgpr89_vgpr90
.LBB107_122:
	ds_load_b64 v[89:90], v92
.LBB107_123:
	s_and_saveexec_b32 s4, s1
	s_cbranch_execz .LBB107_127
; %bb.124:
	v_mov_b32_e32 v109, 0
	v_subrev_nc_u32_e32 v110, 31, v0
	s_movk_i32 s5, 0x258
	s_mov_b32 s1, 0
	s_delay_alu instid0(VALU_DEP_2)
	v_add_nc_u32_e32 v109, 0xf8, v109
.LBB107_125:                            ; =>This Inner Loop Header: Depth=1
	scratch_load_b64 v[111:112], v109, off
	v_dual_mov_b32 v113, s5 :: v_dual_add_nc_u32 v110, -1, v110
	v_add_nc_u32_e32 v109, 8, v109
	s_add_i32 s5, s5, 8
	ds_load_b64 v[113:114], v113
	v_cmp_eq_u32_e32 vcc_lo, 0, v110
	s_or_b32 s1, vcc_lo, s1
	s_waitcnt vmcnt(0) lgkmcnt(0)
	v_fma_f64 v[89:90], v[111:112], v[113:114], v[89:90]
	s_and_not1_b32 exec_lo, exec_lo, s1
	s_cbranch_execnz .LBB107_125
; %bb.126:
	s_or_b32 exec_lo, exec_lo, s1
.LBB107_127:
	s_delay_alu instid0(SALU_CYCLE_1)
	s_or_b32 exec_lo, exec_lo, s4
	v_mov_b32_e32 v109, 0
	ds_load_b64 v[109:110], v109 offset:240
	s_waitcnt lgkmcnt(0)
	v_mul_f64 v[89:90], v[89:90], v[109:110]
	scratch_store_b64 off, v[89:90], off offset:240
.LBB107_128:
	s_or_b32 exec_lo, exec_lo, s3
	scratch_load_b64 v[89:90], off, off offset:232
	v_cmp_lt_u32_e64 s1, 29, v0
	s_waitcnt vmcnt(0)
	ds_store_b64 v92, v[89:90]
	s_waitcnt lgkmcnt(0)
	s_waitcnt_vscnt null, 0x0
	s_barrier
	buffer_gl0_inv
	s_and_saveexec_b32 s3, s1
	s_cbranch_execz .LBB107_138
; %bb.129:
	s_and_not1_b32 vcc_lo, exec_lo, s2
	s_cbranch_vccnz .LBB107_131
; %bb.130:
	scratch_load_b64 v[89:90], v93, off
	ds_load_b64 v[109:110], v92
	s_waitcnt vmcnt(0) lgkmcnt(0)
	v_mul_f64 v[89:90], v[89:90], v[109:110]
	s_cbranch_execz .LBB107_132
	s_branch .LBB107_133
.LBB107_131:
                                        ; implicit-def: $vgpr89_vgpr90
.LBB107_132:
	ds_load_b64 v[89:90], v92
.LBB107_133:
	s_and_saveexec_b32 s4, s0
	s_cbranch_execz .LBB107_137
; %bb.134:
	v_subrev_nc_u32_e32 v109, 30, v0
	s_movk_i32 s5, 0x250
	s_mov_b32 s0, 0
.LBB107_135:                            ; =>This Inner Loop Header: Depth=1
	scratch_load_b64 v[110:111], v108, off
	v_dual_mov_b32 v112, s5 :: v_dual_add_nc_u32 v109, -1, v109
	v_add_nc_u32_e32 v108, 8, v108
	s_add_i32 s5, s5, 8
	ds_load_b64 v[112:113], v112
	v_cmp_eq_u32_e32 vcc_lo, 0, v109
	s_or_b32 s0, vcc_lo, s0
	s_waitcnt vmcnt(0) lgkmcnt(0)
	v_fma_f64 v[89:90], v[110:111], v[112:113], v[89:90]
	s_and_not1_b32 exec_lo, exec_lo, s0
	s_cbranch_execnz .LBB107_135
; %bb.136:
	s_or_b32 exec_lo, exec_lo, s0
.LBB107_137:
	s_delay_alu instid0(SALU_CYCLE_1)
	s_or_b32 exec_lo, exec_lo, s4
	v_mov_b32_e32 v108, 0
	ds_load_b64 v[108:109], v108 offset:232
	s_waitcnt lgkmcnt(0)
	v_mul_f64 v[89:90], v[89:90], v[108:109]
	scratch_store_b64 off, v[89:90], off offset:232
.LBB107_138:
	s_or_b32 exec_lo, exec_lo, s3
	scratch_load_b64 v[89:90], off, off offset:224
	v_cmp_lt_u32_e64 s0, 28, v0
	s_waitcnt vmcnt(0)
	ds_store_b64 v92, v[89:90]
	s_waitcnt lgkmcnt(0)
	s_waitcnt_vscnt null, 0x0
	s_barrier
	buffer_gl0_inv
	s_and_saveexec_b32 s3, s0
	s_cbranch_execz .LBB107_148
; %bb.139:
	s_and_not1_b32 vcc_lo, exec_lo, s2
	s_cbranch_vccnz .LBB107_141
; %bb.140:
	scratch_load_b64 v[89:90], v93, off
	ds_load_b64 v[108:109], v92
	s_waitcnt vmcnt(0) lgkmcnt(0)
	v_mul_f64 v[89:90], v[89:90], v[108:109]
	s_cbranch_execz .LBB107_142
	s_branch .LBB107_143
.LBB107_141:
                                        ; implicit-def: $vgpr89_vgpr90
.LBB107_142:
	ds_load_b64 v[89:90], v92
.LBB107_143:
	s_and_saveexec_b32 s4, s1
	s_cbranch_execz .LBB107_147
; %bb.144:
	v_mov_b32_e32 v108, 0
	v_subrev_nc_u32_e32 v109, 29, v0
	s_movk_i32 s5, 0x248
	s_mov_b32 s1, 0
	s_delay_alu instid0(VALU_DEP_2)
	v_add_nc_u32_e32 v108, 0xe8, v108
.LBB107_145:                            ; =>This Inner Loop Header: Depth=1
	scratch_load_b64 v[110:111], v108, off
	v_dual_mov_b32 v112, s5 :: v_dual_add_nc_u32 v109, -1, v109
	v_add_nc_u32_e32 v108, 8, v108
	s_add_i32 s5, s5, 8
	ds_load_b64 v[112:113], v112
	v_cmp_eq_u32_e32 vcc_lo, 0, v109
	s_or_b32 s1, vcc_lo, s1
	s_waitcnt vmcnt(0) lgkmcnt(0)
	v_fma_f64 v[89:90], v[110:111], v[112:113], v[89:90]
	s_and_not1_b32 exec_lo, exec_lo, s1
	s_cbranch_execnz .LBB107_145
; %bb.146:
	s_or_b32 exec_lo, exec_lo, s1
.LBB107_147:
	s_delay_alu instid0(SALU_CYCLE_1)
	s_or_b32 exec_lo, exec_lo, s4
	v_mov_b32_e32 v108, 0
	ds_load_b64 v[108:109], v108 offset:224
	s_waitcnt lgkmcnt(0)
	v_mul_f64 v[89:90], v[89:90], v[108:109]
	scratch_store_b64 off, v[89:90], off offset:224
.LBB107_148:
	s_or_b32 exec_lo, exec_lo, s3
	scratch_load_b64 v[89:90], off, off offset:216
	v_cmp_lt_u32_e64 s1, 27, v0
	s_waitcnt vmcnt(0)
	ds_store_b64 v92, v[89:90]
	s_waitcnt lgkmcnt(0)
	s_waitcnt_vscnt null, 0x0
	s_barrier
	buffer_gl0_inv
	s_and_saveexec_b32 s3, s1
	s_cbranch_execz .LBB107_158
; %bb.149:
	s_and_not1_b32 vcc_lo, exec_lo, s2
	s_cbranch_vccnz .LBB107_151
; %bb.150:
	scratch_load_b64 v[89:90], v93, off
	ds_load_b64 v[108:109], v92
	s_waitcnt vmcnt(0) lgkmcnt(0)
	v_mul_f64 v[89:90], v[89:90], v[108:109]
	s_cbranch_execz .LBB107_152
	s_branch .LBB107_153
.LBB107_151:
                                        ; implicit-def: $vgpr89_vgpr90
.LBB107_152:
	ds_load_b64 v[89:90], v92
.LBB107_153:
	s_and_saveexec_b32 s4, s0
	s_cbranch_execz .LBB107_157
; %bb.154:
	v_subrev_nc_u32_e32 v108, 28, v0
	s_movk_i32 s5, 0x240
	s_mov_b32 s0, 0
.LBB107_155:                            ; =>This Inner Loop Header: Depth=1
	scratch_load_b64 v[109:110], v107, off
	v_dual_mov_b32 v111, s5 :: v_dual_add_nc_u32 v108, -1, v108
	v_add_nc_u32_e32 v107, 8, v107
	s_add_i32 s5, s5, 8
	ds_load_b64 v[111:112], v111
	v_cmp_eq_u32_e32 vcc_lo, 0, v108
	s_or_b32 s0, vcc_lo, s0
	s_waitcnt vmcnt(0) lgkmcnt(0)
	v_fma_f64 v[89:90], v[109:110], v[111:112], v[89:90]
	s_and_not1_b32 exec_lo, exec_lo, s0
	s_cbranch_execnz .LBB107_155
; %bb.156:
	s_or_b32 exec_lo, exec_lo, s0
.LBB107_157:
	s_delay_alu instid0(SALU_CYCLE_1)
	s_or_b32 exec_lo, exec_lo, s4
	v_mov_b32_e32 v107, 0
	ds_load_b64 v[107:108], v107 offset:216
	s_waitcnt lgkmcnt(0)
	v_mul_f64 v[89:90], v[89:90], v[107:108]
	scratch_store_b64 off, v[89:90], off offset:216
.LBB107_158:
	s_or_b32 exec_lo, exec_lo, s3
	scratch_load_b64 v[89:90], off, off offset:208
	v_cmp_lt_u32_e64 s0, 26, v0
	s_waitcnt vmcnt(0)
	ds_store_b64 v92, v[89:90]
	s_waitcnt lgkmcnt(0)
	s_waitcnt_vscnt null, 0x0
	s_barrier
	buffer_gl0_inv
	s_and_saveexec_b32 s3, s0
	s_cbranch_execz .LBB107_168
; %bb.159:
	s_and_not1_b32 vcc_lo, exec_lo, s2
	s_cbranch_vccnz .LBB107_161
; %bb.160:
	scratch_load_b64 v[89:90], v93, off
	ds_load_b64 v[107:108], v92
	s_waitcnt vmcnt(0) lgkmcnt(0)
	v_mul_f64 v[89:90], v[89:90], v[107:108]
	s_cbranch_execz .LBB107_162
	s_branch .LBB107_163
.LBB107_161:
                                        ; implicit-def: $vgpr89_vgpr90
.LBB107_162:
	ds_load_b64 v[89:90], v92
.LBB107_163:
	s_and_saveexec_b32 s4, s1
	s_cbranch_execz .LBB107_167
; %bb.164:
	v_mov_b32_e32 v107, 0
	v_subrev_nc_u32_e32 v108, 27, v0
	s_movk_i32 s5, 0x238
	s_mov_b32 s1, 0
	s_delay_alu instid0(VALU_DEP_2)
	v_add_nc_u32_e32 v107, 0xd8, v107
.LBB107_165:                            ; =>This Inner Loop Header: Depth=1
	scratch_load_b64 v[109:110], v107, off
	v_dual_mov_b32 v111, s5 :: v_dual_add_nc_u32 v108, -1, v108
	v_add_nc_u32_e32 v107, 8, v107
	s_add_i32 s5, s5, 8
	ds_load_b64 v[111:112], v111
	v_cmp_eq_u32_e32 vcc_lo, 0, v108
	s_or_b32 s1, vcc_lo, s1
	s_waitcnt vmcnt(0) lgkmcnt(0)
	v_fma_f64 v[89:90], v[109:110], v[111:112], v[89:90]
	s_and_not1_b32 exec_lo, exec_lo, s1
	s_cbranch_execnz .LBB107_165
; %bb.166:
	s_or_b32 exec_lo, exec_lo, s1
.LBB107_167:
	s_delay_alu instid0(SALU_CYCLE_1)
	s_or_b32 exec_lo, exec_lo, s4
	v_mov_b32_e32 v107, 0
	ds_load_b64 v[107:108], v107 offset:208
	s_waitcnt lgkmcnt(0)
	v_mul_f64 v[89:90], v[89:90], v[107:108]
	scratch_store_b64 off, v[89:90], off offset:208
.LBB107_168:
	s_or_b32 exec_lo, exec_lo, s3
	scratch_load_b64 v[89:90], off, off offset:200
	v_cmp_lt_u32_e64 s1, 25, v0
	s_waitcnt vmcnt(0)
	ds_store_b64 v92, v[89:90]
	s_waitcnt lgkmcnt(0)
	s_waitcnt_vscnt null, 0x0
	s_barrier
	buffer_gl0_inv
	s_and_saveexec_b32 s3, s1
	s_cbranch_execz .LBB107_178
; %bb.169:
	s_and_not1_b32 vcc_lo, exec_lo, s2
	s_cbranch_vccnz .LBB107_171
; %bb.170:
	scratch_load_b64 v[89:90], v93, off
	ds_load_b64 v[107:108], v92
	s_waitcnt vmcnt(0) lgkmcnt(0)
	v_mul_f64 v[89:90], v[89:90], v[107:108]
	s_cbranch_execz .LBB107_172
	s_branch .LBB107_173
.LBB107_171:
                                        ; implicit-def: $vgpr89_vgpr90
.LBB107_172:
	ds_load_b64 v[89:90], v92
.LBB107_173:
	s_and_saveexec_b32 s4, s0
	s_cbranch_execz .LBB107_177
; %bb.174:
	v_subrev_nc_u32_e32 v107, 26, v0
	s_movk_i32 s5, 0x230
	s_mov_b32 s0, 0
.LBB107_175:                            ; =>This Inner Loop Header: Depth=1
	scratch_load_b64 v[108:109], v106, off
	v_dual_mov_b32 v110, s5 :: v_dual_add_nc_u32 v107, -1, v107
	v_add_nc_u32_e32 v106, 8, v106
	s_add_i32 s5, s5, 8
	ds_load_b64 v[110:111], v110
	v_cmp_eq_u32_e32 vcc_lo, 0, v107
	s_or_b32 s0, vcc_lo, s0
	s_waitcnt vmcnt(0) lgkmcnt(0)
	v_fma_f64 v[89:90], v[108:109], v[110:111], v[89:90]
	s_and_not1_b32 exec_lo, exec_lo, s0
	s_cbranch_execnz .LBB107_175
; %bb.176:
	s_or_b32 exec_lo, exec_lo, s0
.LBB107_177:
	s_delay_alu instid0(SALU_CYCLE_1)
	s_or_b32 exec_lo, exec_lo, s4
	v_mov_b32_e32 v106, 0
	ds_load_b64 v[106:107], v106 offset:200
	s_waitcnt lgkmcnt(0)
	v_mul_f64 v[89:90], v[89:90], v[106:107]
	scratch_store_b64 off, v[89:90], off offset:200
.LBB107_178:
	s_or_b32 exec_lo, exec_lo, s3
	scratch_load_b64 v[89:90], off, off offset:192
	v_cmp_lt_u32_e64 s0, 24, v0
	s_waitcnt vmcnt(0)
	ds_store_b64 v92, v[89:90]
	s_waitcnt lgkmcnt(0)
	s_waitcnt_vscnt null, 0x0
	s_barrier
	buffer_gl0_inv
	s_and_saveexec_b32 s3, s0
	s_cbranch_execz .LBB107_188
; %bb.179:
	s_and_not1_b32 vcc_lo, exec_lo, s2
	s_cbranch_vccnz .LBB107_181
; %bb.180:
	scratch_load_b64 v[89:90], v93, off
	ds_load_b64 v[106:107], v92
	s_waitcnt vmcnt(0) lgkmcnt(0)
	v_mul_f64 v[89:90], v[89:90], v[106:107]
	s_cbranch_execz .LBB107_182
	s_branch .LBB107_183
.LBB107_181:
                                        ; implicit-def: $vgpr89_vgpr90
.LBB107_182:
	ds_load_b64 v[89:90], v92
.LBB107_183:
	s_and_saveexec_b32 s4, s1
	s_cbranch_execz .LBB107_187
; %bb.184:
	v_mov_b32_e32 v106, 0
	v_subrev_nc_u32_e32 v107, 25, v0
	s_movk_i32 s5, 0x228
	s_mov_b32 s1, 0
	s_delay_alu instid0(VALU_DEP_2)
	v_add_nc_u32_e32 v106, 0xc8, v106
.LBB107_185:                            ; =>This Inner Loop Header: Depth=1
	scratch_load_b64 v[108:109], v106, off
	v_dual_mov_b32 v110, s5 :: v_dual_add_nc_u32 v107, -1, v107
	v_add_nc_u32_e32 v106, 8, v106
	s_add_i32 s5, s5, 8
	ds_load_b64 v[110:111], v110
	v_cmp_eq_u32_e32 vcc_lo, 0, v107
	s_or_b32 s1, vcc_lo, s1
	s_waitcnt vmcnt(0) lgkmcnt(0)
	v_fma_f64 v[89:90], v[108:109], v[110:111], v[89:90]
	s_and_not1_b32 exec_lo, exec_lo, s1
	s_cbranch_execnz .LBB107_185
; %bb.186:
	s_or_b32 exec_lo, exec_lo, s1
.LBB107_187:
	s_delay_alu instid0(SALU_CYCLE_1)
	s_or_b32 exec_lo, exec_lo, s4
	v_mov_b32_e32 v106, 0
	ds_load_b64 v[106:107], v106 offset:192
	s_waitcnt lgkmcnt(0)
	v_mul_f64 v[89:90], v[89:90], v[106:107]
	scratch_store_b64 off, v[89:90], off offset:192
.LBB107_188:
	s_or_b32 exec_lo, exec_lo, s3
	scratch_load_b64 v[89:90], off, off offset:184
	v_cmp_lt_u32_e64 s1, 23, v0
	s_waitcnt vmcnt(0)
	ds_store_b64 v92, v[89:90]
	s_waitcnt lgkmcnt(0)
	s_waitcnt_vscnt null, 0x0
	s_barrier
	buffer_gl0_inv
	s_and_saveexec_b32 s3, s1
	s_cbranch_execz .LBB107_198
; %bb.189:
	s_and_not1_b32 vcc_lo, exec_lo, s2
	s_cbranch_vccnz .LBB107_191
; %bb.190:
	scratch_load_b64 v[89:90], v93, off
	ds_load_b64 v[106:107], v92
	s_waitcnt vmcnt(0) lgkmcnt(0)
	v_mul_f64 v[89:90], v[89:90], v[106:107]
	s_cbranch_execz .LBB107_192
	s_branch .LBB107_193
.LBB107_191:
                                        ; implicit-def: $vgpr89_vgpr90
.LBB107_192:
	ds_load_b64 v[89:90], v92
.LBB107_193:
	s_and_saveexec_b32 s4, s0
	s_cbranch_execz .LBB107_197
; %bb.194:
	v_subrev_nc_u32_e32 v106, 24, v0
	s_movk_i32 s5, 0x220
	s_mov_b32 s0, 0
.LBB107_195:                            ; =>This Inner Loop Header: Depth=1
	scratch_load_b64 v[107:108], v105, off
	v_dual_mov_b32 v109, s5 :: v_dual_add_nc_u32 v106, -1, v106
	v_add_nc_u32_e32 v105, 8, v105
	s_add_i32 s5, s5, 8
	ds_load_b64 v[109:110], v109
	v_cmp_eq_u32_e32 vcc_lo, 0, v106
	s_or_b32 s0, vcc_lo, s0
	s_waitcnt vmcnt(0) lgkmcnt(0)
	v_fma_f64 v[89:90], v[107:108], v[109:110], v[89:90]
	s_and_not1_b32 exec_lo, exec_lo, s0
	s_cbranch_execnz .LBB107_195
; %bb.196:
	s_or_b32 exec_lo, exec_lo, s0
.LBB107_197:
	s_delay_alu instid0(SALU_CYCLE_1)
	s_or_b32 exec_lo, exec_lo, s4
	v_mov_b32_e32 v105, 0
	ds_load_b64 v[105:106], v105 offset:184
	s_waitcnt lgkmcnt(0)
	v_mul_f64 v[89:90], v[89:90], v[105:106]
	scratch_store_b64 off, v[89:90], off offset:184
.LBB107_198:
	s_or_b32 exec_lo, exec_lo, s3
	scratch_load_b64 v[89:90], off, off offset:176
	v_cmp_lt_u32_e64 s0, 22, v0
	s_waitcnt vmcnt(0)
	ds_store_b64 v92, v[89:90]
	s_waitcnt lgkmcnt(0)
	s_waitcnt_vscnt null, 0x0
	s_barrier
	buffer_gl0_inv
	s_and_saveexec_b32 s3, s0
	s_cbranch_execz .LBB107_208
; %bb.199:
	s_and_not1_b32 vcc_lo, exec_lo, s2
	s_cbranch_vccnz .LBB107_201
; %bb.200:
	scratch_load_b64 v[89:90], v93, off
	ds_load_b64 v[105:106], v92
	s_waitcnt vmcnt(0) lgkmcnt(0)
	v_mul_f64 v[89:90], v[89:90], v[105:106]
	s_cbranch_execz .LBB107_202
	s_branch .LBB107_203
.LBB107_201:
                                        ; implicit-def: $vgpr89_vgpr90
.LBB107_202:
	ds_load_b64 v[89:90], v92
.LBB107_203:
	s_and_saveexec_b32 s4, s1
	s_cbranch_execz .LBB107_207
; %bb.204:
	v_mov_b32_e32 v105, 0
	v_subrev_nc_u32_e32 v106, 23, v0
	s_movk_i32 s5, 0x218
	s_mov_b32 s1, 0
	s_delay_alu instid0(VALU_DEP_2)
	v_add_nc_u32_e32 v105, 0xb8, v105
.LBB107_205:                            ; =>This Inner Loop Header: Depth=1
	scratch_load_b64 v[107:108], v105, off
	v_dual_mov_b32 v109, s5 :: v_dual_add_nc_u32 v106, -1, v106
	v_add_nc_u32_e32 v105, 8, v105
	s_add_i32 s5, s5, 8
	ds_load_b64 v[109:110], v109
	v_cmp_eq_u32_e32 vcc_lo, 0, v106
	s_or_b32 s1, vcc_lo, s1
	s_waitcnt vmcnt(0) lgkmcnt(0)
	v_fma_f64 v[89:90], v[107:108], v[109:110], v[89:90]
	s_and_not1_b32 exec_lo, exec_lo, s1
	s_cbranch_execnz .LBB107_205
; %bb.206:
	s_or_b32 exec_lo, exec_lo, s1
.LBB107_207:
	s_delay_alu instid0(SALU_CYCLE_1)
	s_or_b32 exec_lo, exec_lo, s4
	v_mov_b32_e32 v105, 0
	ds_load_b64 v[105:106], v105 offset:176
	s_waitcnt lgkmcnt(0)
	v_mul_f64 v[89:90], v[89:90], v[105:106]
	scratch_store_b64 off, v[89:90], off offset:176
.LBB107_208:
	s_or_b32 exec_lo, exec_lo, s3
	scratch_load_b64 v[89:90], off, off offset:168
	v_cmp_lt_u32_e64 s1, 21, v0
	s_waitcnt vmcnt(0)
	ds_store_b64 v92, v[89:90]
	s_waitcnt lgkmcnt(0)
	s_waitcnt_vscnt null, 0x0
	s_barrier
	buffer_gl0_inv
	s_and_saveexec_b32 s3, s1
	s_cbranch_execz .LBB107_218
; %bb.209:
	s_and_not1_b32 vcc_lo, exec_lo, s2
	s_cbranch_vccnz .LBB107_211
; %bb.210:
	scratch_load_b64 v[89:90], v93, off
	ds_load_b64 v[105:106], v92
	s_waitcnt vmcnt(0) lgkmcnt(0)
	v_mul_f64 v[89:90], v[89:90], v[105:106]
	s_cbranch_execz .LBB107_212
	s_branch .LBB107_213
.LBB107_211:
                                        ; implicit-def: $vgpr89_vgpr90
.LBB107_212:
	ds_load_b64 v[89:90], v92
.LBB107_213:
	s_and_saveexec_b32 s4, s0
	s_cbranch_execz .LBB107_217
; %bb.214:
	v_subrev_nc_u32_e32 v105, 22, v0
	s_movk_i32 s5, 0x210
	s_mov_b32 s0, 0
.LBB107_215:                            ; =>This Inner Loop Header: Depth=1
	scratch_load_b64 v[106:107], v104, off
	v_dual_mov_b32 v108, s5 :: v_dual_add_nc_u32 v105, -1, v105
	v_add_nc_u32_e32 v104, 8, v104
	s_add_i32 s5, s5, 8
	ds_load_b64 v[108:109], v108
	v_cmp_eq_u32_e32 vcc_lo, 0, v105
	s_or_b32 s0, vcc_lo, s0
	s_waitcnt vmcnt(0) lgkmcnt(0)
	v_fma_f64 v[89:90], v[106:107], v[108:109], v[89:90]
	s_and_not1_b32 exec_lo, exec_lo, s0
	s_cbranch_execnz .LBB107_215
; %bb.216:
	s_or_b32 exec_lo, exec_lo, s0
.LBB107_217:
	s_delay_alu instid0(SALU_CYCLE_1)
	s_or_b32 exec_lo, exec_lo, s4
	v_mov_b32_e32 v104, 0
	ds_load_b64 v[104:105], v104 offset:168
	s_waitcnt lgkmcnt(0)
	v_mul_f64 v[89:90], v[89:90], v[104:105]
	scratch_store_b64 off, v[89:90], off offset:168
.LBB107_218:
	s_or_b32 exec_lo, exec_lo, s3
	scratch_load_b64 v[89:90], off, off offset:160
	v_cmp_lt_u32_e64 s0, 20, v0
	s_waitcnt vmcnt(0)
	ds_store_b64 v92, v[89:90]
	s_waitcnt lgkmcnt(0)
	s_waitcnt_vscnt null, 0x0
	s_barrier
	buffer_gl0_inv
	s_and_saveexec_b32 s3, s0
	s_cbranch_execz .LBB107_228
; %bb.219:
	s_and_not1_b32 vcc_lo, exec_lo, s2
	s_cbranch_vccnz .LBB107_221
; %bb.220:
	scratch_load_b64 v[89:90], v93, off
	ds_load_b64 v[104:105], v92
	s_waitcnt vmcnt(0) lgkmcnt(0)
	v_mul_f64 v[89:90], v[89:90], v[104:105]
	s_cbranch_execz .LBB107_222
	s_branch .LBB107_223
.LBB107_221:
                                        ; implicit-def: $vgpr89_vgpr90
.LBB107_222:
	ds_load_b64 v[89:90], v92
.LBB107_223:
	s_and_saveexec_b32 s4, s1
	s_cbranch_execz .LBB107_227
; %bb.224:
	v_mov_b32_e32 v104, 0
	v_subrev_nc_u32_e32 v105, 21, v0
	s_movk_i32 s5, 0x208
	s_mov_b32 s1, 0
	s_delay_alu instid0(VALU_DEP_2)
	v_add_nc_u32_e32 v104, 0xa8, v104
.LBB107_225:                            ; =>This Inner Loop Header: Depth=1
	scratch_load_b64 v[106:107], v104, off
	v_dual_mov_b32 v108, s5 :: v_dual_add_nc_u32 v105, -1, v105
	v_add_nc_u32_e32 v104, 8, v104
	s_add_i32 s5, s5, 8
	ds_load_b64 v[108:109], v108
	v_cmp_eq_u32_e32 vcc_lo, 0, v105
	s_or_b32 s1, vcc_lo, s1
	s_waitcnt vmcnt(0) lgkmcnt(0)
	v_fma_f64 v[89:90], v[106:107], v[108:109], v[89:90]
	s_and_not1_b32 exec_lo, exec_lo, s1
	s_cbranch_execnz .LBB107_225
; %bb.226:
	s_or_b32 exec_lo, exec_lo, s1
.LBB107_227:
	s_delay_alu instid0(SALU_CYCLE_1)
	s_or_b32 exec_lo, exec_lo, s4
	v_mov_b32_e32 v104, 0
	ds_load_b64 v[104:105], v104 offset:160
	s_waitcnt lgkmcnt(0)
	v_mul_f64 v[89:90], v[89:90], v[104:105]
	scratch_store_b64 off, v[89:90], off offset:160
.LBB107_228:
	s_or_b32 exec_lo, exec_lo, s3
	scratch_load_b64 v[89:90], off, off offset:152
	v_cmp_lt_u32_e64 s1, 19, v0
	s_waitcnt vmcnt(0)
	ds_store_b64 v92, v[89:90]
	s_waitcnt lgkmcnt(0)
	s_waitcnt_vscnt null, 0x0
	s_barrier
	buffer_gl0_inv
	s_and_saveexec_b32 s3, s1
	s_cbranch_execz .LBB107_238
; %bb.229:
	s_and_not1_b32 vcc_lo, exec_lo, s2
	s_cbranch_vccnz .LBB107_231
; %bb.230:
	scratch_load_b64 v[89:90], v93, off
	ds_load_b64 v[104:105], v92
	s_waitcnt vmcnt(0) lgkmcnt(0)
	v_mul_f64 v[89:90], v[89:90], v[104:105]
	s_cbranch_execz .LBB107_232
	s_branch .LBB107_233
.LBB107_231:
                                        ; implicit-def: $vgpr89_vgpr90
.LBB107_232:
	ds_load_b64 v[89:90], v92
.LBB107_233:
	s_and_saveexec_b32 s4, s0
	s_cbranch_execz .LBB107_237
; %bb.234:
	v_subrev_nc_u32_e32 v104, 20, v0
	s_movk_i32 s5, 0x200
	s_mov_b32 s0, 0
.LBB107_235:                            ; =>This Inner Loop Header: Depth=1
	scratch_load_b64 v[105:106], v103, off
	v_dual_mov_b32 v107, s5 :: v_dual_add_nc_u32 v104, -1, v104
	v_add_nc_u32_e32 v103, 8, v103
	s_add_i32 s5, s5, 8
	ds_load_b64 v[107:108], v107
	v_cmp_eq_u32_e32 vcc_lo, 0, v104
	s_or_b32 s0, vcc_lo, s0
	s_waitcnt vmcnt(0) lgkmcnt(0)
	v_fma_f64 v[89:90], v[105:106], v[107:108], v[89:90]
	s_and_not1_b32 exec_lo, exec_lo, s0
	s_cbranch_execnz .LBB107_235
; %bb.236:
	s_or_b32 exec_lo, exec_lo, s0
.LBB107_237:
	s_delay_alu instid0(SALU_CYCLE_1)
	s_or_b32 exec_lo, exec_lo, s4
	v_mov_b32_e32 v103, 0
	ds_load_b64 v[103:104], v103 offset:152
	s_waitcnt lgkmcnt(0)
	v_mul_f64 v[89:90], v[89:90], v[103:104]
	scratch_store_b64 off, v[89:90], off offset:152
.LBB107_238:
	s_or_b32 exec_lo, exec_lo, s3
	scratch_load_b64 v[89:90], off, off offset:144
	v_cmp_lt_u32_e64 s0, 18, v0
	s_waitcnt vmcnt(0)
	ds_store_b64 v92, v[89:90]
	s_waitcnt lgkmcnt(0)
	s_waitcnt_vscnt null, 0x0
	s_barrier
	buffer_gl0_inv
	s_and_saveexec_b32 s3, s0
	s_cbranch_execz .LBB107_248
; %bb.239:
	s_and_not1_b32 vcc_lo, exec_lo, s2
	s_cbranch_vccnz .LBB107_241
; %bb.240:
	scratch_load_b64 v[89:90], v93, off
	ds_load_b64 v[103:104], v92
	s_waitcnt vmcnt(0) lgkmcnt(0)
	v_mul_f64 v[89:90], v[89:90], v[103:104]
	s_cbranch_execz .LBB107_242
	s_branch .LBB107_243
.LBB107_241:
                                        ; implicit-def: $vgpr89_vgpr90
.LBB107_242:
	ds_load_b64 v[89:90], v92
.LBB107_243:
	s_and_saveexec_b32 s4, s1
	s_cbranch_execz .LBB107_247
; %bb.244:
	v_mov_b32_e32 v103, 0
	v_subrev_nc_u32_e32 v104, 19, v0
	s_movk_i32 s5, 0x1f8
	s_mov_b32 s1, 0
	s_delay_alu instid0(VALU_DEP_2)
	v_add_nc_u32_e32 v103, 0x98, v103
.LBB107_245:                            ; =>This Inner Loop Header: Depth=1
	scratch_load_b64 v[105:106], v103, off
	v_dual_mov_b32 v107, s5 :: v_dual_add_nc_u32 v104, -1, v104
	v_add_nc_u32_e32 v103, 8, v103
	s_add_i32 s5, s5, 8
	ds_load_b64 v[107:108], v107
	v_cmp_eq_u32_e32 vcc_lo, 0, v104
	s_or_b32 s1, vcc_lo, s1
	s_waitcnt vmcnt(0) lgkmcnt(0)
	v_fma_f64 v[89:90], v[105:106], v[107:108], v[89:90]
	s_and_not1_b32 exec_lo, exec_lo, s1
	s_cbranch_execnz .LBB107_245
; %bb.246:
	s_or_b32 exec_lo, exec_lo, s1
.LBB107_247:
	s_delay_alu instid0(SALU_CYCLE_1)
	s_or_b32 exec_lo, exec_lo, s4
	v_mov_b32_e32 v103, 0
	ds_load_b64 v[103:104], v103 offset:144
	s_waitcnt lgkmcnt(0)
	v_mul_f64 v[89:90], v[89:90], v[103:104]
	scratch_store_b64 off, v[89:90], off offset:144
.LBB107_248:
	s_or_b32 exec_lo, exec_lo, s3
	scratch_load_b64 v[89:90], off, off offset:136
	v_cmp_lt_u32_e64 s1, 17, v0
	s_waitcnt vmcnt(0)
	ds_store_b64 v92, v[89:90]
	s_waitcnt lgkmcnt(0)
	s_waitcnt_vscnt null, 0x0
	s_barrier
	buffer_gl0_inv
	s_and_saveexec_b32 s3, s1
	s_cbranch_execz .LBB107_258
; %bb.249:
	s_and_not1_b32 vcc_lo, exec_lo, s2
	s_cbranch_vccnz .LBB107_251
; %bb.250:
	scratch_load_b64 v[89:90], v93, off
	ds_load_b64 v[103:104], v92
	s_waitcnt vmcnt(0) lgkmcnt(0)
	v_mul_f64 v[89:90], v[89:90], v[103:104]
	s_cbranch_execz .LBB107_252
	s_branch .LBB107_253
.LBB107_251:
                                        ; implicit-def: $vgpr89_vgpr90
.LBB107_252:
	ds_load_b64 v[89:90], v92
.LBB107_253:
	s_and_saveexec_b32 s4, s0
	s_cbranch_execz .LBB107_257
; %bb.254:
	v_subrev_nc_u32_e32 v103, 18, v0
	s_movk_i32 s5, 0x1f0
	s_mov_b32 s0, 0
.LBB107_255:                            ; =>This Inner Loop Header: Depth=1
	scratch_load_b64 v[104:105], v102, off
	v_dual_mov_b32 v106, s5 :: v_dual_add_nc_u32 v103, -1, v103
	v_add_nc_u32_e32 v102, 8, v102
	s_add_i32 s5, s5, 8
	ds_load_b64 v[106:107], v106
	v_cmp_eq_u32_e32 vcc_lo, 0, v103
	s_or_b32 s0, vcc_lo, s0
	s_waitcnt vmcnt(0) lgkmcnt(0)
	v_fma_f64 v[89:90], v[104:105], v[106:107], v[89:90]
	s_and_not1_b32 exec_lo, exec_lo, s0
	s_cbranch_execnz .LBB107_255
; %bb.256:
	s_or_b32 exec_lo, exec_lo, s0
.LBB107_257:
	s_delay_alu instid0(SALU_CYCLE_1)
	s_or_b32 exec_lo, exec_lo, s4
	v_mov_b32_e32 v102, 0
	ds_load_b64 v[102:103], v102 offset:136
	s_waitcnt lgkmcnt(0)
	v_mul_f64 v[89:90], v[89:90], v[102:103]
	scratch_store_b64 off, v[89:90], off offset:136
.LBB107_258:
	s_or_b32 exec_lo, exec_lo, s3
	scratch_load_b64 v[89:90], off, off offset:128
	v_cmp_lt_u32_e64 s0, 16, v0
	s_waitcnt vmcnt(0)
	ds_store_b64 v92, v[89:90]
	s_waitcnt lgkmcnt(0)
	s_waitcnt_vscnt null, 0x0
	s_barrier
	buffer_gl0_inv
	s_and_saveexec_b32 s3, s0
	s_cbranch_execz .LBB107_268
; %bb.259:
	s_and_not1_b32 vcc_lo, exec_lo, s2
	s_cbranch_vccnz .LBB107_261
; %bb.260:
	scratch_load_b64 v[89:90], v93, off
	ds_load_b64 v[102:103], v92
	s_waitcnt vmcnt(0) lgkmcnt(0)
	v_mul_f64 v[89:90], v[89:90], v[102:103]
	s_cbranch_execz .LBB107_262
	s_branch .LBB107_263
.LBB107_261:
                                        ; implicit-def: $vgpr89_vgpr90
.LBB107_262:
	ds_load_b64 v[89:90], v92
.LBB107_263:
	s_and_saveexec_b32 s4, s1
	s_cbranch_execz .LBB107_267
; %bb.264:
	v_mov_b32_e32 v102, 0
	v_subrev_nc_u32_e32 v103, 17, v0
	s_movk_i32 s5, 0x1e8
	s_mov_b32 s1, 0
	s_delay_alu instid0(VALU_DEP_2)
	v_add_nc_u32_e32 v102, 0x88, v102
.LBB107_265:                            ; =>This Inner Loop Header: Depth=1
	scratch_load_b64 v[104:105], v102, off
	v_dual_mov_b32 v106, s5 :: v_dual_add_nc_u32 v103, -1, v103
	v_add_nc_u32_e32 v102, 8, v102
	s_add_i32 s5, s5, 8
	ds_load_b64 v[106:107], v106
	v_cmp_eq_u32_e32 vcc_lo, 0, v103
	s_or_b32 s1, vcc_lo, s1
	s_waitcnt vmcnt(0) lgkmcnt(0)
	v_fma_f64 v[89:90], v[104:105], v[106:107], v[89:90]
	s_and_not1_b32 exec_lo, exec_lo, s1
	s_cbranch_execnz .LBB107_265
; %bb.266:
	s_or_b32 exec_lo, exec_lo, s1
.LBB107_267:
	s_delay_alu instid0(SALU_CYCLE_1)
	s_or_b32 exec_lo, exec_lo, s4
	v_mov_b32_e32 v102, 0
	ds_load_b64 v[102:103], v102 offset:128
	s_waitcnt lgkmcnt(0)
	v_mul_f64 v[89:90], v[89:90], v[102:103]
	scratch_store_b64 off, v[89:90], off offset:128
.LBB107_268:
	s_or_b32 exec_lo, exec_lo, s3
	scratch_load_b64 v[89:90], off, off offset:120
	v_cmp_lt_u32_e64 s1, 15, v0
	s_waitcnt vmcnt(0)
	ds_store_b64 v92, v[89:90]
	s_waitcnt lgkmcnt(0)
	s_waitcnt_vscnt null, 0x0
	s_barrier
	buffer_gl0_inv
	s_and_saveexec_b32 s3, s1
	s_cbranch_execz .LBB107_278
; %bb.269:
	s_and_not1_b32 vcc_lo, exec_lo, s2
	s_cbranch_vccnz .LBB107_271
; %bb.270:
	scratch_load_b64 v[89:90], v93, off
	ds_load_b64 v[102:103], v92
	s_waitcnt vmcnt(0) lgkmcnt(0)
	v_mul_f64 v[89:90], v[89:90], v[102:103]
	s_cbranch_execz .LBB107_272
	s_branch .LBB107_273
.LBB107_271:
                                        ; implicit-def: $vgpr89_vgpr90
.LBB107_272:
	ds_load_b64 v[89:90], v92
.LBB107_273:
	s_and_saveexec_b32 s4, s0
	s_cbranch_execz .LBB107_277
; %bb.274:
	v_add_nc_u32_e32 v102, -16, v0
	s_movk_i32 s5, 0x1e0
	s_mov_b32 s0, 0
.LBB107_275:                            ; =>This Inner Loop Header: Depth=1
	scratch_load_b64 v[103:104], v101, off
	v_dual_mov_b32 v105, s5 :: v_dual_add_nc_u32 v102, -1, v102
	v_add_nc_u32_e32 v101, 8, v101
	s_add_i32 s5, s5, 8
	ds_load_b64 v[105:106], v105
	v_cmp_eq_u32_e32 vcc_lo, 0, v102
	s_or_b32 s0, vcc_lo, s0
	s_waitcnt vmcnt(0) lgkmcnt(0)
	v_fma_f64 v[89:90], v[103:104], v[105:106], v[89:90]
	s_and_not1_b32 exec_lo, exec_lo, s0
	s_cbranch_execnz .LBB107_275
; %bb.276:
	s_or_b32 exec_lo, exec_lo, s0
.LBB107_277:
	s_delay_alu instid0(SALU_CYCLE_1)
	s_or_b32 exec_lo, exec_lo, s4
	v_mov_b32_e32 v101, 0
	ds_load_b64 v[101:102], v101 offset:120
	s_waitcnt lgkmcnt(0)
	v_mul_f64 v[89:90], v[89:90], v[101:102]
	scratch_store_b64 off, v[89:90], off offset:120
.LBB107_278:
	s_or_b32 exec_lo, exec_lo, s3
	scratch_load_b64 v[89:90], off, off offset:112
	v_cmp_lt_u32_e64 s0, 14, v0
	s_waitcnt vmcnt(0)
	ds_store_b64 v92, v[89:90]
	s_waitcnt lgkmcnt(0)
	s_waitcnt_vscnt null, 0x0
	s_barrier
	buffer_gl0_inv
	s_and_saveexec_b32 s3, s0
	s_cbranch_execz .LBB107_288
; %bb.279:
	s_and_not1_b32 vcc_lo, exec_lo, s2
	s_cbranch_vccnz .LBB107_281
; %bb.280:
	scratch_load_b64 v[89:90], v93, off
	ds_load_b64 v[101:102], v92
	s_waitcnt vmcnt(0) lgkmcnt(0)
	v_mul_f64 v[89:90], v[89:90], v[101:102]
	s_cbranch_execz .LBB107_282
	s_branch .LBB107_283
.LBB107_281:
                                        ; implicit-def: $vgpr89_vgpr90
.LBB107_282:
	ds_load_b64 v[89:90], v92
.LBB107_283:
	s_and_saveexec_b32 s4, s1
	s_cbranch_execz .LBB107_287
; %bb.284:
	v_dual_mov_b32 v101, 0 :: v_dual_add_nc_u32 v102, -15, v0
	s_movk_i32 s5, 0x1d8
	s_mov_b32 s1, 0
	s_delay_alu instid0(VALU_DEP_1)
	v_add_nc_u32_e32 v101, 0x78, v101
.LBB107_285:                            ; =>This Inner Loop Header: Depth=1
	scratch_load_b64 v[103:104], v101, off
	v_dual_mov_b32 v105, s5 :: v_dual_add_nc_u32 v102, -1, v102
	v_add_nc_u32_e32 v101, 8, v101
	s_add_i32 s5, s5, 8
	ds_load_b64 v[105:106], v105
	v_cmp_eq_u32_e32 vcc_lo, 0, v102
	s_or_b32 s1, vcc_lo, s1
	s_waitcnt vmcnt(0) lgkmcnt(0)
	v_fma_f64 v[89:90], v[103:104], v[105:106], v[89:90]
	s_and_not1_b32 exec_lo, exec_lo, s1
	s_cbranch_execnz .LBB107_285
; %bb.286:
	s_or_b32 exec_lo, exec_lo, s1
.LBB107_287:
	s_delay_alu instid0(SALU_CYCLE_1)
	s_or_b32 exec_lo, exec_lo, s4
	v_mov_b32_e32 v101, 0
	ds_load_b64 v[101:102], v101 offset:112
	s_waitcnt lgkmcnt(0)
	v_mul_f64 v[89:90], v[89:90], v[101:102]
	scratch_store_b64 off, v[89:90], off offset:112
.LBB107_288:
	s_or_b32 exec_lo, exec_lo, s3
	scratch_load_b64 v[89:90], off, off offset:104
	v_cmp_lt_u32_e64 s1, 13, v0
	s_waitcnt vmcnt(0)
	ds_store_b64 v92, v[89:90]
	s_waitcnt lgkmcnt(0)
	s_waitcnt_vscnt null, 0x0
	s_barrier
	buffer_gl0_inv
	s_and_saveexec_b32 s3, s1
	s_cbranch_execz .LBB107_298
; %bb.289:
	s_and_not1_b32 vcc_lo, exec_lo, s2
	s_cbranch_vccnz .LBB107_291
; %bb.290:
	scratch_load_b64 v[89:90], v93, off
	ds_load_b64 v[101:102], v92
	s_waitcnt vmcnt(0) lgkmcnt(0)
	v_mul_f64 v[89:90], v[89:90], v[101:102]
	s_cbranch_execz .LBB107_292
	s_branch .LBB107_293
.LBB107_291:
                                        ; implicit-def: $vgpr89_vgpr90
.LBB107_292:
	ds_load_b64 v[89:90], v92
.LBB107_293:
	s_and_saveexec_b32 s4, s0
	s_cbranch_execz .LBB107_297
; %bb.294:
	v_add_nc_u32_e32 v101, -14, v0
	s_movk_i32 s5, 0x1d0
	s_mov_b32 s0, 0
.LBB107_295:                            ; =>This Inner Loop Header: Depth=1
	scratch_load_b64 v[102:103], v100, off
	v_dual_mov_b32 v104, s5 :: v_dual_add_nc_u32 v101, -1, v101
	v_add_nc_u32_e32 v100, 8, v100
	s_add_i32 s5, s5, 8
	ds_load_b64 v[104:105], v104
	v_cmp_eq_u32_e32 vcc_lo, 0, v101
	s_or_b32 s0, vcc_lo, s0
	s_waitcnt vmcnt(0) lgkmcnt(0)
	v_fma_f64 v[89:90], v[102:103], v[104:105], v[89:90]
	s_and_not1_b32 exec_lo, exec_lo, s0
	s_cbranch_execnz .LBB107_295
; %bb.296:
	s_or_b32 exec_lo, exec_lo, s0
.LBB107_297:
	s_delay_alu instid0(SALU_CYCLE_1)
	s_or_b32 exec_lo, exec_lo, s4
	v_mov_b32_e32 v100, 0
	ds_load_b64 v[100:101], v100 offset:104
	s_waitcnt lgkmcnt(0)
	v_mul_f64 v[89:90], v[89:90], v[100:101]
	scratch_store_b64 off, v[89:90], off offset:104
.LBB107_298:
	s_or_b32 exec_lo, exec_lo, s3
	scratch_load_b64 v[89:90], off, off offset:96
	v_cmp_lt_u32_e64 s0, 12, v0
	s_waitcnt vmcnt(0)
	ds_store_b64 v92, v[89:90]
	s_waitcnt lgkmcnt(0)
	s_waitcnt_vscnt null, 0x0
	s_barrier
	buffer_gl0_inv
	s_and_saveexec_b32 s3, s0
	s_cbranch_execz .LBB107_308
; %bb.299:
	s_and_not1_b32 vcc_lo, exec_lo, s2
	s_cbranch_vccnz .LBB107_301
; %bb.300:
	scratch_load_b64 v[89:90], v93, off
	ds_load_b64 v[100:101], v92
	s_waitcnt vmcnt(0) lgkmcnt(0)
	v_mul_f64 v[89:90], v[89:90], v[100:101]
	s_cbranch_execz .LBB107_302
	s_branch .LBB107_303
.LBB107_301:
                                        ; implicit-def: $vgpr89_vgpr90
.LBB107_302:
	ds_load_b64 v[89:90], v92
.LBB107_303:
	s_and_saveexec_b32 s4, s1
	s_cbranch_execz .LBB107_307
; %bb.304:
	v_dual_mov_b32 v100, 0 :: v_dual_add_nc_u32 v101, -13, v0
	s_movk_i32 s5, 0x1c8
	s_mov_b32 s1, 0
	s_delay_alu instid0(VALU_DEP_1)
	v_add_nc_u32_e32 v100, 0x68, v100
.LBB107_305:                            ; =>This Inner Loop Header: Depth=1
	scratch_load_b64 v[102:103], v100, off
	v_dual_mov_b32 v104, s5 :: v_dual_add_nc_u32 v101, -1, v101
	v_add_nc_u32_e32 v100, 8, v100
	s_add_i32 s5, s5, 8
	ds_load_b64 v[104:105], v104
	v_cmp_eq_u32_e32 vcc_lo, 0, v101
	s_or_b32 s1, vcc_lo, s1
	s_waitcnt vmcnt(0) lgkmcnt(0)
	v_fma_f64 v[89:90], v[102:103], v[104:105], v[89:90]
	s_and_not1_b32 exec_lo, exec_lo, s1
	s_cbranch_execnz .LBB107_305
; %bb.306:
	s_or_b32 exec_lo, exec_lo, s1
.LBB107_307:
	s_delay_alu instid0(SALU_CYCLE_1)
	s_or_b32 exec_lo, exec_lo, s4
	v_mov_b32_e32 v100, 0
	ds_load_b64 v[100:101], v100 offset:96
	s_waitcnt lgkmcnt(0)
	v_mul_f64 v[89:90], v[89:90], v[100:101]
	scratch_store_b64 off, v[89:90], off offset:96
.LBB107_308:
	s_or_b32 exec_lo, exec_lo, s3
	scratch_load_b64 v[89:90], off, off offset:88
	v_cmp_lt_u32_e64 s1, 11, v0
	s_waitcnt vmcnt(0)
	ds_store_b64 v92, v[89:90]
	s_waitcnt lgkmcnt(0)
	s_waitcnt_vscnt null, 0x0
	s_barrier
	buffer_gl0_inv
	s_and_saveexec_b32 s3, s1
	s_cbranch_execz .LBB107_318
; %bb.309:
	s_and_not1_b32 vcc_lo, exec_lo, s2
	s_cbranch_vccnz .LBB107_311
; %bb.310:
	scratch_load_b64 v[89:90], v93, off
	ds_load_b64 v[100:101], v92
	s_waitcnt vmcnt(0) lgkmcnt(0)
	v_mul_f64 v[89:90], v[89:90], v[100:101]
	s_cbranch_execz .LBB107_312
	s_branch .LBB107_313
.LBB107_311:
                                        ; implicit-def: $vgpr89_vgpr90
.LBB107_312:
	ds_load_b64 v[89:90], v92
.LBB107_313:
	s_and_saveexec_b32 s4, s0
	s_cbranch_execz .LBB107_317
; %bb.314:
	v_add_nc_u32_e32 v100, -12, v0
	s_movk_i32 s5, 0x1c0
	s_mov_b32 s0, 0
.LBB107_315:                            ; =>This Inner Loop Header: Depth=1
	scratch_load_b64 v[101:102], v99, off
	v_dual_mov_b32 v103, s5 :: v_dual_add_nc_u32 v100, -1, v100
	v_add_nc_u32_e32 v99, 8, v99
	s_add_i32 s5, s5, 8
	ds_load_b64 v[103:104], v103
	v_cmp_eq_u32_e32 vcc_lo, 0, v100
	s_or_b32 s0, vcc_lo, s0
	s_waitcnt vmcnt(0) lgkmcnt(0)
	v_fma_f64 v[89:90], v[101:102], v[103:104], v[89:90]
	s_and_not1_b32 exec_lo, exec_lo, s0
	s_cbranch_execnz .LBB107_315
; %bb.316:
	s_or_b32 exec_lo, exec_lo, s0
.LBB107_317:
	s_delay_alu instid0(SALU_CYCLE_1)
	s_or_b32 exec_lo, exec_lo, s4
	v_mov_b32_e32 v99, 0
	ds_load_b64 v[99:100], v99 offset:88
	s_waitcnt lgkmcnt(0)
	v_mul_f64 v[89:90], v[89:90], v[99:100]
	scratch_store_b64 off, v[89:90], off offset:88
.LBB107_318:
	s_or_b32 exec_lo, exec_lo, s3
	scratch_load_b64 v[89:90], off, off offset:80
	v_cmp_lt_u32_e64 s0, 10, v0
	s_waitcnt vmcnt(0)
	ds_store_b64 v92, v[89:90]
	s_waitcnt lgkmcnt(0)
	s_waitcnt_vscnt null, 0x0
	s_barrier
	buffer_gl0_inv
	s_and_saveexec_b32 s3, s0
	s_cbranch_execz .LBB107_328
; %bb.319:
	s_and_not1_b32 vcc_lo, exec_lo, s2
	s_cbranch_vccnz .LBB107_321
; %bb.320:
	scratch_load_b64 v[89:90], v93, off
	ds_load_b64 v[99:100], v92
	s_waitcnt vmcnt(0) lgkmcnt(0)
	v_mul_f64 v[89:90], v[89:90], v[99:100]
	s_cbranch_execz .LBB107_322
	s_branch .LBB107_323
.LBB107_321:
                                        ; implicit-def: $vgpr89_vgpr90
.LBB107_322:
	ds_load_b64 v[89:90], v92
.LBB107_323:
	s_and_saveexec_b32 s4, s1
	s_cbranch_execz .LBB107_327
; %bb.324:
	v_dual_mov_b32 v99, 0 :: v_dual_add_nc_u32 v100, -11, v0
	s_movk_i32 s5, 0x1b8
	s_mov_b32 s1, 0
	s_delay_alu instid0(VALU_DEP_1)
	v_add_nc_u32_e32 v99, 0x58, v99
.LBB107_325:                            ; =>This Inner Loop Header: Depth=1
	scratch_load_b64 v[101:102], v99, off
	v_dual_mov_b32 v103, s5 :: v_dual_add_nc_u32 v100, -1, v100
	v_add_nc_u32_e32 v99, 8, v99
	s_add_i32 s5, s5, 8
	ds_load_b64 v[103:104], v103
	v_cmp_eq_u32_e32 vcc_lo, 0, v100
	s_or_b32 s1, vcc_lo, s1
	s_waitcnt vmcnt(0) lgkmcnt(0)
	v_fma_f64 v[89:90], v[101:102], v[103:104], v[89:90]
	s_and_not1_b32 exec_lo, exec_lo, s1
	s_cbranch_execnz .LBB107_325
; %bb.326:
	s_or_b32 exec_lo, exec_lo, s1
.LBB107_327:
	s_delay_alu instid0(SALU_CYCLE_1)
	s_or_b32 exec_lo, exec_lo, s4
	v_mov_b32_e32 v99, 0
	ds_load_b64 v[99:100], v99 offset:80
	s_waitcnt lgkmcnt(0)
	v_mul_f64 v[89:90], v[89:90], v[99:100]
	scratch_store_b64 off, v[89:90], off offset:80
.LBB107_328:
	s_or_b32 exec_lo, exec_lo, s3
	scratch_load_b64 v[89:90], off, off offset:72
	v_cmp_lt_u32_e64 s1, 9, v0
	s_waitcnt vmcnt(0)
	ds_store_b64 v92, v[89:90]
	s_waitcnt lgkmcnt(0)
	s_waitcnt_vscnt null, 0x0
	s_barrier
	buffer_gl0_inv
	s_and_saveexec_b32 s3, s1
	s_cbranch_execz .LBB107_338
; %bb.329:
	s_and_not1_b32 vcc_lo, exec_lo, s2
	s_cbranch_vccnz .LBB107_331
; %bb.330:
	scratch_load_b64 v[89:90], v93, off
	ds_load_b64 v[99:100], v92
	s_waitcnt vmcnt(0) lgkmcnt(0)
	v_mul_f64 v[89:90], v[89:90], v[99:100]
	s_cbranch_execz .LBB107_332
	s_branch .LBB107_333
.LBB107_331:
                                        ; implicit-def: $vgpr89_vgpr90
.LBB107_332:
	ds_load_b64 v[89:90], v92
.LBB107_333:
	s_and_saveexec_b32 s4, s0
	s_cbranch_execz .LBB107_337
; %bb.334:
	v_add_nc_u32_e32 v99, -10, v0
	s_movk_i32 s5, 0x1b0
	s_mov_b32 s0, 0
.LBB107_335:                            ; =>This Inner Loop Header: Depth=1
	scratch_load_b64 v[100:101], v98, off
	v_dual_mov_b32 v102, s5 :: v_dual_add_nc_u32 v99, -1, v99
	v_add_nc_u32_e32 v98, 8, v98
	s_add_i32 s5, s5, 8
	ds_load_b64 v[102:103], v102
	v_cmp_eq_u32_e32 vcc_lo, 0, v99
	s_or_b32 s0, vcc_lo, s0
	s_waitcnt vmcnt(0) lgkmcnt(0)
	v_fma_f64 v[89:90], v[100:101], v[102:103], v[89:90]
	s_and_not1_b32 exec_lo, exec_lo, s0
	s_cbranch_execnz .LBB107_335
; %bb.336:
	s_or_b32 exec_lo, exec_lo, s0
.LBB107_337:
	s_delay_alu instid0(SALU_CYCLE_1)
	s_or_b32 exec_lo, exec_lo, s4
	v_mov_b32_e32 v98, 0
	ds_load_b64 v[98:99], v98 offset:72
	s_waitcnt lgkmcnt(0)
	v_mul_f64 v[89:90], v[89:90], v[98:99]
	scratch_store_b64 off, v[89:90], off offset:72
.LBB107_338:
	s_or_b32 exec_lo, exec_lo, s3
	scratch_load_b64 v[89:90], off, off offset:64
	v_cmp_lt_u32_e64 s0, 8, v0
	s_waitcnt vmcnt(0)
	ds_store_b64 v92, v[89:90]
	s_waitcnt lgkmcnt(0)
	s_waitcnt_vscnt null, 0x0
	s_barrier
	buffer_gl0_inv
	s_and_saveexec_b32 s3, s0
	s_cbranch_execz .LBB107_348
; %bb.339:
	s_and_not1_b32 vcc_lo, exec_lo, s2
	s_cbranch_vccnz .LBB107_341
; %bb.340:
	scratch_load_b64 v[89:90], v93, off
	ds_load_b64 v[98:99], v92
	s_waitcnt vmcnt(0) lgkmcnt(0)
	v_mul_f64 v[89:90], v[89:90], v[98:99]
	s_cbranch_execz .LBB107_342
	s_branch .LBB107_343
.LBB107_341:
                                        ; implicit-def: $vgpr89_vgpr90
.LBB107_342:
	ds_load_b64 v[89:90], v92
.LBB107_343:
	s_and_saveexec_b32 s4, s1
	s_cbranch_execz .LBB107_347
; %bb.344:
	v_dual_mov_b32 v98, 0 :: v_dual_add_nc_u32 v99, -9, v0
	s_movk_i32 s5, 0x1a8
	s_mov_b32 s1, 0
	s_delay_alu instid0(VALU_DEP_1)
	v_add_nc_u32_e32 v98, 0x48, v98
.LBB107_345:                            ; =>This Inner Loop Header: Depth=1
	scratch_load_b64 v[100:101], v98, off
	v_dual_mov_b32 v102, s5 :: v_dual_add_nc_u32 v99, -1, v99
	v_add_nc_u32_e32 v98, 8, v98
	s_add_i32 s5, s5, 8
	ds_load_b64 v[102:103], v102
	v_cmp_eq_u32_e32 vcc_lo, 0, v99
	s_or_b32 s1, vcc_lo, s1
	s_waitcnt vmcnt(0) lgkmcnt(0)
	v_fma_f64 v[89:90], v[100:101], v[102:103], v[89:90]
	s_and_not1_b32 exec_lo, exec_lo, s1
	s_cbranch_execnz .LBB107_345
; %bb.346:
	s_or_b32 exec_lo, exec_lo, s1
.LBB107_347:
	s_delay_alu instid0(SALU_CYCLE_1)
	s_or_b32 exec_lo, exec_lo, s4
	v_mov_b32_e32 v98, 0
	ds_load_b64 v[98:99], v98 offset:64
	s_waitcnt lgkmcnt(0)
	v_mul_f64 v[89:90], v[89:90], v[98:99]
	scratch_store_b64 off, v[89:90], off offset:64
.LBB107_348:
	s_or_b32 exec_lo, exec_lo, s3
	scratch_load_b64 v[89:90], off, off offset:56
	v_cmp_lt_u32_e64 s1, 7, v0
	s_waitcnt vmcnt(0)
	ds_store_b64 v92, v[89:90]
	s_waitcnt lgkmcnt(0)
	s_waitcnt_vscnt null, 0x0
	s_barrier
	buffer_gl0_inv
	s_and_saveexec_b32 s3, s1
	s_cbranch_execz .LBB107_358
; %bb.349:
	s_and_not1_b32 vcc_lo, exec_lo, s2
	s_cbranch_vccnz .LBB107_351
; %bb.350:
	scratch_load_b64 v[89:90], v93, off
	ds_load_b64 v[98:99], v92
	s_waitcnt vmcnt(0) lgkmcnt(0)
	v_mul_f64 v[89:90], v[89:90], v[98:99]
	s_cbranch_execz .LBB107_352
	s_branch .LBB107_353
.LBB107_351:
                                        ; implicit-def: $vgpr89_vgpr90
.LBB107_352:
	ds_load_b64 v[89:90], v92
.LBB107_353:
	s_and_saveexec_b32 s4, s0
	s_cbranch_execz .LBB107_357
; %bb.354:
	v_add_nc_u32_e32 v98, -8, v0
	s_movk_i32 s5, 0x1a0
	s_mov_b32 s0, 0
.LBB107_355:                            ; =>This Inner Loop Header: Depth=1
	scratch_load_b64 v[99:100], v97, off
	v_dual_mov_b32 v101, s5 :: v_dual_add_nc_u32 v98, -1, v98
	v_add_nc_u32_e32 v97, 8, v97
	s_add_i32 s5, s5, 8
	ds_load_b64 v[101:102], v101
	v_cmp_eq_u32_e32 vcc_lo, 0, v98
	s_or_b32 s0, vcc_lo, s0
	s_waitcnt vmcnt(0) lgkmcnt(0)
	v_fma_f64 v[89:90], v[99:100], v[101:102], v[89:90]
	s_and_not1_b32 exec_lo, exec_lo, s0
	s_cbranch_execnz .LBB107_355
; %bb.356:
	s_or_b32 exec_lo, exec_lo, s0
.LBB107_357:
	s_delay_alu instid0(SALU_CYCLE_1)
	s_or_b32 exec_lo, exec_lo, s4
	v_mov_b32_e32 v97, 0
	ds_load_b64 v[97:98], v97 offset:56
	s_waitcnt lgkmcnt(0)
	v_mul_f64 v[89:90], v[89:90], v[97:98]
	scratch_store_b64 off, v[89:90], off offset:56
.LBB107_358:
	s_or_b32 exec_lo, exec_lo, s3
	scratch_load_b64 v[89:90], off, off offset:48
	v_cmp_lt_u32_e64 s0, 6, v0
	s_waitcnt vmcnt(0)
	ds_store_b64 v92, v[89:90]
	s_waitcnt lgkmcnt(0)
	s_waitcnt_vscnt null, 0x0
	s_barrier
	buffer_gl0_inv
	s_and_saveexec_b32 s3, s0
	s_cbranch_execz .LBB107_368
; %bb.359:
	s_and_not1_b32 vcc_lo, exec_lo, s2
	s_cbranch_vccnz .LBB107_361
; %bb.360:
	scratch_load_b64 v[89:90], v93, off
	ds_load_b64 v[97:98], v92
	s_waitcnt vmcnt(0) lgkmcnt(0)
	v_mul_f64 v[89:90], v[89:90], v[97:98]
	s_cbranch_execz .LBB107_362
	s_branch .LBB107_363
.LBB107_361:
                                        ; implicit-def: $vgpr89_vgpr90
.LBB107_362:
	ds_load_b64 v[89:90], v92
.LBB107_363:
	s_and_saveexec_b32 s4, s1
	s_cbranch_execz .LBB107_367
; %bb.364:
	v_add_nc_u32_e64 v97, 0, 56
	v_add_nc_u32_e32 v98, -7, v0
	s_movk_i32 s5, 0x198
	s_mov_b32 s1, 0
.LBB107_365:                            ; =>This Inner Loop Header: Depth=1
	scratch_load_b64 v[99:100], v97, off
	v_dual_mov_b32 v101, s5 :: v_dual_add_nc_u32 v98, -1, v98
	v_add_nc_u32_e32 v97, 8, v97
	s_add_i32 s5, s5, 8
	ds_load_b64 v[101:102], v101
	v_cmp_eq_u32_e32 vcc_lo, 0, v98
	s_or_b32 s1, vcc_lo, s1
	s_waitcnt vmcnt(0) lgkmcnt(0)
	v_fma_f64 v[89:90], v[99:100], v[101:102], v[89:90]
	s_and_not1_b32 exec_lo, exec_lo, s1
	s_cbranch_execnz .LBB107_365
; %bb.366:
	s_or_b32 exec_lo, exec_lo, s1
.LBB107_367:
	s_delay_alu instid0(SALU_CYCLE_1)
	s_or_b32 exec_lo, exec_lo, s4
	v_mov_b32_e32 v97, 0
	ds_load_b64 v[97:98], v97 offset:48
	s_waitcnt lgkmcnt(0)
	v_mul_f64 v[89:90], v[89:90], v[97:98]
	scratch_store_b64 off, v[89:90], off offset:48
.LBB107_368:
	s_or_b32 exec_lo, exec_lo, s3
	scratch_load_b64 v[89:90], off, off offset:40
	v_cmp_lt_u32_e64 s1, 5, v0
	s_waitcnt vmcnt(0)
	ds_store_b64 v92, v[89:90]
	s_waitcnt lgkmcnt(0)
	s_waitcnt_vscnt null, 0x0
	s_barrier
	buffer_gl0_inv
	s_and_saveexec_b32 s3, s1
	s_cbranch_execz .LBB107_378
; %bb.369:
	s_and_not1_b32 vcc_lo, exec_lo, s2
	s_cbranch_vccnz .LBB107_371
; %bb.370:
	scratch_load_b64 v[89:90], v93, off
	ds_load_b64 v[97:98], v92
	s_waitcnt vmcnt(0) lgkmcnt(0)
	v_mul_f64 v[89:90], v[89:90], v[97:98]
	s_cbranch_execz .LBB107_372
	s_branch .LBB107_373
.LBB107_371:
                                        ; implicit-def: $vgpr89_vgpr90
.LBB107_372:
	ds_load_b64 v[89:90], v92
.LBB107_373:
	s_and_saveexec_b32 s4, s0
	s_cbranch_execz .LBB107_377
; %bb.374:
	v_add_nc_u32_e32 v97, -6, v0
	s_movk_i32 s5, 0x190
	s_mov_b32 s0, 0
.LBB107_375:                            ; =>This Inner Loop Header: Depth=1
	scratch_load_b64 v[98:99], v96, off
	v_dual_mov_b32 v100, s5 :: v_dual_add_nc_u32 v97, -1, v97
	v_add_nc_u32_e32 v96, 8, v96
	s_add_i32 s5, s5, 8
	ds_load_b64 v[100:101], v100
	v_cmp_eq_u32_e32 vcc_lo, 0, v97
	s_or_b32 s0, vcc_lo, s0
	s_waitcnt vmcnt(0) lgkmcnt(0)
	v_fma_f64 v[89:90], v[98:99], v[100:101], v[89:90]
	s_and_not1_b32 exec_lo, exec_lo, s0
	s_cbranch_execnz .LBB107_375
; %bb.376:
	s_or_b32 exec_lo, exec_lo, s0
.LBB107_377:
	s_delay_alu instid0(SALU_CYCLE_1)
	s_or_b32 exec_lo, exec_lo, s4
	v_mov_b32_e32 v96, 0
	ds_load_b64 v[96:97], v96 offset:40
	s_waitcnt lgkmcnt(0)
	v_mul_f64 v[89:90], v[89:90], v[96:97]
	scratch_store_b64 off, v[89:90], off offset:40
.LBB107_378:
	s_or_b32 exec_lo, exec_lo, s3
	scratch_load_b64 v[89:90], off, off offset:32
	v_cmp_lt_u32_e64 s0, 4, v0
	s_waitcnt vmcnt(0)
	ds_store_b64 v92, v[89:90]
	s_waitcnt lgkmcnt(0)
	s_waitcnt_vscnt null, 0x0
	s_barrier
	buffer_gl0_inv
	s_and_saveexec_b32 s3, s0
	s_cbranch_execz .LBB107_388
; %bb.379:
	s_and_not1_b32 vcc_lo, exec_lo, s2
	s_cbranch_vccnz .LBB107_381
; %bb.380:
	scratch_load_b64 v[89:90], v93, off
	ds_load_b64 v[96:97], v92
	s_waitcnt vmcnt(0) lgkmcnt(0)
	v_mul_f64 v[89:90], v[89:90], v[96:97]
	s_cbranch_execz .LBB107_382
	s_branch .LBB107_383
.LBB107_381:
                                        ; implicit-def: $vgpr89_vgpr90
.LBB107_382:
	ds_load_b64 v[89:90], v92
.LBB107_383:
	s_and_saveexec_b32 s4, s1
	s_cbranch_execz .LBB107_387
; %bb.384:
	v_add_nc_u32_e64 v96, 0, 40
	v_add_nc_u32_e32 v97, -5, v0
	s_movk_i32 s5, 0x188
	s_mov_b32 s1, 0
.LBB107_385:                            ; =>This Inner Loop Header: Depth=1
	scratch_load_b64 v[98:99], v96, off
	v_dual_mov_b32 v100, s5 :: v_dual_add_nc_u32 v97, -1, v97
	v_add_nc_u32_e32 v96, 8, v96
	s_add_i32 s5, s5, 8
	ds_load_b64 v[100:101], v100
	v_cmp_eq_u32_e32 vcc_lo, 0, v97
	s_or_b32 s1, vcc_lo, s1
	s_waitcnt vmcnt(0) lgkmcnt(0)
	v_fma_f64 v[89:90], v[98:99], v[100:101], v[89:90]
	s_and_not1_b32 exec_lo, exec_lo, s1
	s_cbranch_execnz .LBB107_385
; %bb.386:
	s_or_b32 exec_lo, exec_lo, s1
.LBB107_387:
	s_delay_alu instid0(SALU_CYCLE_1)
	s_or_b32 exec_lo, exec_lo, s4
	v_mov_b32_e32 v96, 0
	ds_load_b64 v[96:97], v96 offset:32
	s_waitcnt lgkmcnt(0)
	v_mul_f64 v[89:90], v[89:90], v[96:97]
	scratch_store_b64 off, v[89:90], off offset:32
.LBB107_388:
	s_or_b32 exec_lo, exec_lo, s3
	scratch_load_b64 v[89:90], off, off offset:24
	v_cmp_lt_u32_e64 s1, 3, v0
	s_waitcnt vmcnt(0)
	ds_store_b64 v92, v[89:90]
	s_waitcnt lgkmcnt(0)
	s_waitcnt_vscnt null, 0x0
	s_barrier
	buffer_gl0_inv
	s_and_saveexec_b32 s3, s1
	s_cbranch_execz .LBB107_398
; %bb.389:
	s_and_not1_b32 vcc_lo, exec_lo, s2
	s_cbranch_vccnz .LBB107_391
; %bb.390:
	scratch_load_b64 v[89:90], v93, off
	ds_load_b64 v[96:97], v92
	s_waitcnt vmcnt(0) lgkmcnt(0)
	v_mul_f64 v[89:90], v[89:90], v[96:97]
	s_cbranch_execz .LBB107_392
	s_branch .LBB107_393
.LBB107_391:
                                        ; implicit-def: $vgpr89_vgpr90
.LBB107_392:
	ds_load_b64 v[89:90], v92
.LBB107_393:
	s_and_saveexec_b32 s4, s0
	s_cbranch_execz .LBB107_397
; %bb.394:
	v_add_nc_u32_e32 v96, -4, v0
	s_movk_i32 s5, 0x180
	s_mov_b32 s0, 0
.LBB107_395:                            ; =>This Inner Loop Header: Depth=1
	scratch_load_b64 v[97:98], v95, off
	v_dual_mov_b32 v99, s5 :: v_dual_add_nc_u32 v96, -1, v96
	v_add_nc_u32_e32 v95, 8, v95
	s_add_i32 s5, s5, 8
	ds_load_b64 v[99:100], v99
	v_cmp_eq_u32_e32 vcc_lo, 0, v96
	s_or_b32 s0, vcc_lo, s0
	s_waitcnt vmcnt(0) lgkmcnt(0)
	v_fma_f64 v[89:90], v[97:98], v[99:100], v[89:90]
	s_and_not1_b32 exec_lo, exec_lo, s0
	s_cbranch_execnz .LBB107_395
; %bb.396:
	s_or_b32 exec_lo, exec_lo, s0
.LBB107_397:
	s_delay_alu instid0(SALU_CYCLE_1)
	s_or_b32 exec_lo, exec_lo, s4
	v_mov_b32_e32 v95, 0
	ds_load_b64 v[95:96], v95 offset:24
	s_waitcnt lgkmcnt(0)
	v_mul_f64 v[89:90], v[89:90], v[95:96]
	scratch_store_b64 off, v[89:90], off offset:24
.LBB107_398:
	s_or_b32 exec_lo, exec_lo, s3
	scratch_load_b64 v[89:90], off, off offset:16
	v_cmp_lt_u32_e64 s0, 2, v0
	s_waitcnt vmcnt(0)
	ds_store_b64 v92, v[89:90]
	s_waitcnt lgkmcnt(0)
	s_waitcnt_vscnt null, 0x0
	s_barrier
	buffer_gl0_inv
	s_and_saveexec_b32 s3, s0
	s_cbranch_execz .LBB107_408
; %bb.399:
	s_and_not1_b32 vcc_lo, exec_lo, s2
	s_cbranch_vccnz .LBB107_401
; %bb.400:
	scratch_load_b64 v[89:90], v93, off
	ds_load_b64 v[95:96], v92
	s_waitcnt vmcnt(0) lgkmcnt(0)
	v_mul_f64 v[89:90], v[89:90], v[95:96]
	s_cbranch_execz .LBB107_402
	s_branch .LBB107_403
.LBB107_401:
                                        ; implicit-def: $vgpr89_vgpr90
.LBB107_402:
	ds_load_b64 v[89:90], v92
.LBB107_403:
	s_and_saveexec_b32 s4, s1
	s_cbranch_execz .LBB107_407
; %bb.404:
	v_add_nc_u32_e64 v95, 0, 24
	v_add_nc_u32_e32 v96, -3, v0
	s_movk_i32 s5, 0x178
	s_mov_b32 s1, 0
.LBB107_405:                            ; =>This Inner Loop Header: Depth=1
	scratch_load_b64 v[97:98], v95, off
	v_dual_mov_b32 v99, s5 :: v_dual_add_nc_u32 v96, -1, v96
	v_add_nc_u32_e32 v95, 8, v95
	s_add_i32 s5, s5, 8
	ds_load_b64 v[99:100], v99
	v_cmp_eq_u32_e32 vcc_lo, 0, v96
	s_or_b32 s1, vcc_lo, s1
	s_waitcnt vmcnt(0) lgkmcnt(0)
	v_fma_f64 v[89:90], v[97:98], v[99:100], v[89:90]
	s_and_not1_b32 exec_lo, exec_lo, s1
	s_cbranch_execnz .LBB107_405
; %bb.406:
	s_or_b32 exec_lo, exec_lo, s1
.LBB107_407:
	s_delay_alu instid0(SALU_CYCLE_1)
	s_or_b32 exec_lo, exec_lo, s4
	v_mov_b32_e32 v95, 0
	ds_load_b64 v[95:96], v95 offset:16
	s_waitcnt lgkmcnt(0)
	v_mul_f64 v[89:90], v[89:90], v[95:96]
	scratch_store_b64 off, v[89:90], off offset:16
.LBB107_408:
	s_or_b32 exec_lo, exec_lo, s3
	scratch_load_b64 v[89:90], off, off offset:8
	v_cmp_lt_u32_e64 s1, 1, v0
	s_waitcnt vmcnt(0)
	ds_store_b64 v92, v[89:90]
	s_waitcnt lgkmcnt(0)
	s_waitcnt_vscnt null, 0x0
	s_barrier
	buffer_gl0_inv
	s_and_saveexec_b32 s3, s1
	s_cbranch_execz .LBB107_418
; %bb.409:
	s_and_not1_b32 vcc_lo, exec_lo, s2
	s_cbranch_vccnz .LBB107_411
; %bb.410:
	scratch_load_b64 v[89:90], v93, off
	ds_load_b64 v[95:96], v92
	s_waitcnt vmcnt(0) lgkmcnt(0)
	v_mul_f64 v[89:90], v[89:90], v[95:96]
	s_cbranch_execz .LBB107_412
	s_branch .LBB107_413
.LBB107_411:
                                        ; implicit-def: $vgpr89_vgpr90
.LBB107_412:
	ds_load_b64 v[89:90], v92
.LBB107_413:
	s_and_saveexec_b32 s4, s0
	s_cbranch_execz .LBB107_417
; %bb.414:
	v_add_nc_u32_e32 v95, -2, v0
	s_movk_i32 s5, 0x170
	s_mov_b32 s0, 0
.LBB107_415:                            ; =>This Inner Loop Header: Depth=1
	scratch_load_b64 v[96:97], v94, off
	v_dual_mov_b32 v98, s5 :: v_dual_add_nc_u32 v95, -1, v95
	v_add_nc_u32_e32 v94, 8, v94
	s_add_i32 s5, s5, 8
	ds_load_b64 v[98:99], v98
	v_cmp_eq_u32_e32 vcc_lo, 0, v95
	s_or_b32 s0, vcc_lo, s0
	s_waitcnt vmcnt(0) lgkmcnt(0)
	v_fma_f64 v[89:90], v[96:97], v[98:99], v[89:90]
	s_and_not1_b32 exec_lo, exec_lo, s0
	s_cbranch_execnz .LBB107_415
; %bb.416:
	s_or_b32 exec_lo, exec_lo, s0
.LBB107_417:
	s_delay_alu instid0(SALU_CYCLE_1)
	s_or_b32 exec_lo, exec_lo, s4
	v_mov_b32_e32 v94, 0
	ds_load_b64 v[94:95], v94 offset:8
	s_waitcnt lgkmcnt(0)
	v_mul_f64 v[89:90], v[89:90], v[94:95]
	scratch_store_b64 off, v[89:90], off offset:8
.LBB107_418:
	s_or_b32 exec_lo, exec_lo, s3
	scratch_load_b64 v[89:90], off, off
	s_mov_b32 s0, 0
	s_mov_b32 s3, exec_lo
	s_waitcnt vmcnt(0)
	ds_store_b64 v92, v[89:90]
	s_waitcnt lgkmcnt(0)
	s_waitcnt_vscnt null, 0x0
	s_barrier
	buffer_gl0_inv
	v_cmpx_ne_u32_e32 0, v0
	s_cbranch_execz .LBB107_428
; %bb.419:
	s_and_not1_b32 vcc_lo, exec_lo, s2
	s_cbranch_vccnz .LBB107_421
; %bb.420:
	scratch_load_b64 v[89:90], v93, off
	ds_load_b64 v[94:95], v92
	s_waitcnt vmcnt(0) lgkmcnt(0)
	v_mul_f64 v[89:90], v[89:90], v[94:95]
	s_cbranch_execz .LBB107_422
	s_branch .LBB107_423
.LBB107_421:
                                        ; implicit-def: $vgpr89_vgpr90
.LBB107_422:
	ds_load_b64 v[89:90], v92
.LBB107_423:
	s_and_saveexec_b32 s4, s1
	s_cbranch_execz .LBB107_427
; %bb.424:
	v_or_b32_e64 v94, 0, 8
	v_add_nc_u32_e32 v95, -1, v0
	s_movk_i32 s5, 0x168
	s_mov_b32 s1, 0
.LBB107_425:                            ; =>This Inner Loop Header: Depth=1
	scratch_load_b64 v[96:97], v94, off
	v_dual_mov_b32 v98, s5 :: v_dual_add_nc_u32 v95, -1, v95
	v_add_nc_u32_e32 v94, 8, v94
	s_add_i32 s5, s5, 8
	ds_load_b64 v[98:99], v98
	v_cmp_eq_u32_e32 vcc_lo, 0, v95
	s_or_b32 s1, vcc_lo, s1
	s_waitcnt vmcnt(0) lgkmcnt(0)
	v_fma_f64 v[89:90], v[96:97], v[98:99], v[89:90]
	s_and_not1_b32 exec_lo, exec_lo, s1
	s_cbranch_execnz .LBB107_425
; %bb.426:
	s_or_b32 exec_lo, exec_lo, s1
.LBB107_427:
	s_delay_alu instid0(SALU_CYCLE_1)
	s_or_b32 exec_lo, exec_lo, s4
	v_mov_b32_e32 v94, 0
	ds_load_b64 v[94:95], v94
	s_waitcnt lgkmcnt(0)
	v_mul_f64 v[89:90], v[89:90], v[94:95]
	scratch_store_b64 off, v[89:90], off
.LBB107_428:
	s_or_b32 exec_lo, exec_lo, s3
.LBB107_429:
	s_delay_alu instid0(SALU_CYCLE_1)
	s_and_b32 vcc_lo, exec_lo, s0
	s_cbranch_vccz .LBB107_855
; %bb.430:
	scratch_load_b64 v[89:90], off, off offset:8
	v_cmp_eq_u32_e64 s0, 0, v0
	s_waitcnt vmcnt(0)
	ds_store_b64 v92, v[89:90]
	s_waitcnt lgkmcnt(0)
	s_waitcnt_vscnt null, 0x0
	s_barrier
	buffer_gl0_inv
	s_and_saveexec_b32 s1, s0
	s_cbranch_execz .LBB107_436
; %bb.431:
	s_and_b32 vcc_lo, exec_lo, s2
	s_cbranch_vccz .LBB107_433
; %bb.432:
	scratch_load_b64 v[89:90], v93, off
	ds_load_b64 v[94:95], v92
	s_waitcnt vmcnt(0) lgkmcnt(0)
	v_mul_f64 v[89:90], v[89:90], v[94:95]
	s_cbranch_execz .LBB107_434
	s_branch .LBB107_435
.LBB107_433:
                                        ; implicit-def: $vgpr89_vgpr90
.LBB107_434:
	ds_load_b64 v[89:90], v92
.LBB107_435:
	v_mov_b32_e32 v94, 0
	ds_load_b64 v[94:95], v94 offset:8
	s_waitcnt lgkmcnt(0)
	v_mul_f64 v[89:90], v[89:90], v[94:95]
	scratch_store_b64 off, v[89:90], off offset:8
.LBB107_436:
	s_or_b32 exec_lo, exec_lo, s1
	scratch_load_b64 v[89:90], off, off offset:16
	v_cndmask_b32_e64 v94, 0, 1, s2
	s_mov_b32 s1, exec_lo
	s_waitcnt vmcnt(0)
	ds_store_b64 v92, v[89:90]
	s_waitcnt lgkmcnt(0)
	s_waitcnt_vscnt null, 0x0
	s_barrier
	buffer_gl0_inv
	v_cmpx_gt_u32_e32 2, v0
	s_cbranch_execz .LBB107_444
; %bb.437:
	s_and_not1_b32 vcc_lo, exec_lo, s2
	s_cbranch_vccnz .LBB107_439
; %bb.438:
	scratch_load_b64 v[89:90], v93, off
	ds_load_b64 v[95:96], v92
	s_waitcnt vmcnt(0) lgkmcnt(0)
	v_mul_f64 v[89:90], v[89:90], v[95:96]
	s_cbranch_execz .LBB107_440
	s_branch .LBB107_441
.LBB107_439:
                                        ; implicit-def: $vgpr89_vgpr90
.LBB107_440:
	ds_load_b64 v[89:90], v92
.LBB107_441:
	s_and_saveexec_b32 s2, s0
	s_cbranch_execz .LBB107_443
; %bb.442:
	scratch_load_b64 v[95:96], v93, off offset:8
	ds_load_b64 v[97:98], v92 offset:8
	s_waitcnt vmcnt(0) lgkmcnt(0)
	v_fma_f64 v[89:90], v[95:96], v[97:98], v[89:90]
.LBB107_443:
	s_or_b32 exec_lo, exec_lo, s2
	v_mov_b32_e32 v95, 0
	ds_load_b64 v[95:96], v95 offset:16
	s_waitcnt lgkmcnt(0)
	v_mul_f64 v[89:90], v[89:90], v[95:96]
	scratch_store_b64 off, v[89:90], off offset:16
.LBB107_444:
	s_or_b32 exec_lo, exec_lo, s1
	scratch_load_b64 v[89:90], off, off offset:24
	s_mov_b32 s1, exec_lo
	s_waitcnt vmcnt(0)
	ds_store_b64 v92, v[89:90]
	s_waitcnt lgkmcnt(0)
	s_waitcnt_vscnt null, 0x0
	s_barrier
	buffer_gl0_inv
	v_cmpx_gt_u32_e32 3, v0
	s_cbranch_execz .LBB107_454
; %bb.445:
	v_cmp_ne_u32_e32 vcc_lo, 1, v94
	s_cbranch_vccnz .LBB107_447
; %bb.446:
	scratch_load_b64 v[89:90], v93, off
	ds_load_b64 v[95:96], v92
	s_waitcnt vmcnt(0) lgkmcnt(0)
	v_mul_f64 v[89:90], v[89:90], v[95:96]
	s_cbranch_execz .LBB107_448
	s_branch .LBB107_449
.LBB107_447:
                                        ; implicit-def: $vgpr89_vgpr90
.LBB107_448:
	ds_load_b64 v[89:90], v92
.LBB107_449:
	s_mov_b32 s2, exec_lo
	v_cmpx_ne_u32_e32 2, v0
	s_cbranch_execz .LBB107_453
; %bb.450:
	scratch_load_b64 v[95:96], v93, off offset:8
	ds_load_b64 v[97:98], v92 offset:8
	s_waitcnt vmcnt(0) lgkmcnt(0)
	v_fma_f64 v[89:90], v[95:96], v[97:98], v[89:90]
	s_and_saveexec_b32 s3, s0
	s_cbranch_execz .LBB107_452
; %bb.451:
	scratch_load_b64 v[95:96], off, off offset:16
	v_mov_b32_e32 v97, 0
	ds_load_b64 v[97:98], v97 offset:368
	s_waitcnt vmcnt(0) lgkmcnt(0)
	v_fma_f64 v[89:90], v[95:96], v[97:98], v[89:90]
.LBB107_452:
	s_or_b32 exec_lo, exec_lo, s3
.LBB107_453:
	s_delay_alu instid0(SALU_CYCLE_1)
	s_or_b32 exec_lo, exec_lo, s2
	v_mov_b32_e32 v95, 0
	ds_load_b64 v[95:96], v95 offset:24
	s_waitcnt lgkmcnt(0)
	v_mul_f64 v[89:90], v[89:90], v[95:96]
	scratch_store_b64 off, v[89:90], off offset:24
.LBB107_454:
	s_or_b32 exec_lo, exec_lo, s1
	scratch_load_b64 v[89:90], off, off offset:32
	s_mov_b32 s0, exec_lo
	s_waitcnt vmcnt(0)
	ds_store_b64 v92, v[89:90]
	s_waitcnt lgkmcnt(0)
	s_waitcnt_vscnt null, 0x0
	s_barrier
	buffer_gl0_inv
	v_cmpx_gt_u32_e32 4, v0
	s_cbranch_execz .LBB107_464
; %bb.455:
	v_cmp_ne_u32_e32 vcc_lo, 1, v94
	s_cbranch_vccnz .LBB107_457
; %bb.456:
	scratch_load_b64 v[89:90], v93, off
	ds_load_b64 v[95:96], v92
	s_waitcnt vmcnt(0) lgkmcnt(0)
	v_mul_f64 v[89:90], v[89:90], v[95:96]
	s_cbranch_execz .LBB107_458
	s_branch .LBB107_459
.LBB107_457:
                                        ; implicit-def: $vgpr89_vgpr90
.LBB107_458:
	ds_load_b64 v[89:90], v92
.LBB107_459:
	s_mov_b32 s1, exec_lo
	v_cmpx_ne_u32_e32 3, v0
	s_cbranch_execz .LBB107_463
; %bb.460:
	v_add_nc_u32_e32 v95, 0x168, v91
	v_add3_u32 v96, 0, v91, 8
	v_mov_b32_e32 v97, v0
	s_mov_b32 s2, 0
.LBB107_461:                            ; =>This Inner Loop Header: Depth=1
	scratch_load_b64 v[98:99], v96, off
	ds_load_b64 v[100:101], v95
	v_add_nc_u32_e32 v97, 1, v97
	v_add_nc_u32_e32 v95, 8, v95
	v_add_nc_u32_e32 v96, 8, v96
	s_delay_alu instid0(VALU_DEP_3)
	v_cmp_lt_u32_e32 vcc_lo, 2, v97
	s_or_b32 s2, vcc_lo, s2
	s_waitcnt vmcnt(0) lgkmcnt(0)
	v_fma_f64 v[89:90], v[98:99], v[100:101], v[89:90]
	s_and_not1_b32 exec_lo, exec_lo, s2
	s_cbranch_execnz .LBB107_461
; %bb.462:
	s_or_b32 exec_lo, exec_lo, s2
.LBB107_463:
	s_delay_alu instid0(SALU_CYCLE_1)
	s_or_b32 exec_lo, exec_lo, s1
	v_mov_b32_e32 v95, 0
	ds_load_b64 v[95:96], v95 offset:32
	s_waitcnt lgkmcnt(0)
	v_mul_f64 v[89:90], v[89:90], v[95:96]
	scratch_store_b64 off, v[89:90], off offset:32
.LBB107_464:
	s_or_b32 exec_lo, exec_lo, s0
	scratch_load_b64 v[89:90], off, off offset:40
	s_mov_b32 s0, exec_lo
	s_waitcnt vmcnt(0)
	ds_store_b64 v92, v[89:90]
	s_waitcnt lgkmcnt(0)
	s_waitcnt_vscnt null, 0x0
	s_barrier
	buffer_gl0_inv
	v_cmpx_gt_u32_e32 5, v0
	s_cbranch_execz .LBB107_474
; %bb.465:
	v_cmp_ne_u32_e32 vcc_lo, 1, v94
	s_cbranch_vccnz .LBB107_467
; %bb.466:
	scratch_load_b64 v[89:90], v93, off
	ds_load_b64 v[95:96], v92
	s_waitcnt vmcnt(0) lgkmcnt(0)
	v_mul_f64 v[89:90], v[89:90], v[95:96]
	s_cbranch_execz .LBB107_468
	s_branch .LBB107_469
.LBB107_467:
                                        ; implicit-def: $vgpr89_vgpr90
.LBB107_468:
	ds_load_b64 v[89:90], v92
.LBB107_469:
	s_mov_b32 s1, exec_lo
	v_cmpx_ne_u32_e32 4, v0
	s_cbranch_execz .LBB107_473
; %bb.470:
	v_add_nc_u32_e32 v95, 0x168, v91
	v_add3_u32 v96, 0, v91, 8
	v_mov_b32_e32 v97, v0
	s_mov_b32 s2, 0
.LBB107_471:                            ; =>This Inner Loop Header: Depth=1
	scratch_load_b64 v[98:99], v96, off
	ds_load_b64 v[100:101], v95
	v_add_nc_u32_e32 v97, 1, v97
	v_add_nc_u32_e32 v95, 8, v95
	v_add_nc_u32_e32 v96, 8, v96
	s_delay_alu instid0(VALU_DEP_3)
	v_cmp_lt_u32_e32 vcc_lo, 3, v97
	s_or_b32 s2, vcc_lo, s2
	s_waitcnt vmcnt(0) lgkmcnt(0)
	v_fma_f64 v[89:90], v[98:99], v[100:101], v[89:90]
	s_and_not1_b32 exec_lo, exec_lo, s2
	s_cbranch_execnz .LBB107_471
; %bb.472:
	s_or_b32 exec_lo, exec_lo, s2
.LBB107_473:
	s_delay_alu instid0(SALU_CYCLE_1)
	s_or_b32 exec_lo, exec_lo, s1
	v_mov_b32_e32 v95, 0
	ds_load_b64 v[95:96], v95 offset:40
	s_waitcnt lgkmcnt(0)
	v_mul_f64 v[89:90], v[89:90], v[95:96]
	scratch_store_b64 off, v[89:90], off offset:40
.LBB107_474:
	;; [unrolled: 58-line block ×38, first 2 shown]
	s_or_b32 exec_lo, exec_lo, s0
	scratch_load_b64 v[89:90], off, off offset:336
	v_cmp_gt_u32_e64 s0, 42, v0
	s_waitcnt vmcnt(0)
	ds_store_b64 v92, v[89:90]
	s_waitcnt lgkmcnt(0)
	s_waitcnt_vscnt null, 0x0
	s_barrier
	buffer_gl0_inv
	s_and_saveexec_b32 s1, s0
	s_cbranch_execz .LBB107_844
; %bb.835:
	v_cmp_ne_u32_e32 vcc_lo, 1, v94
	s_cbranch_vccnz .LBB107_837
; %bb.836:
	scratch_load_b64 v[89:90], v93, off
	ds_load_b64 v[95:96], v92
	s_waitcnt vmcnt(0) lgkmcnt(0)
	v_mul_f64 v[89:90], v[89:90], v[95:96]
	s_cbranch_execz .LBB107_838
	s_branch .LBB107_839
.LBB107_837:
                                        ; implicit-def: $vgpr89_vgpr90
.LBB107_838:
	ds_load_b64 v[89:90], v92
.LBB107_839:
	s_mov_b32 s2, exec_lo
	v_cmpx_ne_u32_e32 41, v0
	s_cbranch_execz .LBB107_843
; %bb.840:
	v_add_nc_u32_e32 v95, 0x168, v91
	v_add3_u32 v96, 0, v91, 8
	v_mov_b32_e32 v97, v0
	s_mov_b32 s3, 0
.LBB107_841:                            ; =>This Inner Loop Header: Depth=1
	scratch_load_b64 v[98:99], v96, off
	ds_load_b64 v[100:101], v95
	v_add_nc_u32_e32 v97, 1, v97
	v_add_nc_u32_e32 v95, 8, v95
	;; [unrolled: 1-line block ×3, first 2 shown]
	s_delay_alu instid0(VALU_DEP_3)
	v_cmp_lt_u32_e32 vcc_lo, 40, v97
	s_or_b32 s3, vcc_lo, s3
	s_waitcnt vmcnt(0) lgkmcnt(0)
	v_fma_f64 v[89:90], v[98:99], v[100:101], v[89:90]
	s_and_not1_b32 exec_lo, exec_lo, s3
	s_cbranch_execnz .LBB107_841
; %bb.842:
	s_or_b32 exec_lo, exec_lo, s3
.LBB107_843:
	s_delay_alu instid0(SALU_CYCLE_1)
	s_or_b32 exec_lo, exec_lo, s2
	v_mov_b32_e32 v95, 0
	ds_load_b64 v[95:96], v95 offset:336
	s_waitcnt lgkmcnt(0)
	v_mul_f64 v[89:90], v[89:90], v[95:96]
	scratch_store_b64 off, v[89:90], off offset:336
.LBB107_844:
	s_or_b32 exec_lo, exec_lo, s1
	scratch_load_b64 v[89:90], off, off offset:344
	s_mov_b32 s1, exec_lo
	s_waitcnt vmcnt(0)
	ds_store_b64 v92, v[89:90]
	s_waitcnt lgkmcnt(0)
	s_waitcnt_vscnt null, 0x0
	s_barrier
	buffer_gl0_inv
	v_cmpx_ne_u32_e32 43, v0
	s_cbranch_execz .LBB107_854
; %bb.845:
	v_cmp_ne_u32_e32 vcc_lo, 1, v94
	s_cbranch_vccnz .LBB107_847
; %bb.846:
	scratch_load_b64 v[89:90], v93, off
	ds_load_b64 v[93:94], v92
	s_waitcnt vmcnt(0) lgkmcnt(0)
	v_mul_f64 v[89:90], v[89:90], v[93:94]
	s_cbranch_execz .LBB107_848
	s_branch .LBB107_849
.LBB107_847:
                                        ; implicit-def: $vgpr89_vgpr90
.LBB107_848:
	ds_load_b64 v[89:90], v92
.LBB107_849:
	s_and_saveexec_b32 s2, s0
	s_cbranch_execz .LBB107_853
; %bb.850:
	v_add_nc_u32_e32 v92, 0x168, v91
	v_add3_u32 v91, 0, v91, 8
	s_mov_b32 s0, 0
.LBB107_851:                            ; =>This Inner Loop Header: Depth=1
	scratch_load_b64 v[93:94], v91, off
	ds_load_b64 v[95:96], v92
	v_add_nc_u32_e32 v0, 1, v0
	v_add_nc_u32_e32 v92, 8, v92
	;; [unrolled: 1-line block ×3, first 2 shown]
	s_delay_alu instid0(VALU_DEP_3)
	v_cmp_lt_u32_e32 vcc_lo, 41, v0
	s_or_b32 s0, vcc_lo, s0
	s_waitcnt vmcnt(0) lgkmcnt(0)
	v_fma_f64 v[89:90], v[93:94], v[95:96], v[89:90]
	s_and_not1_b32 exec_lo, exec_lo, s0
	s_cbranch_execnz .LBB107_851
; %bb.852:
	s_or_b32 exec_lo, exec_lo, s0
.LBB107_853:
	s_delay_alu instid0(SALU_CYCLE_1)
	s_or_b32 exec_lo, exec_lo, s2
	v_mov_b32_e32 v0, 0
	ds_load_b64 v[91:92], v0 offset:344
	s_waitcnt lgkmcnt(0)
	v_mul_f64 v[89:90], v[89:90], v[91:92]
	scratch_store_b64 off, v[89:90], off offset:344
.LBB107_854:
	s_or_b32 exec_lo, exec_lo, s1
.LBB107_855:
	s_clause 0xd
	scratch_load_b128 v[89:92], off, off
	scratch_load_b128 v[93:96], off, off offset:16
	scratch_load_b128 v[97:100], off, off offset:32
	;; [unrolled: 1-line block ×13, first 2 shown]
	s_waitcnt vmcnt(13)
	s_clause 0x1
	global_store_b64 v[31:32], v[89:90], off
	global_store_b64 v[29:30], v[91:92], off
	s_clause 0x1
	scratch_load_b128 v[29:32], off, off offset:208
	scratch_load_b128 v[89:92], off, off offset:224
	s_waitcnt vmcnt(14)
	s_clause 0x1
	global_store_b64 v[23:24], v[93:94], off
	global_store_b64 v[17:18], v[95:96], off
	scratch_load_b128 v[93:96], off, off offset:240
	s_waitcnt vmcnt(14)
	global_store_b64 v[15:16], v[97:98], off
	scratch_load_b128 v[15:18], off, off offset:256
	global_store_b64 v[13:14], v[99:100], off
	scratch_load_b128 v[97:100], off, off offset:272
	s_waitcnt vmcnt(15)
	s_clause 0x1
	global_store_b64 v[9:10], v[101:102], off
	global_store_b64 v[3:4], v[103:104], off
	scratch_load_b128 v[101:104], off, off offset:304
	s_waitcnt vmcnt(15)
	global_store_b64 v[11:12], v[105:106], off
	scratch_load_b128 v[9:12], off, off offset:320
	global_store_b64 v[7:8], v[107:108], off
	scratch_load_b128 v[105:108], off, off offset:336
	s_waitcnt vmcnt(16)
	s_clause 0x1
	global_store_b64 v[1:2], v[109:110], off
	global_store_b64 v[5:6], v[111:112], off
	s_waitcnt vmcnt(15)
	s_clause 0x1
	global_store_b64 v[19:20], v[113:114], off
	global_store_b64 v[21:22], v[115:116], off
	;; [unrolled: 4-line block ×13, first 2 shown]
	global_store_b64 v[75:76], v[141:142], off
	global_store_b64 v[77:78], v[143:144], off
	s_waitcnt vmcnt(2)
	s_clause 0x1
	global_store_b64 v[79:80], v[101:102], off
	global_store_b64 v[81:82], v[103:104], off
	s_waitcnt vmcnt(1)
	s_clause 0x1
	global_store_b64 v[85:86], v[9:10], off
	global_store_b64 v[87:88], v[11:12], off
	s_waitcnt vmcnt(0)
	s_clause 0x1
	global_store_b64 v[83:84], v[105:106], off
	global_store_b64 v[43:44], v[107:108], off
.LBB107_856:
	s_endpgm
	.section	.rodata,"a",@progbits
	.p2align	6, 0x0
	.amdhsa_kernel _ZN9rocsolver6v33100L18trti2_kernel_smallILi44EdPKPdEEv13rocblas_fill_17rocblas_diagonal_T1_iil
		.amdhsa_group_segment_fixed_size 704
		.amdhsa_private_segment_fixed_size 368
		.amdhsa_kernarg_size 32
		.amdhsa_user_sgpr_count 15
		.amdhsa_user_sgpr_dispatch_ptr 0
		.amdhsa_user_sgpr_queue_ptr 0
		.amdhsa_user_sgpr_kernarg_segment_ptr 1
		.amdhsa_user_sgpr_dispatch_id 0
		.amdhsa_user_sgpr_private_segment_size 0
		.amdhsa_wavefront_size32 1
		.amdhsa_uses_dynamic_stack 0
		.amdhsa_enable_private_segment 1
		.amdhsa_system_sgpr_workgroup_id_x 1
		.amdhsa_system_sgpr_workgroup_id_y 0
		.amdhsa_system_sgpr_workgroup_id_z 0
		.amdhsa_system_sgpr_workgroup_info 0
		.amdhsa_system_vgpr_workitem_id 0
		.amdhsa_next_free_vgpr 146
		.amdhsa_next_free_sgpr 19
		.amdhsa_reserve_vcc 1
		.amdhsa_float_round_mode_32 0
		.amdhsa_float_round_mode_16_64 0
		.amdhsa_float_denorm_mode_32 3
		.amdhsa_float_denorm_mode_16_64 3
		.amdhsa_dx10_clamp 1
		.amdhsa_ieee_mode 1
		.amdhsa_fp16_overflow 0
		.amdhsa_workgroup_processor_mode 1
		.amdhsa_memory_ordered 1
		.amdhsa_forward_progress 0
		.amdhsa_shared_vgpr_count 0
		.amdhsa_exception_fp_ieee_invalid_op 0
		.amdhsa_exception_fp_denorm_src 0
		.amdhsa_exception_fp_ieee_div_zero 0
		.amdhsa_exception_fp_ieee_overflow 0
		.amdhsa_exception_fp_ieee_underflow 0
		.amdhsa_exception_fp_ieee_inexact 0
		.amdhsa_exception_int_div_zero 0
	.end_amdhsa_kernel
	.section	.text._ZN9rocsolver6v33100L18trti2_kernel_smallILi44EdPKPdEEv13rocblas_fill_17rocblas_diagonal_T1_iil,"axG",@progbits,_ZN9rocsolver6v33100L18trti2_kernel_smallILi44EdPKPdEEv13rocblas_fill_17rocblas_diagonal_T1_iil,comdat
.Lfunc_end107:
	.size	_ZN9rocsolver6v33100L18trti2_kernel_smallILi44EdPKPdEEv13rocblas_fill_17rocblas_diagonal_T1_iil, .Lfunc_end107-_ZN9rocsolver6v33100L18trti2_kernel_smallILi44EdPKPdEEv13rocblas_fill_17rocblas_diagonal_T1_iil
                                        ; -- End function
	.section	.AMDGPU.csdata,"",@progbits
; Kernel info:
; codeLenInByte = 23988
; NumSgprs: 21
; NumVgprs: 146
; ScratchSize: 368
; MemoryBound: 0
; FloatMode: 240
; IeeeMode: 1
; LDSByteSize: 704 bytes/workgroup (compile time only)
; SGPRBlocks: 2
; VGPRBlocks: 18
; NumSGPRsForWavesPerEU: 21
; NumVGPRsForWavesPerEU: 146
; Occupancy: 9
; WaveLimiterHint : 1
; COMPUTE_PGM_RSRC2:SCRATCH_EN: 1
; COMPUTE_PGM_RSRC2:USER_SGPR: 15
; COMPUTE_PGM_RSRC2:TRAP_HANDLER: 0
; COMPUTE_PGM_RSRC2:TGID_X_EN: 1
; COMPUTE_PGM_RSRC2:TGID_Y_EN: 0
; COMPUTE_PGM_RSRC2:TGID_Z_EN: 0
; COMPUTE_PGM_RSRC2:TIDIG_COMP_CNT: 0
	.section	.text._ZN9rocsolver6v33100L18trti2_kernel_smallILi45EdPKPdEEv13rocblas_fill_17rocblas_diagonal_T1_iil,"axG",@progbits,_ZN9rocsolver6v33100L18trti2_kernel_smallILi45EdPKPdEEv13rocblas_fill_17rocblas_diagonal_T1_iil,comdat
	.globl	_ZN9rocsolver6v33100L18trti2_kernel_smallILi45EdPKPdEEv13rocblas_fill_17rocblas_diagonal_T1_iil ; -- Begin function _ZN9rocsolver6v33100L18trti2_kernel_smallILi45EdPKPdEEv13rocblas_fill_17rocblas_diagonal_T1_iil
	.p2align	8
	.type	_ZN9rocsolver6v33100L18trti2_kernel_smallILi45EdPKPdEEv13rocblas_fill_17rocblas_diagonal_T1_iil,@function
_ZN9rocsolver6v33100L18trti2_kernel_smallILi45EdPKPdEEv13rocblas_fill_17rocblas_diagonal_T1_iil: ; @_ZN9rocsolver6v33100L18trti2_kernel_smallILi45EdPKPdEEv13rocblas_fill_17rocblas_diagonal_T1_iil
; %bb.0:
	s_mov_b32 s2, exec_lo
	v_cmpx_gt_u32_e32 45, v0
	s_cbranch_execz .LBB108_876
; %bb.1:
	s_clause 0x1
	s_load_b64 s[4:5], s[0:1], 0x10
	s_load_b128 s[0:3], s[0:1], 0x0
	s_mov_b32 s6, s15
	s_ashr_i32 s7, s15, 31
	v_lshlrev_b32_e32 v103, 3, v0
	s_lshl_b64 s[6:7], s[6:7], 3
	s_waitcnt lgkmcnt(0)
	v_add3_u32 v1, s5, s5, v0
	s_ashr_i32 s9, s4, 31
	s_add_u32 s2, s2, s6
	s_addc_u32 s3, s3, s7
	s_mov_b32 s8, s4
	v_add_nc_u32_e32 v3, s5, v1
	s_load_b64 s[2:3], s[2:3], 0x0
	v_ashrrev_i32_e32 v2, 31, v1
	s_lshl_b64 s[8:9], s[8:9], 3
	s_mov_b32 s6, s5
	v_add_nc_u32_e32 v5, s5, v3
	v_ashrrev_i32_e32 v4, 31, v3
	v_lshlrev_b64 v[9:10], 3, v[1:2]
	s_delay_alu instid0(VALU_DEP_3) | instskip(SKIP_1) | instid1(VALU_DEP_4)
	v_add_nc_u32_e32 v7, s5, v5
	v_ashrrev_i32_e32 v6, 31, v5
	v_lshlrev_b64 v[3:4], 3, v[3:4]
	s_delay_alu instid0(VALU_DEP_3) | instskip(NEXT) | instid1(VALU_DEP_3)
	v_add_nc_u32_e32 v11, s5, v7
	v_lshlrev_b64 v[5:6], 3, v[5:6]
	v_ashrrev_i32_e32 v8, 31, v7
	s_delay_alu instid0(VALU_DEP_3)
	v_add_nc_u32_e32 v19, s5, v11
	s_waitcnt lgkmcnt(0)
	s_add_u32 s2, s2, s8
	s_addc_u32 s3, s3, s9
	v_add_co_u32 v21, vcc_lo, s2, v9
	v_add_nc_u32_e32 v23, s5, v19
	v_add_co_ci_u32_e32 v22, vcc_lo, s3, v10, vcc_lo
	v_add_co_u32 v15, vcc_lo, s2, v3
	s_delay_alu instid0(VALU_DEP_3) | instskip(SKIP_3) | instid1(VALU_DEP_3)
	v_add_nc_u32_e32 v25, s5, v23
	v_ashrrev_i32_e32 v12, 31, v11
	v_add_co_u32 v33, s4, s2, v103
	s_ashr_i32 s7, s5, 31
	v_add_nc_u32_e32 v31, s5, v25
	v_add_co_ci_u32_e32 v16, vcc_lo, s3, v4, vcc_lo
	v_lshlrev_b64 v[7:8], 3, v[7:8]
	v_add_co_ci_u32_e64 v34, null, s3, 0, s4
	v_add_co_u32 v13, vcc_lo, s2, v5
	v_add_nc_u32_e32 v35, s5, v31
	s_lshl_b64 s[6:7], s[6:7], 3
	v_ashrrev_i32_e32 v20, 31, v19
	v_add_co_ci_u32_e32 v14, vcc_lo, s3, v6, vcc_lo
	v_add_co_u32 v29, vcc_lo, v33, s6
	v_lshlrev_b64 v[3:4], 3, v[11:12]
	v_add_co_ci_u32_e32 v30, vcc_lo, s7, v34, vcc_lo
	v_add_nc_u32_e32 v37, s5, v35
	v_add_co_u32 v17, vcc_lo, s2, v7
	v_lshlrev_b64 v[11:12], 3, v[19:20]
	v_ashrrev_i32_e32 v24, 31, v23
	v_add_co_ci_u32_e32 v18, vcc_lo, s3, v8, vcc_lo
	v_add_co_u32 v19, vcc_lo, s2, v3
	v_ashrrev_i32_e32 v26, 31, v25
	v_add_nc_u32_e32 v39, s5, v37
	v_add_co_ci_u32_e32 v20, vcc_lo, s3, v4, vcc_lo
	v_lshlrev_b64 v[27:28], 3, v[23:24]
	v_add_co_u32 v23, vcc_lo, s2, v11
	v_add_co_ci_u32_e32 v24, vcc_lo, s3, v12, vcc_lo
	v_lshlrev_b64 v[11:12], 3, v[25:26]
	v_ashrrev_i32_e32 v32, 31, v31
	v_add_nc_u32_e32 v41, s5, v39
	v_add_co_u32 v25, vcc_lo, s2, v27
	v_ashrrev_i32_e32 v36, 31, v35
	v_add_co_ci_u32_e32 v26, vcc_lo, s3, v28, vcc_lo
	v_lshlrev_b64 v[27:28], 3, v[31:32]
	v_add_co_u32 v31, vcc_lo, s2, v11
	v_add_nc_u32_e32 v43, s5, v41
	v_add_co_ci_u32_e32 v32, vcc_lo, s3, v12, vcc_lo
	v_lshlrev_b64 v[11:12], 3, v[35:36]
	v_ashrrev_i32_e32 v38, 31, v37
	v_add_co_u32 v27, vcc_lo, s2, v27
	v_ashrrev_i32_e32 v40, 31, v39
	v_add_nc_u32_e32 v45, s5, v43
	v_add_co_ci_u32_e32 v28, vcc_lo, s3, v28, vcc_lo
	v_lshlrev_b64 v[37:38], 3, v[37:38]
	v_add_co_u32 v35, vcc_lo, s2, v11
	v_add_co_ci_u32_e32 v36, vcc_lo, s3, v12, vcc_lo
	v_lshlrev_b64 v[11:12], 3, v[39:40]
	v_ashrrev_i32_e32 v42, 31, v41
	v_add_nc_u32_e32 v47, s5, v45
	v_add_co_u32 v37, vcc_lo, s2, v37
	v_ashrrev_i32_e32 v44, 31, v43
	v_add_co_ci_u32_e32 v38, vcc_lo, s3, v38, vcc_lo
	v_lshlrev_b64 v[41:42], 3, v[41:42]
	v_add_nc_u32_e32 v49, s5, v47
	v_add_co_u32 v39, vcc_lo, s2, v11
	v_add_co_ci_u32_e32 v40, vcc_lo, s3, v12, vcc_lo
	v_lshlrev_b64 v[11:12], 3, v[43:44]
	v_ashrrev_i32_e32 v46, 31, v45
	v_add_nc_u32_e32 v51, s5, v49
	v_add_co_u32 v41, vcc_lo, s2, v41
	v_ashrrev_i32_e32 v48, 31, v47
	v_add_co_ci_u32_e32 v42, vcc_lo, s3, v42, vcc_lo
	v_lshlrev_b64 v[45:46], 3, v[45:46]
	v_add_co_u32 v43, vcc_lo, s2, v11
	v_add_nc_u32_e32 v53, s5, v51
	v_add_co_ci_u32_e32 v44, vcc_lo, s3, v12, vcc_lo
	v_lshlrev_b64 v[11:12], 3, v[47:48]
	v_ashrrev_i32_e32 v50, 31, v49
	v_add_co_u32 v45, vcc_lo, s2, v45
	v_ashrrev_i32_e32 v52, 31, v51
	v_add_nc_u32_e32 v57, s5, v53
	v_add_co_ci_u32_e32 v46, vcc_lo, s3, v46, vcc_lo
	v_lshlrev_b64 v[49:50], 3, v[49:50]
	v_add_co_u32 v47, vcc_lo, s2, v11
	v_ashrrev_i32_e32 v54, 31, v53
	v_add_co_ci_u32_e32 v48, vcc_lo, s3, v12, vcc_lo
	v_lshlrev_b64 v[11:12], 3, v[51:52]
	v_ashrrev_i32_e32 v58, 31, v57
	v_add_co_u32 v49, vcc_lo, s2, v49
	v_lshlrev_b64 v[53:54], 3, v[53:54]
	v_add_co_ci_u32_e32 v50, vcc_lo, s3, v50, vcc_lo
	v_add_co_u32 v51, vcc_lo, s2, v11
	v_lshlrev_b64 v[55:56], 3, v[57:58]
	s_clause 0x4
	global_load_b64 v[1:2], v103, s[2:3]
	global_load_b64 v[3:4], v[29:30], off
	global_load_b64 v[5:6], v[21:22], off
	;; [unrolled: 1-line block ×4, first 2 shown]
	v_add_co_ci_u32_e32 v52, vcc_lo, s3, v12, vcc_lo
	s_clause 0x4
	global_load_b64 v[11:12], v[17:18], off
	global_load_b64 v[104:105], v[19:20], off
	;; [unrolled: 1-line block ×5, first 2 shown]
	v_add_co_u32 v53, vcc_lo, s2, v53
	v_add_co_ci_u32_e32 v54, vcc_lo, s3, v54, vcc_lo
	s_clause 0x7
	global_load_b64 v[112:113], v[27:28], off
	global_load_b64 v[114:115], v[35:36], off
	global_load_b64 v[116:117], v[37:38], off
	global_load_b64 v[118:119], v[39:40], off
	global_load_b64 v[120:121], v[41:42], off
	global_load_b64 v[122:123], v[43:44], off
	global_load_b64 v[124:125], v[45:46], off
	global_load_b64 v[126:127], v[47:48], off
	v_add_co_u32 v55, vcc_lo, s2, v55
	v_add_co_ci_u32_e32 v56, vcc_lo, s3, v56, vcc_lo
	s_clause 0x3
	global_load_b64 v[128:129], v[49:50], off
	global_load_b64 v[130:131], v[51:52], off
	;; [unrolled: 1-line block ×4, first 2 shown]
	v_add_nc_u32_e32 v57, s5, v57
	s_cmpk_lg_i32 s1, 0x84
	s_delay_alu instid0(VALU_DEP_1) | instskip(SKIP_1) | instid1(VALU_DEP_2)
	v_add_nc_u32_e32 v59, s5, v57
	v_ashrrev_i32_e32 v58, 31, v57
	v_add_nc_u32_e32 v61, s5, v59
	v_ashrrev_i32_e32 v60, 31, v59
	s_delay_alu instid0(VALU_DEP_3) | instskip(NEXT) | instid1(VALU_DEP_3)
	v_lshlrev_b64 v[57:58], 3, v[57:58]
	v_add_nc_u32_e32 v63, s5, v61
	v_ashrrev_i32_e32 v62, 31, v61
	s_delay_alu instid0(VALU_DEP_4) | instskip(NEXT) | instid1(VALU_DEP_4)
	v_lshlrev_b64 v[59:60], 3, v[59:60]
	v_add_co_u32 v57, vcc_lo, s2, v57
	s_delay_alu instid0(VALU_DEP_4) | instskip(SKIP_3) | instid1(VALU_DEP_4)
	v_add_nc_u32_e32 v65, s5, v63
	v_ashrrev_i32_e32 v64, 31, v63
	v_lshlrev_b64 v[61:62], 3, v[61:62]
	v_add_co_ci_u32_e32 v58, vcc_lo, s3, v58, vcc_lo
	v_add_nc_u32_e32 v67, s5, v65
	v_ashrrev_i32_e32 v66, 31, v65
	v_add_co_u32 v59, vcc_lo, s2, v59
	v_lshlrev_b64 v[63:64], 3, v[63:64]
	s_delay_alu instid0(VALU_DEP_4) | instskip(SKIP_3) | instid1(VALU_DEP_4)
	v_add_nc_u32_e32 v69, s5, v67
	v_ashrrev_i32_e32 v68, 31, v67
	v_add_co_ci_u32_e32 v60, vcc_lo, s3, v60, vcc_lo
	v_add_co_u32 v61, vcc_lo, s2, v61
	v_add_nc_u32_e32 v71, s5, v69
	v_lshlrev_b64 v[65:66], 3, v[65:66]
	v_ashrrev_i32_e32 v70, 31, v69
	v_add_co_ci_u32_e32 v62, vcc_lo, s3, v62, vcc_lo
	s_delay_alu instid0(VALU_DEP_4) | instskip(SKIP_3) | instid1(VALU_DEP_4)
	v_add_nc_u32_e32 v73, s5, v71
	v_add_co_u32 v63, vcc_lo, s2, v63
	v_lshlrev_b64 v[67:68], 3, v[67:68]
	v_ashrrev_i32_e32 v72, 31, v71
	v_add_nc_u32_e32 v75, s5, v73
	v_add_co_ci_u32_e32 v64, vcc_lo, s3, v64, vcc_lo
	v_add_co_u32 v65, vcc_lo, s2, v65
	s_delay_alu instid0(VALU_DEP_3) | instskip(SKIP_3) | instid1(VALU_DEP_4)
	v_add_nc_u32_e32 v77, s5, v75
	v_lshlrev_b64 v[69:70], 3, v[69:70]
	v_ashrrev_i32_e32 v74, 31, v73
	v_add_co_ci_u32_e32 v66, vcc_lo, s3, v66, vcc_lo
	v_add_nc_u32_e32 v79, s5, v77
	v_add_co_u32 v67, vcc_lo, s2, v67
	v_lshlrev_b64 v[71:72], 3, v[71:72]
	v_ashrrev_i32_e32 v76, 31, v75
	s_delay_alu instid0(VALU_DEP_4) | instskip(SKIP_2) | instid1(VALU_DEP_3)
	v_add_nc_u32_e32 v81, s5, v79
	v_add_co_ci_u32_e32 v68, vcc_lo, s3, v68, vcc_lo
	v_add_co_u32 v69, vcc_lo, s2, v69
	v_add_nc_u32_e32 v83, s5, v81
	v_lshlrev_b64 v[73:74], 3, v[73:74]
	v_ashrrev_i32_e32 v78, 31, v77
	v_add_co_ci_u32_e32 v70, vcc_lo, s3, v70, vcc_lo
	s_delay_alu instid0(VALU_DEP_4) | instskip(SKIP_3) | instid1(VALU_DEP_4)
	v_add_nc_u32_e32 v85, s5, v83
	v_add_co_u32 v71, vcc_lo, s2, v71
	v_lshlrev_b64 v[75:76], 3, v[75:76]
	v_ashrrev_i32_e32 v80, 31, v79
	v_add_nc_u32_e32 v87, s5, v85
	v_add_co_ci_u32_e32 v72, vcc_lo, s3, v72, vcc_lo
	v_add_co_u32 v73, vcc_lo, s2, v73
	s_delay_alu instid0(VALU_DEP_3) | instskip(SKIP_3) | instid1(VALU_DEP_4)
	v_add_nc_u32_e32 v89, s5, v87
	v_lshlrev_b64 v[77:78], 3, v[77:78]
	v_ashrrev_i32_e32 v82, 31, v81
	v_add_co_ci_u32_e32 v74, vcc_lo, s3, v74, vcc_lo
	v_add_nc_u32_e32 v91, s5, v89
	v_add_co_u32 v75, vcc_lo, s2, v75
	v_lshlrev_b64 v[79:80], 3, v[79:80]
	v_ashrrev_i32_e32 v84, 31, v83
	v_add_co_ci_u32_e32 v76, vcc_lo, s3, v76, vcc_lo
	v_add_co_u32 v77, vcc_lo, s2, v77
	v_lshlrev_b64 v[81:82], 3, v[81:82]
	v_add_nc_u32_e32 v93, s5, v91
	v_ashrrev_i32_e32 v86, 31, v85
	v_add_co_ci_u32_e32 v78, vcc_lo, s3, v78, vcc_lo
	v_add_co_u32 v79, vcc_lo, s2, v79
	v_lshlrev_b64 v[83:84], 3, v[83:84]
	v_ashrrev_i32_e32 v88, 31, v87
	v_add_co_ci_u32_e32 v80, vcc_lo, s3, v80, vcc_lo
	v_add_nc_u32_e32 v95, s5, v93
	v_add_co_u32 v81, vcc_lo, s2, v81
	v_lshlrev_b64 v[85:86], 3, v[85:86]
	v_ashrrev_i32_e32 v90, 31, v89
	v_add_co_ci_u32_e32 v82, vcc_lo, s3, v82, vcc_lo
	v_add_co_u32 v83, vcc_lo, s2, v83
	v_lshlrev_b64 v[87:88], 3, v[87:88]
	v_ashrrev_i32_e32 v92, 31, v91
	v_add_nc_u32_e32 v97, s5, v95
	v_add_co_ci_u32_e32 v84, vcc_lo, s3, v84, vcc_lo
	v_add_co_u32 v85, vcc_lo, s2, v85
	v_lshlrev_b64 v[89:90], 3, v[89:90]
	v_ashrrev_i32_e32 v94, 31, v93
	v_add_co_ci_u32_e32 v86, vcc_lo, s3, v86, vcc_lo
	v_add_co_u32 v87, vcc_lo, s2, v87
	v_lshlrev_b64 v[91:92], 3, v[91:92]
	v_add_nc_u32_e32 v99, s5, v97
	v_ashrrev_i32_e32 v96, 31, v95
	v_add_co_ci_u32_e32 v88, vcc_lo, s3, v88, vcc_lo
	v_add_co_u32 v89, vcc_lo, s2, v89
	v_lshlrev_b64 v[93:94], 3, v[93:94]
	v_ashrrev_i32_e32 v98, 31, v97
	v_add_co_ci_u32_e32 v90, vcc_lo, s3, v90, vcc_lo
	v_add_nc_u32_e32 v101, s5, v99
	v_add_co_u32 v91, vcc_lo, s2, v91
	v_lshlrev_b64 v[95:96], 3, v[95:96]
	v_ashrrev_i32_e32 v100, 31, v99
	v_add_co_ci_u32_e32 v92, vcc_lo, s3, v92, vcc_lo
	v_add_co_u32 v93, vcc_lo, s2, v93
	v_lshlrev_b64 v[97:98], 3, v[97:98]
	v_ashrrev_i32_e32 v102, 31, v101
	v_add_co_ci_u32_e32 v94, vcc_lo, s3, v94, vcc_lo
	v_add_co_u32 v95, vcc_lo, s2, v95
	v_lshlrev_b64 v[99:100], 3, v[99:100]
	v_add_co_ci_u32_e32 v96, vcc_lo, s3, v96, vcc_lo
	v_add_co_u32 v97, vcc_lo, s2, v97
	v_lshlrev_b64 v[101:102], 3, v[101:102]
	v_add_co_ci_u32_e32 v98, vcc_lo, s3, v98, vcc_lo
	v_add_co_u32 v99, vcc_lo, s2, v99
	v_add_co_ci_u32_e32 v100, vcc_lo, s3, v100, vcc_lo
	s_delay_alu instid0(VALU_DEP_4)
	v_add_co_u32 v101, vcc_lo, s2, v101
	v_add_co_ci_u32_e32 v102, vcc_lo, s3, v102, vcc_lo
	s_cselect_b32 s3, -1, 0
	s_cmpk_eq_i32 s1, 0x84
	s_waitcnt vmcnt(20)
	scratch_store_b128 off, v[1:4], off
	s_clause 0x2
	global_load_b64 v[1:2], v[57:58], off
	global_load_b64 v[3:4], v[59:60], off
	global_load_b64 v[136:137], v[61:62], off
	s_waitcnt vmcnt(21)
	scratch_store_b128 off, v[5:8], off offset:16
	s_waitcnt vmcnt(19)
	scratch_store_b128 off, v[9:12], off offset:32
	s_clause 0x3
	global_load_b64 v[138:139], v[63:64], off
	global_load_b64 v[5:6], v[65:66], off
	global_load_b64 v[7:8], v[67:68], off
	global_load_b64 v[9:10], v[69:70], off
	s_waitcnt vmcnt(21)
	scratch_store_b128 off, v[104:107], off offset:48
	s_waitcnt vmcnt(19)
	scratch_store_b128 off, v[108:111], off offset:64
	s_clause 0x3
	global_load_b64 v[11:12], v[71:72], off
	;; [unrolled: 9-line block ×5, first 2 shown]
	global_load_b64 v[128:129], v[97:98], off
	global_load_b64 v[130:131], v[99:100], off
	;; [unrolled: 1-line block ×3, first 2 shown]
	s_waitcnt vmcnt(21)
	scratch_store_b128 off, v[1:4], off offset:176
	s_waitcnt vmcnt(19)
	scratch_store_b128 off, v[136:139], off offset:192
	;; [unrolled: 2-line block ×9, first 2 shown]
	v_mov_b32_e32 v1, 0
	v_mov_b32_e32 v2, 0xbff00000
	s_waitcnt vmcnt(3)
	scratch_store_b128 off, v[124:127], off offset:320
	s_waitcnt vmcnt(1)
	scratch_store_b128 off, v[128:131], off offset:336
	s_waitcnt vmcnt(0)
	scratch_store_b64 off, v[132:133], off offset:352
	s_cbranch_scc1 .LBB108_3
; %bb.2:
	scratch_load_b64 v[1:2], v103, off
	s_waitcnt vmcnt(0)
	v_div_scale_f64 v[3:4], null, v[1:2], v[1:2], 1.0
	v_div_scale_f64 v[9:10], vcc_lo, 1.0, v[1:2], 1.0
	s_delay_alu instid0(VALU_DEP_2) | instskip(SKIP_2) | instid1(VALU_DEP_1)
	v_rcp_f64_e32 v[5:6], v[3:4]
	s_waitcnt_depctr 0xfff
	v_fma_f64 v[7:8], -v[3:4], v[5:6], 1.0
	v_fma_f64 v[5:6], v[5:6], v[7:8], v[5:6]
	s_delay_alu instid0(VALU_DEP_1) | instskip(NEXT) | instid1(VALU_DEP_1)
	v_fma_f64 v[7:8], -v[3:4], v[5:6], 1.0
	v_fma_f64 v[5:6], v[5:6], v[7:8], v[5:6]
	s_delay_alu instid0(VALU_DEP_1) | instskip(NEXT) | instid1(VALU_DEP_1)
	v_mul_f64 v[7:8], v[9:10], v[5:6]
	v_fma_f64 v[3:4], -v[3:4], v[7:8], v[9:10]
	s_delay_alu instid0(VALU_DEP_1) | instskip(NEXT) | instid1(VALU_DEP_1)
	v_div_fmas_f64 v[3:4], v[3:4], v[5:6], v[7:8]
	v_div_fixup_f64 v[1:2], v[3:4], v[1:2], 1.0
	scratch_store_b64 v103, v[1:2], off
	v_xor_b32_e32 v2, 0x80000000, v2
.LBB108_3:
	v_add_nc_u32_e32 v3, 0x170, v103
	v_add_nc_u32_e32 v4, 0, v103
	s_cmpk_eq_i32 s0, 0x79
	s_mov_b32 s0, -1
	ds_store_b64 v103, v[1:2]
	s_cbranch_scc1 .LBB108_439
; %bb.4:
	scratch_load_b64 v[1:2], off, off offset:344
	v_cmp_eq_u32_e64 s0, 44, v0
	s_movk_i32 s1, 0x50
	s_movk_i32 s2, 0x60
	;; [unrolled: 1-line block ×17, first 2 shown]
	s_waitcnt vmcnt(0)
	ds_store_b64 v3, v[1:2]
	s_waitcnt lgkmcnt(0)
	s_waitcnt_vscnt null, 0x0
	s_barrier
	buffer_gl0_inv
	s_and_saveexec_b32 s19, s0
	s_cbranch_execz .LBB108_10
; %bb.5:
	s_and_b32 vcc_lo, exec_lo, s3
	s_cbranch_vccz .LBB108_7
; %bb.6:
	scratch_load_b64 v[1:2], v4, off
	ds_load_b64 v[5:6], v3
	s_waitcnt vmcnt(0) lgkmcnt(0)
	v_mul_f64 v[1:2], v[1:2], v[5:6]
	s_cbranch_execz .LBB108_8
	s_branch .LBB108_9
.LBB108_7:
                                        ; implicit-def: $vgpr1_vgpr2
.LBB108_8:
	ds_load_b64 v[1:2], v3
.LBB108_9:
	v_mov_b32_e32 v5, 0
	ds_load_b64 v[5:6], v5 offset:344
	s_waitcnt lgkmcnt(0)
	v_mul_f64 v[1:2], v[1:2], v[5:6]
	scratch_store_b64 off, v[1:2], off offset:344
.LBB108_10:
	s_or_b32 exec_lo, exec_lo, s19
	scratch_load_b64 v[1:2], off, off offset:336
	v_add_nc_u32_e64 v5, 0, 16
	v_add_nc_u32_e64 v6, 0, 32
	;; [unrolled: 1-line block ×21, first 2 shown]
	v_cmp_lt_u32_e64 s2, 42, v0
	s_waitcnt vmcnt(0)
	ds_store_b64 v3, v[1:2]
	s_waitcnt lgkmcnt(0)
	s_waitcnt_vscnt null, 0x0
	s_barrier
	buffer_gl0_inv
	s_and_saveexec_b32 s1, s2
	s_cbranch_execz .LBB108_18
; %bb.11:
	s_and_not1_b32 vcc_lo, exec_lo, s3
	s_cbranch_vccnz .LBB108_13
; %bb.12:
	scratch_load_b64 v[1:2], v4, off
	ds_load_b64 v[117:118], v3
	s_waitcnt vmcnt(0) lgkmcnt(0)
	v_mul_f64 v[1:2], v[1:2], v[117:118]
	s_cbranch_execz .LBB108_14
	s_branch .LBB108_15
.LBB108_13:
                                        ; implicit-def: $vgpr1_vgpr2
.LBB108_14:
	ds_load_b64 v[1:2], v3
.LBB108_15:
	s_and_saveexec_b32 s4, s0
	s_cbranch_execz .LBB108_17
; %bb.16:
	scratch_load_b64 v[117:118], off, off offset:344
	v_mov_b32_e32 v119, 0
	ds_load_b64 v[119:120], v119 offset:712
	s_waitcnt vmcnt(0) lgkmcnt(0)
	v_fma_f64 v[1:2], v[117:118], v[119:120], v[1:2]
.LBB108_17:
	s_or_b32 exec_lo, exec_lo, s4
	v_mov_b32_e32 v117, 0
	ds_load_b64 v[117:118], v117 offset:336
	s_waitcnt lgkmcnt(0)
	v_mul_f64 v[1:2], v[1:2], v[117:118]
	scratch_store_b64 off, v[1:2], off offset:336
.LBB108_18:
	s_or_b32 exec_lo, exec_lo, s1
	scratch_load_b64 v[1:2], off, off offset:328
	v_cmp_lt_u32_e64 s1, 41, v0
	s_waitcnt vmcnt(0)
	ds_store_b64 v3, v[1:2]
	s_waitcnt lgkmcnt(0)
	s_waitcnt_vscnt null, 0x0
	s_barrier
	buffer_gl0_inv
	s_and_saveexec_b32 s0, s1
	s_cbranch_execz .LBB108_28
; %bb.19:
	s_and_not1_b32 vcc_lo, exec_lo, s3
	s_cbranch_vccnz .LBB108_21
; %bb.20:
	scratch_load_b64 v[1:2], v4, off
	ds_load_b64 v[117:118], v3
	s_waitcnt vmcnt(0) lgkmcnt(0)
	v_mul_f64 v[1:2], v[1:2], v[117:118]
	s_cbranch_execz .LBB108_22
	s_branch .LBB108_23
.LBB108_21:
                                        ; implicit-def: $vgpr1_vgpr2
.LBB108_22:
	ds_load_b64 v[1:2], v3
.LBB108_23:
	s_and_saveexec_b32 s4, s2
	s_cbranch_execz .LBB108_27
; %bb.24:
	v_subrev_nc_u32_e32 v117, 42, v0
	s_movk_i32 s5, 0x2c0
	s_mov_b32 s2, 0
.LBB108_25:                             ; =>This Inner Loop Header: Depth=1
	scratch_load_b64 v[118:119], v116, off
	v_dual_mov_b32 v120, s5 :: v_dual_add_nc_u32 v117, -1, v117
	v_add_nc_u32_e32 v116, 8, v116
	s_add_i32 s5, s5, 8
	ds_load_b64 v[120:121], v120
	v_cmp_eq_u32_e32 vcc_lo, 0, v117
	s_or_b32 s2, vcc_lo, s2
	s_waitcnt vmcnt(0) lgkmcnt(0)
	v_fma_f64 v[1:2], v[118:119], v[120:121], v[1:2]
	s_and_not1_b32 exec_lo, exec_lo, s2
	s_cbranch_execnz .LBB108_25
; %bb.26:
	s_or_b32 exec_lo, exec_lo, s2
.LBB108_27:
	s_delay_alu instid0(SALU_CYCLE_1)
	s_or_b32 exec_lo, exec_lo, s4
	v_mov_b32_e32 v116, 0
	ds_load_b64 v[116:117], v116 offset:328
	s_waitcnt lgkmcnt(0)
	v_mul_f64 v[1:2], v[1:2], v[116:117]
	scratch_store_b64 off, v[1:2], off offset:328
.LBB108_28:
	s_or_b32 exec_lo, exec_lo, s0
	scratch_load_b64 v[1:2], off, off offset:320
	v_cmp_lt_u32_e64 s0, 40, v0
	s_waitcnt vmcnt(0)
	ds_store_b64 v3, v[1:2]
	s_waitcnt lgkmcnt(0)
	s_waitcnt_vscnt null, 0x0
	s_barrier
	buffer_gl0_inv
	s_and_saveexec_b32 s2, s0
	s_cbranch_execz .LBB108_38
; %bb.29:
	s_and_not1_b32 vcc_lo, exec_lo, s3
	s_cbranch_vccnz .LBB108_31
; %bb.30:
	scratch_load_b64 v[1:2], v4, off
	ds_load_b64 v[116:117], v3
	s_waitcnt vmcnt(0) lgkmcnt(0)
	v_mul_f64 v[1:2], v[1:2], v[116:117]
	s_cbranch_execz .LBB108_32
	s_branch .LBB108_33
.LBB108_31:
                                        ; implicit-def: $vgpr1_vgpr2
.LBB108_32:
	ds_load_b64 v[1:2], v3
.LBB108_33:
	s_and_saveexec_b32 s4, s1
	s_cbranch_execz .LBB108_37
; %bb.34:
	v_mov_b32_e32 v116, 0
	v_subrev_nc_u32_e32 v117, 41, v0
	s_movk_i32 s5, 0x2b8
	s_mov_b32 s1, 0
	s_delay_alu instid0(VALU_DEP_2)
	v_add_nc_u32_e32 v116, 0x148, v116
.LBB108_35:                             ; =>This Inner Loop Header: Depth=1
	scratch_load_b64 v[118:119], v116, off
	v_dual_mov_b32 v120, s5 :: v_dual_add_nc_u32 v117, -1, v117
	v_add_nc_u32_e32 v116, 8, v116
	s_add_i32 s5, s5, 8
	ds_load_b64 v[120:121], v120
	v_cmp_eq_u32_e32 vcc_lo, 0, v117
	s_or_b32 s1, vcc_lo, s1
	s_waitcnt vmcnt(0) lgkmcnt(0)
	v_fma_f64 v[1:2], v[118:119], v[120:121], v[1:2]
	s_and_not1_b32 exec_lo, exec_lo, s1
	s_cbranch_execnz .LBB108_35
; %bb.36:
	s_or_b32 exec_lo, exec_lo, s1
.LBB108_37:
	s_delay_alu instid0(SALU_CYCLE_1)
	s_or_b32 exec_lo, exec_lo, s4
	v_mov_b32_e32 v116, 0
	ds_load_b64 v[116:117], v116 offset:320
	s_waitcnt lgkmcnt(0)
	v_mul_f64 v[1:2], v[1:2], v[116:117]
	scratch_store_b64 off, v[1:2], off offset:320
.LBB108_38:
	s_or_b32 exec_lo, exec_lo, s2
	scratch_load_b64 v[1:2], off, off offset:312
	v_cmp_lt_u32_e64 s1, 39, v0
	s_waitcnt vmcnt(0)
	ds_store_b64 v3, v[1:2]
	s_waitcnt lgkmcnt(0)
	s_waitcnt_vscnt null, 0x0
	s_barrier
	buffer_gl0_inv
	s_and_saveexec_b32 s2, s1
	s_cbranch_execz .LBB108_48
; %bb.39:
	s_and_not1_b32 vcc_lo, exec_lo, s3
	s_cbranch_vccnz .LBB108_41
; %bb.40:
	scratch_load_b64 v[1:2], v4, off
	ds_load_b64 v[116:117], v3
	s_waitcnt vmcnt(0) lgkmcnt(0)
	v_mul_f64 v[1:2], v[1:2], v[116:117]
	s_cbranch_execz .LBB108_42
	s_branch .LBB108_43
.LBB108_41:
                                        ; implicit-def: $vgpr1_vgpr2
.LBB108_42:
	ds_load_b64 v[1:2], v3
.LBB108_43:
	s_and_saveexec_b32 s4, s0
	s_cbranch_execz .LBB108_47
; %bb.44:
	v_subrev_nc_u32_e32 v116, 40, v0
	s_movk_i32 s5, 0x2b0
	s_mov_b32 s0, 0
.LBB108_45:                             ; =>This Inner Loop Header: Depth=1
	scratch_load_b64 v[117:118], v115, off
	v_dual_mov_b32 v119, s5 :: v_dual_add_nc_u32 v116, -1, v116
	v_add_nc_u32_e32 v115, 8, v115
	s_add_i32 s5, s5, 8
	ds_load_b64 v[119:120], v119
	v_cmp_eq_u32_e32 vcc_lo, 0, v116
	s_or_b32 s0, vcc_lo, s0
	s_waitcnt vmcnt(0) lgkmcnt(0)
	v_fma_f64 v[1:2], v[117:118], v[119:120], v[1:2]
	s_and_not1_b32 exec_lo, exec_lo, s0
	s_cbranch_execnz .LBB108_45
; %bb.46:
	s_or_b32 exec_lo, exec_lo, s0
.LBB108_47:
	s_delay_alu instid0(SALU_CYCLE_1)
	s_or_b32 exec_lo, exec_lo, s4
	v_mov_b32_e32 v115, 0
	ds_load_b64 v[115:116], v115 offset:312
	s_waitcnt lgkmcnt(0)
	v_mul_f64 v[1:2], v[1:2], v[115:116]
	scratch_store_b64 off, v[1:2], off offset:312
.LBB108_48:
	s_or_b32 exec_lo, exec_lo, s2
	scratch_load_b64 v[1:2], off, off offset:304
	v_cmp_lt_u32_e64 s0, 38, v0
	s_waitcnt vmcnt(0)
	ds_store_b64 v3, v[1:2]
	s_waitcnt lgkmcnt(0)
	s_waitcnt_vscnt null, 0x0
	s_barrier
	buffer_gl0_inv
	s_and_saveexec_b32 s2, s0
	s_cbranch_execz .LBB108_58
; %bb.49:
	s_and_not1_b32 vcc_lo, exec_lo, s3
	s_cbranch_vccnz .LBB108_51
; %bb.50:
	scratch_load_b64 v[1:2], v4, off
	ds_load_b64 v[115:116], v3
	s_waitcnt vmcnt(0) lgkmcnt(0)
	v_mul_f64 v[1:2], v[1:2], v[115:116]
	s_cbranch_execz .LBB108_52
	s_branch .LBB108_53
.LBB108_51:
                                        ; implicit-def: $vgpr1_vgpr2
.LBB108_52:
	ds_load_b64 v[1:2], v3
.LBB108_53:
	s_and_saveexec_b32 s4, s1
	s_cbranch_execz .LBB108_57
; %bb.54:
	v_mov_b32_e32 v115, 0
	v_subrev_nc_u32_e32 v116, 39, v0
	s_movk_i32 s5, 0x2a8
	s_mov_b32 s1, 0
	s_delay_alu instid0(VALU_DEP_2)
	v_add_nc_u32_e32 v115, 0x138, v115
.LBB108_55:                             ; =>This Inner Loop Header: Depth=1
	scratch_load_b64 v[117:118], v115, off
	v_dual_mov_b32 v119, s5 :: v_dual_add_nc_u32 v116, -1, v116
	v_add_nc_u32_e32 v115, 8, v115
	s_add_i32 s5, s5, 8
	ds_load_b64 v[119:120], v119
	v_cmp_eq_u32_e32 vcc_lo, 0, v116
	s_or_b32 s1, vcc_lo, s1
	s_waitcnt vmcnt(0) lgkmcnt(0)
	v_fma_f64 v[1:2], v[117:118], v[119:120], v[1:2]
	s_and_not1_b32 exec_lo, exec_lo, s1
	s_cbranch_execnz .LBB108_55
; %bb.56:
	s_or_b32 exec_lo, exec_lo, s1
.LBB108_57:
	s_delay_alu instid0(SALU_CYCLE_1)
	s_or_b32 exec_lo, exec_lo, s4
	v_mov_b32_e32 v115, 0
	ds_load_b64 v[115:116], v115 offset:304
	s_waitcnt lgkmcnt(0)
	v_mul_f64 v[1:2], v[1:2], v[115:116]
	scratch_store_b64 off, v[1:2], off offset:304
.LBB108_58:
	s_or_b32 exec_lo, exec_lo, s2
	scratch_load_b64 v[1:2], off, off offset:296
	v_cmp_lt_u32_e64 s1, 37, v0
	s_waitcnt vmcnt(0)
	ds_store_b64 v3, v[1:2]
	s_waitcnt lgkmcnt(0)
	s_waitcnt_vscnt null, 0x0
	s_barrier
	buffer_gl0_inv
	s_and_saveexec_b32 s2, s1
	s_cbranch_execz .LBB108_68
; %bb.59:
	s_and_not1_b32 vcc_lo, exec_lo, s3
	s_cbranch_vccnz .LBB108_61
; %bb.60:
	scratch_load_b64 v[1:2], v4, off
	ds_load_b64 v[115:116], v3
	s_waitcnt vmcnt(0) lgkmcnt(0)
	v_mul_f64 v[1:2], v[1:2], v[115:116]
	s_cbranch_execz .LBB108_62
	s_branch .LBB108_63
.LBB108_61:
                                        ; implicit-def: $vgpr1_vgpr2
.LBB108_62:
	ds_load_b64 v[1:2], v3
.LBB108_63:
	s_and_saveexec_b32 s4, s0
	s_cbranch_execz .LBB108_67
; %bb.64:
	v_subrev_nc_u32_e32 v115, 38, v0
	s_movk_i32 s5, 0x2a0
	s_mov_b32 s0, 0
.LBB108_65:                             ; =>This Inner Loop Header: Depth=1
	scratch_load_b64 v[116:117], v114, off
	v_dual_mov_b32 v118, s5 :: v_dual_add_nc_u32 v115, -1, v115
	v_add_nc_u32_e32 v114, 8, v114
	s_add_i32 s5, s5, 8
	ds_load_b64 v[118:119], v118
	v_cmp_eq_u32_e32 vcc_lo, 0, v115
	s_or_b32 s0, vcc_lo, s0
	s_waitcnt vmcnt(0) lgkmcnt(0)
	v_fma_f64 v[1:2], v[116:117], v[118:119], v[1:2]
	s_and_not1_b32 exec_lo, exec_lo, s0
	s_cbranch_execnz .LBB108_65
; %bb.66:
	s_or_b32 exec_lo, exec_lo, s0
.LBB108_67:
	s_delay_alu instid0(SALU_CYCLE_1)
	s_or_b32 exec_lo, exec_lo, s4
	v_mov_b32_e32 v114, 0
	ds_load_b64 v[114:115], v114 offset:296
	s_waitcnt lgkmcnt(0)
	v_mul_f64 v[1:2], v[1:2], v[114:115]
	scratch_store_b64 off, v[1:2], off offset:296
.LBB108_68:
	s_or_b32 exec_lo, exec_lo, s2
	scratch_load_b64 v[1:2], off, off offset:288
	v_cmp_lt_u32_e64 s0, 36, v0
	s_waitcnt vmcnt(0)
	ds_store_b64 v3, v[1:2]
	s_waitcnt lgkmcnt(0)
	s_waitcnt_vscnt null, 0x0
	s_barrier
	buffer_gl0_inv
	s_and_saveexec_b32 s2, s0
	s_cbranch_execz .LBB108_78
; %bb.69:
	s_and_not1_b32 vcc_lo, exec_lo, s3
	s_cbranch_vccnz .LBB108_71
; %bb.70:
	scratch_load_b64 v[1:2], v4, off
	ds_load_b64 v[114:115], v3
	s_waitcnt vmcnt(0) lgkmcnt(0)
	v_mul_f64 v[1:2], v[1:2], v[114:115]
	s_cbranch_execz .LBB108_72
	s_branch .LBB108_73
.LBB108_71:
                                        ; implicit-def: $vgpr1_vgpr2
.LBB108_72:
	ds_load_b64 v[1:2], v3
.LBB108_73:
	s_and_saveexec_b32 s4, s1
	s_cbranch_execz .LBB108_77
; %bb.74:
	v_mov_b32_e32 v114, 0
	v_subrev_nc_u32_e32 v115, 37, v0
	s_movk_i32 s5, 0x298
	s_mov_b32 s1, 0
	s_delay_alu instid0(VALU_DEP_2)
	v_add_nc_u32_e32 v114, 0x128, v114
.LBB108_75:                             ; =>This Inner Loop Header: Depth=1
	scratch_load_b64 v[116:117], v114, off
	v_dual_mov_b32 v118, s5 :: v_dual_add_nc_u32 v115, -1, v115
	v_add_nc_u32_e32 v114, 8, v114
	s_add_i32 s5, s5, 8
	ds_load_b64 v[118:119], v118
	v_cmp_eq_u32_e32 vcc_lo, 0, v115
	s_or_b32 s1, vcc_lo, s1
	s_waitcnt vmcnt(0) lgkmcnt(0)
	v_fma_f64 v[1:2], v[116:117], v[118:119], v[1:2]
	s_and_not1_b32 exec_lo, exec_lo, s1
	s_cbranch_execnz .LBB108_75
; %bb.76:
	s_or_b32 exec_lo, exec_lo, s1
.LBB108_77:
	s_delay_alu instid0(SALU_CYCLE_1)
	s_or_b32 exec_lo, exec_lo, s4
	v_mov_b32_e32 v114, 0
	ds_load_b64 v[114:115], v114 offset:288
	s_waitcnt lgkmcnt(0)
	v_mul_f64 v[1:2], v[1:2], v[114:115]
	scratch_store_b64 off, v[1:2], off offset:288
.LBB108_78:
	s_or_b32 exec_lo, exec_lo, s2
	scratch_load_b64 v[1:2], off, off offset:280
	v_cmp_lt_u32_e64 s1, 35, v0
	s_waitcnt vmcnt(0)
	ds_store_b64 v3, v[1:2]
	s_waitcnt lgkmcnt(0)
	s_waitcnt_vscnt null, 0x0
	s_barrier
	buffer_gl0_inv
	s_and_saveexec_b32 s2, s1
	s_cbranch_execz .LBB108_88
; %bb.79:
	s_and_not1_b32 vcc_lo, exec_lo, s3
	s_cbranch_vccnz .LBB108_81
; %bb.80:
	scratch_load_b64 v[1:2], v4, off
	ds_load_b64 v[114:115], v3
	s_waitcnt vmcnt(0) lgkmcnt(0)
	v_mul_f64 v[1:2], v[1:2], v[114:115]
	s_cbranch_execz .LBB108_82
	s_branch .LBB108_83
.LBB108_81:
                                        ; implicit-def: $vgpr1_vgpr2
.LBB108_82:
	ds_load_b64 v[1:2], v3
.LBB108_83:
	s_and_saveexec_b32 s4, s0
	s_cbranch_execz .LBB108_87
; %bb.84:
	v_subrev_nc_u32_e32 v114, 36, v0
	s_movk_i32 s5, 0x290
	s_mov_b32 s0, 0
.LBB108_85:                             ; =>This Inner Loop Header: Depth=1
	scratch_load_b64 v[115:116], v113, off
	v_dual_mov_b32 v117, s5 :: v_dual_add_nc_u32 v114, -1, v114
	v_add_nc_u32_e32 v113, 8, v113
	s_add_i32 s5, s5, 8
	ds_load_b64 v[117:118], v117
	v_cmp_eq_u32_e32 vcc_lo, 0, v114
	s_or_b32 s0, vcc_lo, s0
	s_waitcnt vmcnt(0) lgkmcnt(0)
	v_fma_f64 v[1:2], v[115:116], v[117:118], v[1:2]
	s_and_not1_b32 exec_lo, exec_lo, s0
	s_cbranch_execnz .LBB108_85
; %bb.86:
	s_or_b32 exec_lo, exec_lo, s0
.LBB108_87:
	s_delay_alu instid0(SALU_CYCLE_1)
	s_or_b32 exec_lo, exec_lo, s4
	v_mov_b32_e32 v113, 0
	ds_load_b64 v[113:114], v113 offset:280
	s_waitcnt lgkmcnt(0)
	v_mul_f64 v[1:2], v[1:2], v[113:114]
	scratch_store_b64 off, v[1:2], off offset:280
.LBB108_88:
	s_or_b32 exec_lo, exec_lo, s2
	scratch_load_b64 v[1:2], off, off offset:272
	v_cmp_lt_u32_e64 s0, 34, v0
	s_waitcnt vmcnt(0)
	ds_store_b64 v3, v[1:2]
	s_waitcnt lgkmcnt(0)
	s_waitcnt_vscnt null, 0x0
	s_barrier
	buffer_gl0_inv
	s_and_saveexec_b32 s2, s0
	s_cbranch_execz .LBB108_98
; %bb.89:
	s_and_not1_b32 vcc_lo, exec_lo, s3
	s_cbranch_vccnz .LBB108_91
; %bb.90:
	scratch_load_b64 v[1:2], v4, off
	ds_load_b64 v[113:114], v3
	s_waitcnt vmcnt(0) lgkmcnt(0)
	v_mul_f64 v[1:2], v[1:2], v[113:114]
	s_cbranch_execz .LBB108_92
	s_branch .LBB108_93
.LBB108_91:
                                        ; implicit-def: $vgpr1_vgpr2
.LBB108_92:
	ds_load_b64 v[1:2], v3
.LBB108_93:
	s_and_saveexec_b32 s4, s1
	s_cbranch_execz .LBB108_97
; %bb.94:
	v_mov_b32_e32 v113, 0
	v_subrev_nc_u32_e32 v114, 35, v0
	s_movk_i32 s5, 0x288
	s_mov_b32 s1, 0
	s_delay_alu instid0(VALU_DEP_2)
	v_add_nc_u32_e32 v113, 0x118, v113
.LBB108_95:                             ; =>This Inner Loop Header: Depth=1
	scratch_load_b64 v[115:116], v113, off
	v_dual_mov_b32 v117, s5 :: v_dual_add_nc_u32 v114, -1, v114
	v_add_nc_u32_e32 v113, 8, v113
	s_add_i32 s5, s5, 8
	ds_load_b64 v[117:118], v117
	v_cmp_eq_u32_e32 vcc_lo, 0, v114
	s_or_b32 s1, vcc_lo, s1
	s_waitcnt vmcnt(0) lgkmcnt(0)
	v_fma_f64 v[1:2], v[115:116], v[117:118], v[1:2]
	s_and_not1_b32 exec_lo, exec_lo, s1
	s_cbranch_execnz .LBB108_95
; %bb.96:
	s_or_b32 exec_lo, exec_lo, s1
.LBB108_97:
	s_delay_alu instid0(SALU_CYCLE_1)
	s_or_b32 exec_lo, exec_lo, s4
	v_mov_b32_e32 v113, 0
	ds_load_b64 v[113:114], v113 offset:272
	s_waitcnt lgkmcnt(0)
	v_mul_f64 v[1:2], v[1:2], v[113:114]
	scratch_store_b64 off, v[1:2], off offset:272
.LBB108_98:
	s_or_b32 exec_lo, exec_lo, s2
	scratch_load_b64 v[1:2], off, off offset:264
	v_cmp_lt_u32_e64 s1, 33, v0
	s_waitcnt vmcnt(0)
	ds_store_b64 v3, v[1:2]
	s_waitcnt lgkmcnt(0)
	s_waitcnt_vscnt null, 0x0
	s_barrier
	buffer_gl0_inv
	s_and_saveexec_b32 s2, s1
	s_cbranch_execz .LBB108_108
; %bb.99:
	s_and_not1_b32 vcc_lo, exec_lo, s3
	s_cbranch_vccnz .LBB108_101
; %bb.100:
	scratch_load_b64 v[1:2], v4, off
	ds_load_b64 v[113:114], v3
	s_waitcnt vmcnt(0) lgkmcnt(0)
	v_mul_f64 v[1:2], v[1:2], v[113:114]
	s_cbranch_execz .LBB108_102
	s_branch .LBB108_103
.LBB108_101:
                                        ; implicit-def: $vgpr1_vgpr2
.LBB108_102:
	ds_load_b64 v[1:2], v3
.LBB108_103:
	s_and_saveexec_b32 s4, s0
	s_cbranch_execz .LBB108_107
; %bb.104:
	v_subrev_nc_u32_e32 v113, 34, v0
	s_movk_i32 s5, 0x280
	s_mov_b32 s0, 0
.LBB108_105:                            ; =>This Inner Loop Header: Depth=1
	scratch_load_b64 v[114:115], v112, off
	v_dual_mov_b32 v116, s5 :: v_dual_add_nc_u32 v113, -1, v113
	v_add_nc_u32_e32 v112, 8, v112
	s_add_i32 s5, s5, 8
	ds_load_b64 v[116:117], v116
	v_cmp_eq_u32_e32 vcc_lo, 0, v113
	s_or_b32 s0, vcc_lo, s0
	s_waitcnt vmcnt(0) lgkmcnt(0)
	v_fma_f64 v[1:2], v[114:115], v[116:117], v[1:2]
	s_and_not1_b32 exec_lo, exec_lo, s0
	s_cbranch_execnz .LBB108_105
; %bb.106:
	s_or_b32 exec_lo, exec_lo, s0
.LBB108_107:
	s_delay_alu instid0(SALU_CYCLE_1)
	s_or_b32 exec_lo, exec_lo, s4
	v_mov_b32_e32 v112, 0
	ds_load_b64 v[112:113], v112 offset:264
	s_waitcnt lgkmcnt(0)
	v_mul_f64 v[1:2], v[1:2], v[112:113]
	scratch_store_b64 off, v[1:2], off offset:264
.LBB108_108:
	s_or_b32 exec_lo, exec_lo, s2
	scratch_load_b64 v[1:2], off, off offset:256
	v_cmp_lt_u32_e64 s0, 32, v0
	s_waitcnt vmcnt(0)
	ds_store_b64 v3, v[1:2]
	s_waitcnt lgkmcnt(0)
	s_waitcnt_vscnt null, 0x0
	s_barrier
	buffer_gl0_inv
	s_and_saveexec_b32 s2, s0
	s_cbranch_execz .LBB108_118
; %bb.109:
	s_and_not1_b32 vcc_lo, exec_lo, s3
	s_cbranch_vccnz .LBB108_111
; %bb.110:
	scratch_load_b64 v[1:2], v4, off
	ds_load_b64 v[112:113], v3
	s_waitcnt vmcnt(0) lgkmcnt(0)
	v_mul_f64 v[1:2], v[1:2], v[112:113]
	s_cbranch_execz .LBB108_112
	s_branch .LBB108_113
.LBB108_111:
                                        ; implicit-def: $vgpr1_vgpr2
.LBB108_112:
	ds_load_b64 v[1:2], v3
.LBB108_113:
	s_and_saveexec_b32 s4, s1
	s_cbranch_execz .LBB108_117
; %bb.114:
	v_mov_b32_e32 v112, 0
	v_subrev_nc_u32_e32 v113, 33, v0
	s_movk_i32 s5, 0x278
	s_mov_b32 s1, 0
	s_delay_alu instid0(VALU_DEP_2)
	v_add_nc_u32_e32 v112, 0x108, v112
.LBB108_115:                            ; =>This Inner Loop Header: Depth=1
	scratch_load_b64 v[114:115], v112, off
	v_dual_mov_b32 v116, s5 :: v_dual_add_nc_u32 v113, -1, v113
	v_add_nc_u32_e32 v112, 8, v112
	s_add_i32 s5, s5, 8
	ds_load_b64 v[116:117], v116
	v_cmp_eq_u32_e32 vcc_lo, 0, v113
	s_or_b32 s1, vcc_lo, s1
	s_waitcnt vmcnt(0) lgkmcnt(0)
	v_fma_f64 v[1:2], v[114:115], v[116:117], v[1:2]
	s_and_not1_b32 exec_lo, exec_lo, s1
	s_cbranch_execnz .LBB108_115
; %bb.116:
	s_or_b32 exec_lo, exec_lo, s1
.LBB108_117:
	s_delay_alu instid0(SALU_CYCLE_1)
	s_or_b32 exec_lo, exec_lo, s4
	v_mov_b32_e32 v112, 0
	ds_load_b64 v[112:113], v112 offset:256
	s_waitcnt lgkmcnt(0)
	v_mul_f64 v[1:2], v[1:2], v[112:113]
	scratch_store_b64 off, v[1:2], off offset:256
.LBB108_118:
	s_or_b32 exec_lo, exec_lo, s2
	scratch_load_b64 v[1:2], off, off offset:248
	v_cmp_lt_u32_e64 s1, 31, v0
	s_waitcnt vmcnt(0)
	ds_store_b64 v3, v[1:2]
	s_waitcnt lgkmcnt(0)
	s_waitcnt_vscnt null, 0x0
	s_barrier
	buffer_gl0_inv
	s_and_saveexec_b32 s2, s1
	s_cbranch_execz .LBB108_128
; %bb.119:
	s_and_not1_b32 vcc_lo, exec_lo, s3
	s_cbranch_vccnz .LBB108_121
; %bb.120:
	scratch_load_b64 v[1:2], v4, off
	ds_load_b64 v[112:113], v3
	s_waitcnt vmcnt(0) lgkmcnt(0)
	v_mul_f64 v[1:2], v[1:2], v[112:113]
	s_cbranch_execz .LBB108_122
	s_branch .LBB108_123
.LBB108_121:
                                        ; implicit-def: $vgpr1_vgpr2
.LBB108_122:
	ds_load_b64 v[1:2], v3
.LBB108_123:
	s_and_saveexec_b32 s4, s0
	s_cbranch_execz .LBB108_127
; %bb.124:
	v_subrev_nc_u32_e32 v112, 32, v0
	s_movk_i32 s5, 0x270
	s_mov_b32 s0, 0
.LBB108_125:                            ; =>This Inner Loop Header: Depth=1
	scratch_load_b64 v[113:114], v111, off
	v_dual_mov_b32 v115, s5 :: v_dual_add_nc_u32 v112, -1, v112
	v_add_nc_u32_e32 v111, 8, v111
	s_add_i32 s5, s5, 8
	ds_load_b64 v[115:116], v115
	v_cmp_eq_u32_e32 vcc_lo, 0, v112
	s_or_b32 s0, vcc_lo, s0
	s_waitcnt vmcnt(0) lgkmcnt(0)
	v_fma_f64 v[1:2], v[113:114], v[115:116], v[1:2]
	s_and_not1_b32 exec_lo, exec_lo, s0
	s_cbranch_execnz .LBB108_125
; %bb.126:
	s_or_b32 exec_lo, exec_lo, s0
.LBB108_127:
	s_delay_alu instid0(SALU_CYCLE_1)
	s_or_b32 exec_lo, exec_lo, s4
	v_mov_b32_e32 v111, 0
	ds_load_b64 v[111:112], v111 offset:248
	s_waitcnt lgkmcnt(0)
	v_mul_f64 v[1:2], v[1:2], v[111:112]
	scratch_store_b64 off, v[1:2], off offset:248
.LBB108_128:
	s_or_b32 exec_lo, exec_lo, s2
	scratch_load_b64 v[1:2], off, off offset:240
	v_cmp_lt_u32_e64 s0, 30, v0
	s_waitcnt vmcnt(0)
	ds_store_b64 v3, v[1:2]
	s_waitcnt lgkmcnt(0)
	s_waitcnt_vscnt null, 0x0
	s_barrier
	buffer_gl0_inv
	s_and_saveexec_b32 s2, s0
	s_cbranch_execz .LBB108_138
; %bb.129:
	s_and_not1_b32 vcc_lo, exec_lo, s3
	s_cbranch_vccnz .LBB108_131
; %bb.130:
	scratch_load_b64 v[1:2], v4, off
	ds_load_b64 v[111:112], v3
	s_waitcnt vmcnt(0) lgkmcnt(0)
	v_mul_f64 v[1:2], v[1:2], v[111:112]
	s_cbranch_execz .LBB108_132
	s_branch .LBB108_133
.LBB108_131:
                                        ; implicit-def: $vgpr1_vgpr2
.LBB108_132:
	ds_load_b64 v[1:2], v3
.LBB108_133:
	s_and_saveexec_b32 s4, s1
	s_cbranch_execz .LBB108_137
; %bb.134:
	v_mov_b32_e32 v111, 0
	v_subrev_nc_u32_e32 v112, 31, v0
	s_movk_i32 s5, 0x268
	s_mov_b32 s1, 0
	s_delay_alu instid0(VALU_DEP_2)
	v_add_nc_u32_e32 v111, 0xf8, v111
.LBB108_135:                            ; =>This Inner Loop Header: Depth=1
	scratch_load_b64 v[113:114], v111, off
	v_dual_mov_b32 v115, s5 :: v_dual_add_nc_u32 v112, -1, v112
	v_add_nc_u32_e32 v111, 8, v111
	s_add_i32 s5, s5, 8
	ds_load_b64 v[115:116], v115
	v_cmp_eq_u32_e32 vcc_lo, 0, v112
	s_or_b32 s1, vcc_lo, s1
	s_waitcnt vmcnt(0) lgkmcnt(0)
	v_fma_f64 v[1:2], v[113:114], v[115:116], v[1:2]
	s_and_not1_b32 exec_lo, exec_lo, s1
	s_cbranch_execnz .LBB108_135
; %bb.136:
	s_or_b32 exec_lo, exec_lo, s1
.LBB108_137:
	s_delay_alu instid0(SALU_CYCLE_1)
	s_or_b32 exec_lo, exec_lo, s4
	v_mov_b32_e32 v111, 0
	ds_load_b64 v[111:112], v111 offset:240
	s_waitcnt lgkmcnt(0)
	v_mul_f64 v[1:2], v[1:2], v[111:112]
	scratch_store_b64 off, v[1:2], off offset:240
.LBB108_138:
	s_or_b32 exec_lo, exec_lo, s2
	scratch_load_b64 v[1:2], off, off offset:232
	v_cmp_lt_u32_e64 s1, 29, v0
	s_waitcnt vmcnt(0)
	ds_store_b64 v3, v[1:2]
	s_waitcnt lgkmcnt(0)
	s_waitcnt_vscnt null, 0x0
	s_barrier
	buffer_gl0_inv
	s_and_saveexec_b32 s2, s1
	s_cbranch_execz .LBB108_148
; %bb.139:
	s_and_not1_b32 vcc_lo, exec_lo, s3
	s_cbranch_vccnz .LBB108_141
; %bb.140:
	scratch_load_b64 v[1:2], v4, off
	ds_load_b64 v[111:112], v3
	s_waitcnt vmcnt(0) lgkmcnt(0)
	v_mul_f64 v[1:2], v[1:2], v[111:112]
	s_cbranch_execz .LBB108_142
	s_branch .LBB108_143
.LBB108_141:
                                        ; implicit-def: $vgpr1_vgpr2
.LBB108_142:
	ds_load_b64 v[1:2], v3
.LBB108_143:
	s_and_saveexec_b32 s4, s0
	s_cbranch_execz .LBB108_147
; %bb.144:
	v_subrev_nc_u32_e32 v111, 30, v0
	s_movk_i32 s5, 0x260
	s_mov_b32 s0, 0
.LBB108_145:                            ; =>This Inner Loop Header: Depth=1
	scratch_load_b64 v[112:113], v110, off
	v_dual_mov_b32 v114, s5 :: v_dual_add_nc_u32 v111, -1, v111
	v_add_nc_u32_e32 v110, 8, v110
	s_add_i32 s5, s5, 8
	ds_load_b64 v[114:115], v114
	v_cmp_eq_u32_e32 vcc_lo, 0, v111
	s_or_b32 s0, vcc_lo, s0
	s_waitcnt vmcnt(0) lgkmcnt(0)
	v_fma_f64 v[1:2], v[112:113], v[114:115], v[1:2]
	s_and_not1_b32 exec_lo, exec_lo, s0
	s_cbranch_execnz .LBB108_145
; %bb.146:
	s_or_b32 exec_lo, exec_lo, s0
.LBB108_147:
	s_delay_alu instid0(SALU_CYCLE_1)
	s_or_b32 exec_lo, exec_lo, s4
	v_mov_b32_e32 v110, 0
	ds_load_b64 v[110:111], v110 offset:232
	s_waitcnt lgkmcnt(0)
	v_mul_f64 v[1:2], v[1:2], v[110:111]
	scratch_store_b64 off, v[1:2], off offset:232
.LBB108_148:
	s_or_b32 exec_lo, exec_lo, s2
	scratch_load_b64 v[1:2], off, off offset:224
	v_cmp_lt_u32_e64 s0, 28, v0
	s_waitcnt vmcnt(0)
	ds_store_b64 v3, v[1:2]
	s_waitcnt lgkmcnt(0)
	s_waitcnt_vscnt null, 0x0
	s_barrier
	buffer_gl0_inv
	s_and_saveexec_b32 s2, s0
	s_cbranch_execz .LBB108_158
; %bb.149:
	s_and_not1_b32 vcc_lo, exec_lo, s3
	s_cbranch_vccnz .LBB108_151
; %bb.150:
	scratch_load_b64 v[1:2], v4, off
	ds_load_b64 v[110:111], v3
	s_waitcnt vmcnt(0) lgkmcnt(0)
	v_mul_f64 v[1:2], v[1:2], v[110:111]
	s_cbranch_execz .LBB108_152
	s_branch .LBB108_153
.LBB108_151:
                                        ; implicit-def: $vgpr1_vgpr2
.LBB108_152:
	ds_load_b64 v[1:2], v3
.LBB108_153:
	s_and_saveexec_b32 s4, s1
	s_cbranch_execz .LBB108_157
; %bb.154:
	v_mov_b32_e32 v110, 0
	v_subrev_nc_u32_e32 v111, 29, v0
	s_movk_i32 s5, 0x258
	s_mov_b32 s1, 0
	s_delay_alu instid0(VALU_DEP_2)
	v_add_nc_u32_e32 v110, 0xe8, v110
.LBB108_155:                            ; =>This Inner Loop Header: Depth=1
	scratch_load_b64 v[112:113], v110, off
	v_dual_mov_b32 v114, s5 :: v_dual_add_nc_u32 v111, -1, v111
	v_add_nc_u32_e32 v110, 8, v110
	s_add_i32 s5, s5, 8
	ds_load_b64 v[114:115], v114
	v_cmp_eq_u32_e32 vcc_lo, 0, v111
	s_or_b32 s1, vcc_lo, s1
	s_waitcnt vmcnt(0) lgkmcnt(0)
	v_fma_f64 v[1:2], v[112:113], v[114:115], v[1:2]
	s_and_not1_b32 exec_lo, exec_lo, s1
	s_cbranch_execnz .LBB108_155
; %bb.156:
	s_or_b32 exec_lo, exec_lo, s1
.LBB108_157:
	s_delay_alu instid0(SALU_CYCLE_1)
	s_or_b32 exec_lo, exec_lo, s4
	v_mov_b32_e32 v110, 0
	ds_load_b64 v[110:111], v110 offset:224
	s_waitcnt lgkmcnt(0)
	v_mul_f64 v[1:2], v[1:2], v[110:111]
	scratch_store_b64 off, v[1:2], off offset:224
.LBB108_158:
	s_or_b32 exec_lo, exec_lo, s2
	scratch_load_b64 v[1:2], off, off offset:216
	v_cmp_lt_u32_e64 s1, 27, v0
	s_waitcnt vmcnt(0)
	ds_store_b64 v3, v[1:2]
	s_waitcnt lgkmcnt(0)
	s_waitcnt_vscnt null, 0x0
	s_barrier
	buffer_gl0_inv
	s_and_saveexec_b32 s2, s1
	s_cbranch_execz .LBB108_168
; %bb.159:
	s_and_not1_b32 vcc_lo, exec_lo, s3
	s_cbranch_vccnz .LBB108_161
; %bb.160:
	scratch_load_b64 v[1:2], v4, off
	ds_load_b64 v[110:111], v3
	s_waitcnt vmcnt(0) lgkmcnt(0)
	v_mul_f64 v[1:2], v[1:2], v[110:111]
	s_cbranch_execz .LBB108_162
	s_branch .LBB108_163
.LBB108_161:
                                        ; implicit-def: $vgpr1_vgpr2
.LBB108_162:
	ds_load_b64 v[1:2], v3
.LBB108_163:
	s_and_saveexec_b32 s4, s0
	s_cbranch_execz .LBB108_167
; %bb.164:
	v_subrev_nc_u32_e32 v110, 28, v0
	s_movk_i32 s5, 0x250
	s_mov_b32 s0, 0
.LBB108_165:                            ; =>This Inner Loop Header: Depth=1
	scratch_load_b64 v[111:112], v109, off
	v_dual_mov_b32 v113, s5 :: v_dual_add_nc_u32 v110, -1, v110
	v_add_nc_u32_e32 v109, 8, v109
	s_add_i32 s5, s5, 8
	ds_load_b64 v[113:114], v113
	v_cmp_eq_u32_e32 vcc_lo, 0, v110
	s_or_b32 s0, vcc_lo, s0
	s_waitcnt vmcnt(0) lgkmcnt(0)
	v_fma_f64 v[1:2], v[111:112], v[113:114], v[1:2]
	s_and_not1_b32 exec_lo, exec_lo, s0
	s_cbranch_execnz .LBB108_165
; %bb.166:
	s_or_b32 exec_lo, exec_lo, s0
.LBB108_167:
	s_delay_alu instid0(SALU_CYCLE_1)
	s_or_b32 exec_lo, exec_lo, s4
	v_mov_b32_e32 v109, 0
	ds_load_b64 v[109:110], v109 offset:216
	s_waitcnt lgkmcnt(0)
	v_mul_f64 v[1:2], v[1:2], v[109:110]
	scratch_store_b64 off, v[1:2], off offset:216
.LBB108_168:
	s_or_b32 exec_lo, exec_lo, s2
	scratch_load_b64 v[1:2], off, off offset:208
	v_cmp_lt_u32_e64 s0, 26, v0
	s_waitcnt vmcnt(0)
	ds_store_b64 v3, v[1:2]
	s_waitcnt lgkmcnt(0)
	s_waitcnt_vscnt null, 0x0
	s_barrier
	buffer_gl0_inv
	s_and_saveexec_b32 s2, s0
	s_cbranch_execz .LBB108_178
; %bb.169:
	s_and_not1_b32 vcc_lo, exec_lo, s3
	s_cbranch_vccnz .LBB108_171
; %bb.170:
	scratch_load_b64 v[1:2], v4, off
	ds_load_b64 v[109:110], v3
	s_waitcnt vmcnt(0) lgkmcnt(0)
	v_mul_f64 v[1:2], v[1:2], v[109:110]
	s_cbranch_execz .LBB108_172
	s_branch .LBB108_173
.LBB108_171:
                                        ; implicit-def: $vgpr1_vgpr2
.LBB108_172:
	ds_load_b64 v[1:2], v3
.LBB108_173:
	s_and_saveexec_b32 s4, s1
	s_cbranch_execz .LBB108_177
; %bb.174:
	v_mov_b32_e32 v109, 0
	v_subrev_nc_u32_e32 v110, 27, v0
	s_movk_i32 s5, 0x248
	s_mov_b32 s1, 0
	s_delay_alu instid0(VALU_DEP_2)
	v_add_nc_u32_e32 v109, 0xd8, v109
.LBB108_175:                            ; =>This Inner Loop Header: Depth=1
	scratch_load_b64 v[111:112], v109, off
	v_dual_mov_b32 v113, s5 :: v_dual_add_nc_u32 v110, -1, v110
	v_add_nc_u32_e32 v109, 8, v109
	s_add_i32 s5, s5, 8
	ds_load_b64 v[113:114], v113
	v_cmp_eq_u32_e32 vcc_lo, 0, v110
	s_or_b32 s1, vcc_lo, s1
	s_waitcnt vmcnt(0) lgkmcnt(0)
	v_fma_f64 v[1:2], v[111:112], v[113:114], v[1:2]
	s_and_not1_b32 exec_lo, exec_lo, s1
	s_cbranch_execnz .LBB108_175
; %bb.176:
	s_or_b32 exec_lo, exec_lo, s1
.LBB108_177:
	s_delay_alu instid0(SALU_CYCLE_1)
	s_or_b32 exec_lo, exec_lo, s4
	v_mov_b32_e32 v109, 0
	ds_load_b64 v[109:110], v109 offset:208
	s_waitcnt lgkmcnt(0)
	v_mul_f64 v[1:2], v[1:2], v[109:110]
	scratch_store_b64 off, v[1:2], off offset:208
.LBB108_178:
	s_or_b32 exec_lo, exec_lo, s2
	scratch_load_b64 v[1:2], off, off offset:200
	v_cmp_lt_u32_e64 s1, 25, v0
	s_waitcnt vmcnt(0)
	ds_store_b64 v3, v[1:2]
	s_waitcnt lgkmcnt(0)
	s_waitcnt_vscnt null, 0x0
	s_barrier
	buffer_gl0_inv
	s_and_saveexec_b32 s2, s1
	s_cbranch_execz .LBB108_188
; %bb.179:
	s_and_not1_b32 vcc_lo, exec_lo, s3
	s_cbranch_vccnz .LBB108_181
; %bb.180:
	scratch_load_b64 v[1:2], v4, off
	ds_load_b64 v[109:110], v3
	s_waitcnt vmcnt(0) lgkmcnt(0)
	v_mul_f64 v[1:2], v[1:2], v[109:110]
	s_cbranch_execz .LBB108_182
	s_branch .LBB108_183
.LBB108_181:
                                        ; implicit-def: $vgpr1_vgpr2
.LBB108_182:
	ds_load_b64 v[1:2], v3
.LBB108_183:
	s_and_saveexec_b32 s4, s0
	s_cbranch_execz .LBB108_187
; %bb.184:
	v_subrev_nc_u32_e32 v109, 26, v0
	s_movk_i32 s5, 0x240
	s_mov_b32 s0, 0
.LBB108_185:                            ; =>This Inner Loop Header: Depth=1
	scratch_load_b64 v[110:111], v108, off
	v_dual_mov_b32 v112, s5 :: v_dual_add_nc_u32 v109, -1, v109
	v_add_nc_u32_e32 v108, 8, v108
	s_add_i32 s5, s5, 8
	ds_load_b64 v[112:113], v112
	v_cmp_eq_u32_e32 vcc_lo, 0, v109
	s_or_b32 s0, vcc_lo, s0
	s_waitcnt vmcnt(0) lgkmcnt(0)
	v_fma_f64 v[1:2], v[110:111], v[112:113], v[1:2]
	s_and_not1_b32 exec_lo, exec_lo, s0
	s_cbranch_execnz .LBB108_185
; %bb.186:
	s_or_b32 exec_lo, exec_lo, s0
.LBB108_187:
	s_delay_alu instid0(SALU_CYCLE_1)
	s_or_b32 exec_lo, exec_lo, s4
	v_mov_b32_e32 v108, 0
	ds_load_b64 v[108:109], v108 offset:200
	s_waitcnt lgkmcnt(0)
	v_mul_f64 v[1:2], v[1:2], v[108:109]
	scratch_store_b64 off, v[1:2], off offset:200
.LBB108_188:
	s_or_b32 exec_lo, exec_lo, s2
	scratch_load_b64 v[1:2], off, off offset:192
	v_cmp_lt_u32_e64 s0, 24, v0
	s_waitcnt vmcnt(0)
	ds_store_b64 v3, v[1:2]
	s_waitcnt lgkmcnt(0)
	s_waitcnt_vscnt null, 0x0
	s_barrier
	buffer_gl0_inv
	s_and_saveexec_b32 s2, s0
	s_cbranch_execz .LBB108_198
; %bb.189:
	s_and_not1_b32 vcc_lo, exec_lo, s3
	s_cbranch_vccnz .LBB108_191
; %bb.190:
	scratch_load_b64 v[1:2], v4, off
	ds_load_b64 v[108:109], v3
	s_waitcnt vmcnt(0) lgkmcnt(0)
	v_mul_f64 v[1:2], v[1:2], v[108:109]
	s_cbranch_execz .LBB108_192
	s_branch .LBB108_193
.LBB108_191:
                                        ; implicit-def: $vgpr1_vgpr2
.LBB108_192:
	ds_load_b64 v[1:2], v3
.LBB108_193:
	s_and_saveexec_b32 s4, s1
	s_cbranch_execz .LBB108_197
; %bb.194:
	v_mov_b32_e32 v108, 0
	v_subrev_nc_u32_e32 v109, 25, v0
	s_movk_i32 s5, 0x238
	s_mov_b32 s1, 0
	s_delay_alu instid0(VALU_DEP_2)
	v_add_nc_u32_e32 v108, 0xc8, v108
.LBB108_195:                            ; =>This Inner Loop Header: Depth=1
	scratch_load_b64 v[110:111], v108, off
	v_dual_mov_b32 v112, s5 :: v_dual_add_nc_u32 v109, -1, v109
	v_add_nc_u32_e32 v108, 8, v108
	s_add_i32 s5, s5, 8
	ds_load_b64 v[112:113], v112
	v_cmp_eq_u32_e32 vcc_lo, 0, v109
	s_or_b32 s1, vcc_lo, s1
	s_waitcnt vmcnt(0) lgkmcnt(0)
	v_fma_f64 v[1:2], v[110:111], v[112:113], v[1:2]
	s_and_not1_b32 exec_lo, exec_lo, s1
	s_cbranch_execnz .LBB108_195
; %bb.196:
	s_or_b32 exec_lo, exec_lo, s1
.LBB108_197:
	s_delay_alu instid0(SALU_CYCLE_1)
	s_or_b32 exec_lo, exec_lo, s4
	v_mov_b32_e32 v108, 0
	ds_load_b64 v[108:109], v108 offset:192
	s_waitcnt lgkmcnt(0)
	v_mul_f64 v[1:2], v[1:2], v[108:109]
	scratch_store_b64 off, v[1:2], off offset:192
.LBB108_198:
	s_or_b32 exec_lo, exec_lo, s2
	scratch_load_b64 v[1:2], off, off offset:184
	v_cmp_lt_u32_e64 s1, 23, v0
	s_waitcnt vmcnt(0)
	ds_store_b64 v3, v[1:2]
	s_waitcnt lgkmcnt(0)
	s_waitcnt_vscnt null, 0x0
	s_barrier
	buffer_gl0_inv
	s_and_saveexec_b32 s2, s1
	s_cbranch_execz .LBB108_208
; %bb.199:
	s_and_not1_b32 vcc_lo, exec_lo, s3
	s_cbranch_vccnz .LBB108_201
; %bb.200:
	scratch_load_b64 v[1:2], v4, off
	ds_load_b64 v[108:109], v3
	s_waitcnt vmcnt(0) lgkmcnt(0)
	v_mul_f64 v[1:2], v[1:2], v[108:109]
	s_cbranch_execz .LBB108_202
	s_branch .LBB108_203
.LBB108_201:
                                        ; implicit-def: $vgpr1_vgpr2
.LBB108_202:
	ds_load_b64 v[1:2], v3
.LBB108_203:
	s_and_saveexec_b32 s4, s0
	s_cbranch_execz .LBB108_207
; %bb.204:
	v_subrev_nc_u32_e32 v108, 24, v0
	s_movk_i32 s5, 0x230
	s_mov_b32 s0, 0
.LBB108_205:                            ; =>This Inner Loop Header: Depth=1
	scratch_load_b64 v[109:110], v107, off
	v_dual_mov_b32 v111, s5 :: v_dual_add_nc_u32 v108, -1, v108
	v_add_nc_u32_e32 v107, 8, v107
	s_add_i32 s5, s5, 8
	ds_load_b64 v[111:112], v111
	v_cmp_eq_u32_e32 vcc_lo, 0, v108
	s_or_b32 s0, vcc_lo, s0
	s_waitcnt vmcnt(0) lgkmcnt(0)
	v_fma_f64 v[1:2], v[109:110], v[111:112], v[1:2]
	s_and_not1_b32 exec_lo, exec_lo, s0
	s_cbranch_execnz .LBB108_205
; %bb.206:
	s_or_b32 exec_lo, exec_lo, s0
.LBB108_207:
	s_delay_alu instid0(SALU_CYCLE_1)
	s_or_b32 exec_lo, exec_lo, s4
	v_mov_b32_e32 v107, 0
	ds_load_b64 v[107:108], v107 offset:184
	s_waitcnt lgkmcnt(0)
	v_mul_f64 v[1:2], v[1:2], v[107:108]
	scratch_store_b64 off, v[1:2], off offset:184
.LBB108_208:
	s_or_b32 exec_lo, exec_lo, s2
	scratch_load_b64 v[1:2], off, off offset:176
	v_cmp_lt_u32_e64 s0, 22, v0
	s_waitcnt vmcnt(0)
	ds_store_b64 v3, v[1:2]
	s_waitcnt lgkmcnt(0)
	s_waitcnt_vscnt null, 0x0
	s_barrier
	buffer_gl0_inv
	s_and_saveexec_b32 s2, s0
	s_cbranch_execz .LBB108_218
; %bb.209:
	s_and_not1_b32 vcc_lo, exec_lo, s3
	s_cbranch_vccnz .LBB108_211
; %bb.210:
	scratch_load_b64 v[1:2], v4, off
	ds_load_b64 v[107:108], v3
	s_waitcnt vmcnt(0) lgkmcnt(0)
	v_mul_f64 v[1:2], v[1:2], v[107:108]
	s_cbranch_execz .LBB108_212
	s_branch .LBB108_213
.LBB108_211:
                                        ; implicit-def: $vgpr1_vgpr2
.LBB108_212:
	ds_load_b64 v[1:2], v3
.LBB108_213:
	s_and_saveexec_b32 s4, s1
	s_cbranch_execz .LBB108_217
; %bb.214:
	v_mov_b32_e32 v107, 0
	v_subrev_nc_u32_e32 v108, 23, v0
	s_movk_i32 s5, 0x228
	s_mov_b32 s1, 0
	s_delay_alu instid0(VALU_DEP_2)
	v_add_nc_u32_e32 v107, 0xb8, v107
.LBB108_215:                            ; =>This Inner Loop Header: Depth=1
	scratch_load_b64 v[109:110], v107, off
	v_dual_mov_b32 v111, s5 :: v_dual_add_nc_u32 v108, -1, v108
	v_add_nc_u32_e32 v107, 8, v107
	s_add_i32 s5, s5, 8
	ds_load_b64 v[111:112], v111
	v_cmp_eq_u32_e32 vcc_lo, 0, v108
	s_or_b32 s1, vcc_lo, s1
	s_waitcnt vmcnt(0) lgkmcnt(0)
	v_fma_f64 v[1:2], v[109:110], v[111:112], v[1:2]
	s_and_not1_b32 exec_lo, exec_lo, s1
	s_cbranch_execnz .LBB108_215
; %bb.216:
	s_or_b32 exec_lo, exec_lo, s1
.LBB108_217:
	s_delay_alu instid0(SALU_CYCLE_1)
	s_or_b32 exec_lo, exec_lo, s4
	v_mov_b32_e32 v107, 0
	ds_load_b64 v[107:108], v107 offset:176
	s_waitcnt lgkmcnt(0)
	v_mul_f64 v[1:2], v[1:2], v[107:108]
	scratch_store_b64 off, v[1:2], off offset:176
.LBB108_218:
	s_or_b32 exec_lo, exec_lo, s2
	scratch_load_b64 v[1:2], off, off offset:168
	v_cmp_lt_u32_e64 s1, 21, v0
	s_waitcnt vmcnt(0)
	ds_store_b64 v3, v[1:2]
	s_waitcnt lgkmcnt(0)
	s_waitcnt_vscnt null, 0x0
	s_barrier
	buffer_gl0_inv
	s_and_saveexec_b32 s2, s1
	s_cbranch_execz .LBB108_228
; %bb.219:
	s_and_not1_b32 vcc_lo, exec_lo, s3
	s_cbranch_vccnz .LBB108_221
; %bb.220:
	scratch_load_b64 v[1:2], v4, off
	ds_load_b64 v[107:108], v3
	s_waitcnt vmcnt(0) lgkmcnt(0)
	v_mul_f64 v[1:2], v[1:2], v[107:108]
	s_cbranch_execz .LBB108_222
	s_branch .LBB108_223
.LBB108_221:
                                        ; implicit-def: $vgpr1_vgpr2
.LBB108_222:
	ds_load_b64 v[1:2], v3
.LBB108_223:
	s_and_saveexec_b32 s4, s0
	s_cbranch_execz .LBB108_227
; %bb.224:
	v_subrev_nc_u32_e32 v107, 22, v0
	s_movk_i32 s5, 0x220
	s_mov_b32 s0, 0
.LBB108_225:                            ; =>This Inner Loop Header: Depth=1
	scratch_load_b64 v[108:109], v106, off
	v_dual_mov_b32 v110, s5 :: v_dual_add_nc_u32 v107, -1, v107
	v_add_nc_u32_e32 v106, 8, v106
	s_add_i32 s5, s5, 8
	ds_load_b64 v[110:111], v110
	v_cmp_eq_u32_e32 vcc_lo, 0, v107
	s_or_b32 s0, vcc_lo, s0
	s_waitcnt vmcnt(0) lgkmcnt(0)
	v_fma_f64 v[1:2], v[108:109], v[110:111], v[1:2]
	s_and_not1_b32 exec_lo, exec_lo, s0
	s_cbranch_execnz .LBB108_225
; %bb.226:
	s_or_b32 exec_lo, exec_lo, s0
.LBB108_227:
	s_delay_alu instid0(SALU_CYCLE_1)
	s_or_b32 exec_lo, exec_lo, s4
	v_mov_b32_e32 v106, 0
	ds_load_b64 v[106:107], v106 offset:168
	s_waitcnt lgkmcnt(0)
	v_mul_f64 v[1:2], v[1:2], v[106:107]
	scratch_store_b64 off, v[1:2], off offset:168
.LBB108_228:
	s_or_b32 exec_lo, exec_lo, s2
	scratch_load_b64 v[1:2], off, off offset:160
	v_cmp_lt_u32_e64 s0, 20, v0
	s_waitcnt vmcnt(0)
	ds_store_b64 v3, v[1:2]
	s_waitcnt lgkmcnt(0)
	s_waitcnt_vscnt null, 0x0
	s_barrier
	buffer_gl0_inv
	s_and_saveexec_b32 s2, s0
	s_cbranch_execz .LBB108_238
; %bb.229:
	s_and_not1_b32 vcc_lo, exec_lo, s3
	s_cbranch_vccnz .LBB108_231
; %bb.230:
	scratch_load_b64 v[1:2], v4, off
	ds_load_b64 v[106:107], v3
	s_waitcnt vmcnt(0) lgkmcnt(0)
	v_mul_f64 v[1:2], v[1:2], v[106:107]
	s_cbranch_execz .LBB108_232
	s_branch .LBB108_233
.LBB108_231:
                                        ; implicit-def: $vgpr1_vgpr2
.LBB108_232:
	ds_load_b64 v[1:2], v3
.LBB108_233:
	s_and_saveexec_b32 s4, s1
	s_cbranch_execz .LBB108_237
; %bb.234:
	v_mov_b32_e32 v106, 0
	v_subrev_nc_u32_e32 v107, 21, v0
	s_movk_i32 s5, 0x218
	s_mov_b32 s1, 0
	s_delay_alu instid0(VALU_DEP_2)
	v_add_nc_u32_e32 v106, 0xa8, v106
.LBB108_235:                            ; =>This Inner Loop Header: Depth=1
	scratch_load_b64 v[108:109], v106, off
	v_dual_mov_b32 v110, s5 :: v_dual_add_nc_u32 v107, -1, v107
	v_add_nc_u32_e32 v106, 8, v106
	s_add_i32 s5, s5, 8
	ds_load_b64 v[110:111], v110
	v_cmp_eq_u32_e32 vcc_lo, 0, v107
	s_or_b32 s1, vcc_lo, s1
	s_waitcnt vmcnt(0) lgkmcnt(0)
	v_fma_f64 v[1:2], v[108:109], v[110:111], v[1:2]
	s_and_not1_b32 exec_lo, exec_lo, s1
	s_cbranch_execnz .LBB108_235
; %bb.236:
	s_or_b32 exec_lo, exec_lo, s1
.LBB108_237:
	s_delay_alu instid0(SALU_CYCLE_1)
	s_or_b32 exec_lo, exec_lo, s4
	v_mov_b32_e32 v106, 0
	ds_load_b64 v[106:107], v106 offset:160
	s_waitcnt lgkmcnt(0)
	v_mul_f64 v[1:2], v[1:2], v[106:107]
	scratch_store_b64 off, v[1:2], off offset:160
.LBB108_238:
	s_or_b32 exec_lo, exec_lo, s2
	scratch_load_b64 v[1:2], off, off offset:152
	v_cmp_lt_u32_e64 s1, 19, v0
	s_waitcnt vmcnt(0)
	ds_store_b64 v3, v[1:2]
	s_waitcnt lgkmcnt(0)
	s_waitcnt_vscnt null, 0x0
	s_barrier
	buffer_gl0_inv
	s_and_saveexec_b32 s2, s1
	s_cbranch_execz .LBB108_248
; %bb.239:
	s_and_not1_b32 vcc_lo, exec_lo, s3
	s_cbranch_vccnz .LBB108_241
; %bb.240:
	scratch_load_b64 v[1:2], v4, off
	ds_load_b64 v[106:107], v3
	s_waitcnt vmcnt(0) lgkmcnt(0)
	v_mul_f64 v[1:2], v[1:2], v[106:107]
	s_cbranch_execz .LBB108_242
	s_branch .LBB108_243
.LBB108_241:
                                        ; implicit-def: $vgpr1_vgpr2
.LBB108_242:
	ds_load_b64 v[1:2], v3
.LBB108_243:
	s_and_saveexec_b32 s4, s0
	s_cbranch_execz .LBB108_247
; %bb.244:
	v_subrev_nc_u32_e32 v106, 20, v0
	s_movk_i32 s5, 0x210
	s_mov_b32 s0, 0
.LBB108_245:                            ; =>This Inner Loop Header: Depth=1
	scratch_load_b64 v[107:108], v105, off
	v_dual_mov_b32 v109, s5 :: v_dual_add_nc_u32 v106, -1, v106
	v_add_nc_u32_e32 v105, 8, v105
	s_add_i32 s5, s5, 8
	ds_load_b64 v[109:110], v109
	v_cmp_eq_u32_e32 vcc_lo, 0, v106
	s_or_b32 s0, vcc_lo, s0
	s_waitcnt vmcnt(0) lgkmcnt(0)
	v_fma_f64 v[1:2], v[107:108], v[109:110], v[1:2]
	s_and_not1_b32 exec_lo, exec_lo, s0
	s_cbranch_execnz .LBB108_245
; %bb.246:
	s_or_b32 exec_lo, exec_lo, s0
.LBB108_247:
	s_delay_alu instid0(SALU_CYCLE_1)
	s_or_b32 exec_lo, exec_lo, s4
	v_mov_b32_e32 v105, 0
	ds_load_b64 v[105:106], v105 offset:152
	s_waitcnt lgkmcnt(0)
	v_mul_f64 v[1:2], v[1:2], v[105:106]
	scratch_store_b64 off, v[1:2], off offset:152
.LBB108_248:
	s_or_b32 exec_lo, exec_lo, s2
	scratch_load_b64 v[1:2], off, off offset:144
	v_cmp_lt_u32_e64 s0, 18, v0
	s_waitcnt vmcnt(0)
	ds_store_b64 v3, v[1:2]
	s_waitcnt lgkmcnt(0)
	s_waitcnt_vscnt null, 0x0
	s_barrier
	buffer_gl0_inv
	s_and_saveexec_b32 s2, s0
	s_cbranch_execz .LBB108_258
; %bb.249:
	s_and_not1_b32 vcc_lo, exec_lo, s3
	s_cbranch_vccnz .LBB108_251
; %bb.250:
	scratch_load_b64 v[1:2], v4, off
	ds_load_b64 v[105:106], v3
	s_waitcnt vmcnt(0) lgkmcnt(0)
	v_mul_f64 v[1:2], v[1:2], v[105:106]
	s_cbranch_execz .LBB108_252
	s_branch .LBB108_253
.LBB108_251:
                                        ; implicit-def: $vgpr1_vgpr2
.LBB108_252:
	ds_load_b64 v[1:2], v3
.LBB108_253:
	s_and_saveexec_b32 s4, s1
	s_cbranch_execz .LBB108_257
; %bb.254:
	v_mov_b32_e32 v105, 0
	v_subrev_nc_u32_e32 v106, 19, v0
	s_movk_i32 s5, 0x208
	s_mov_b32 s1, 0
	s_delay_alu instid0(VALU_DEP_2)
	v_add_nc_u32_e32 v105, 0x98, v105
.LBB108_255:                            ; =>This Inner Loop Header: Depth=1
	scratch_load_b64 v[107:108], v105, off
	v_dual_mov_b32 v109, s5 :: v_dual_add_nc_u32 v106, -1, v106
	v_add_nc_u32_e32 v105, 8, v105
	s_add_i32 s5, s5, 8
	ds_load_b64 v[109:110], v109
	v_cmp_eq_u32_e32 vcc_lo, 0, v106
	s_or_b32 s1, vcc_lo, s1
	s_waitcnt vmcnt(0) lgkmcnt(0)
	v_fma_f64 v[1:2], v[107:108], v[109:110], v[1:2]
	s_and_not1_b32 exec_lo, exec_lo, s1
	s_cbranch_execnz .LBB108_255
; %bb.256:
	s_or_b32 exec_lo, exec_lo, s1
.LBB108_257:
	s_delay_alu instid0(SALU_CYCLE_1)
	s_or_b32 exec_lo, exec_lo, s4
	v_mov_b32_e32 v105, 0
	ds_load_b64 v[105:106], v105 offset:144
	s_waitcnt lgkmcnt(0)
	v_mul_f64 v[1:2], v[1:2], v[105:106]
	scratch_store_b64 off, v[1:2], off offset:144
.LBB108_258:
	s_or_b32 exec_lo, exec_lo, s2
	scratch_load_b64 v[1:2], off, off offset:136
	v_cmp_lt_u32_e64 s1, 17, v0
	s_waitcnt vmcnt(0)
	ds_store_b64 v3, v[1:2]
	s_waitcnt lgkmcnt(0)
	s_waitcnt_vscnt null, 0x0
	s_barrier
	buffer_gl0_inv
	s_and_saveexec_b32 s2, s1
	s_cbranch_execz .LBB108_268
; %bb.259:
	s_and_not1_b32 vcc_lo, exec_lo, s3
	s_cbranch_vccnz .LBB108_261
; %bb.260:
	scratch_load_b64 v[1:2], v4, off
	ds_load_b64 v[105:106], v3
	s_waitcnt vmcnt(0) lgkmcnt(0)
	v_mul_f64 v[1:2], v[1:2], v[105:106]
	s_cbranch_execz .LBB108_262
	s_branch .LBB108_263
.LBB108_261:
                                        ; implicit-def: $vgpr1_vgpr2
.LBB108_262:
	ds_load_b64 v[1:2], v3
.LBB108_263:
	s_and_saveexec_b32 s4, s0
	s_cbranch_execz .LBB108_267
; %bb.264:
	v_subrev_nc_u32_e32 v105, 18, v0
	s_movk_i32 s5, 0x200
	s_mov_b32 s0, 0
.LBB108_265:                            ; =>This Inner Loop Header: Depth=1
	scratch_load_b64 v[106:107], v104, off
	v_dual_mov_b32 v108, s5 :: v_dual_add_nc_u32 v105, -1, v105
	v_add_nc_u32_e32 v104, 8, v104
	s_add_i32 s5, s5, 8
	ds_load_b64 v[108:109], v108
	v_cmp_eq_u32_e32 vcc_lo, 0, v105
	s_or_b32 s0, vcc_lo, s0
	s_waitcnt vmcnt(0) lgkmcnt(0)
	v_fma_f64 v[1:2], v[106:107], v[108:109], v[1:2]
	s_and_not1_b32 exec_lo, exec_lo, s0
	s_cbranch_execnz .LBB108_265
; %bb.266:
	s_or_b32 exec_lo, exec_lo, s0
.LBB108_267:
	s_delay_alu instid0(SALU_CYCLE_1)
	s_or_b32 exec_lo, exec_lo, s4
	v_mov_b32_e32 v104, 0
	ds_load_b64 v[104:105], v104 offset:136
	s_waitcnt lgkmcnt(0)
	v_mul_f64 v[1:2], v[1:2], v[104:105]
	scratch_store_b64 off, v[1:2], off offset:136
.LBB108_268:
	s_or_b32 exec_lo, exec_lo, s2
	scratch_load_b64 v[1:2], off, off offset:128
	v_cmp_lt_u32_e64 s0, 16, v0
	s_waitcnt vmcnt(0)
	ds_store_b64 v3, v[1:2]
	s_waitcnt lgkmcnt(0)
	s_waitcnt_vscnt null, 0x0
	s_barrier
	buffer_gl0_inv
	s_and_saveexec_b32 s2, s0
	s_cbranch_execz .LBB108_278
; %bb.269:
	s_and_not1_b32 vcc_lo, exec_lo, s3
	s_cbranch_vccnz .LBB108_271
; %bb.270:
	scratch_load_b64 v[1:2], v4, off
	ds_load_b64 v[104:105], v3
	s_waitcnt vmcnt(0) lgkmcnt(0)
	v_mul_f64 v[1:2], v[1:2], v[104:105]
	s_cbranch_execz .LBB108_272
	s_branch .LBB108_273
.LBB108_271:
                                        ; implicit-def: $vgpr1_vgpr2
.LBB108_272:
	ds_load_b64 v[1:2], v3
.LBB108_273:
	s_and_saveexec_b32 s4, s1
	s_cbranch_execz .LBB108_277
; %bb.274:
	v_mov_b32_e32 v104, 0
	v_subrev_nc_u32_e32 v105, 17, v0
	s_movk_i32 s5, 0x1f8
	s_mov_b32 s1, 0
	s_delay_alu instid0(VALU_DEP_2)
	v_add_nc_u32_e32 v104, 0x88, v104
.LBB108_275:                            ; =>This Inner Loop Header: Depth=1
	scratch_load_b64 v[106:107], v104, off
	v_dual_mov_b32 v108, s5 :: v_dual_add_nc_u32 v105, -1, v105
	v_add_nc_u32_e32 v104, 8, v104
	s_add_i32 s5, s5, 8
	ds_load_b64 v[108:109], v108
	v_cmp_eq_u32_e32 vcc_lo, 0, v105
	s_or_b32 s1, vcc_lo, s1
	s_waitcnt vmcnt(0) lgkmcnt(0)
	v_fma_f64 v[1:2], v[106:107], v[108:109], v[1:2]
	s_and_not1_b32 exec_lo, exec_lo, s1
	s_cbranch_execnz .LBB108_275
; %bb.276:
	s_or_b32 exec_lo, exec_lo, s1
.LBB108_277:
	s_delay_alu instid0(SALU_CYCLE_1)
	s_or_b32 exec_lo, exec_lo, s4
	v_mov_b32_e32 v104, 0
	ds_load_b64 v[104:105], v104 offset:128
	s_waitcnt lgkmcnt(0)
	v_mul_f64 v[1:2], v[1:2], v[104:105]
	scratch_store_b64 off, v[1:2], off offset:128
.LBB108_278:
	s_or_b32 exec_lo, exec_lo, s2
	scratch_load_b64 v[1:2], off, off offset:120
	v_cmp_lt_u32_e64 s1, 15, v0
	s_waitcnt vmcnt(0)
	ds_store_b64 v3, v[1:2]
	s_waitcnt lgkmcnt(0)
	s_waitcnt_vscnt null, 0x0
	s_barrier
	buffer_gl0_inv
	s_and_saveexec_b32 s2, s1
	s_cbranch_execz .LBB108_288
; %bb.279:
	s_and_not1_b32 vcc_lo, exec_lo, s3
	s_cbranch_vccnz .LBB108_281
; %bb.280:
	scratch_load_b64 v[1:2], v4, off
	ds_load_b64 v[104:105], v3
	s_waitcnt vmcnt(0) lgkmcnt(0)
	v_mul_f64 v[1:2], v[1:2], v[104:105]
	s_cbranch_execz .LBB108_282
	s_branch .LBB108_283
.LBB108_281:
                                        ; implicit-def: $vgpr1_vgpr2
.LBB108_282:
	ds_load_b64 v[1:2], v3
.LBB108_283:
	s_and_saveexec_b32 s4, s0
	s_cbranch_execz .LBB108_287
; %bb.284:
	v_add_nc_u32_e32 v104, -16, v0
	s_movk_i32 s5, 0x1f0
	s_mov_b32 s0, 0
.LBB108_285:                            ; =>This Inner Loop Header: Depth=1
	scratch_load_b64 v[105:106], v12, off
	v_dual_mov_b32 v107, s5 :: v_dual_add_nc_u32 v104, -1, v104
	v_add_nc_u32_e32 v12, 8, v12
	s_add_i32 s5, s5, 8
	ds_load_b64 v[107:108], v107
	v_cmp_eq_u32_e32 vcc_lo, 0, v104
	s_or_b32 s0, vcc_lo, s0
	s_waitcnt vmcnt(0) lgkmcnt(0)
	v_fma_f64 v[1:2], v[105:106], v[107:108], v[1:2]
	s_and_not1_b32 exec_lo, exec_lo, s0
	s_cbranch_execnz .LBB108_285
; %bb.286:
	s_or_b32 exec_lo, exec_lo, s0
.LBB108_287:
	s_delay_alu instid0(SALU_CYCLE_1)
	s_or_b32 exec_lo, exec_lo, s4
	v_mov_b32_e32 v12, 0
	ds_load_b64 v[104:105], v12 offset:120
	s_waitcnt lgkmcnt(0)
	v_mul_f64 v[1:2], v[1:2], v[104:105]
	scratch_store_b64 off, v[1:2], off offset:120
.LBB108_288:
	s_or_b32 exec_lo, exec_lo, s2
	scratch_load_b64 v[1:2], off, off offset:112
	v_cmp_lt_u32_e64 s0, 14, v0
	s_waitcnt vmcnt(0)
	ds_store_b64 v3, v[1:2]
	s_waitcnt lgkmcnt(0)
	s_waitcnt_vscnt null, 0x0
	s_barrier
	buffer_gl0_inv
	s_and_saveexec_b32 s2, s0
	s_cbranch_execz .LBB108_298
; %bb.289:
	s_and_not1_b32 vcc_lo, exec_lo, s3
	s_cbranch_vccnz .LBB108_291
; %bb.290:
	scratch_load_b64 v[1:2], v4, off
	ds_load_b64 v[104:105], v3
	s_waitcnt vmcnt(0) lgkmcnt(0)
	v_mul_f64 v[1:2], v[1:2], v[104:105]
	s_cbranch_execz .LBB108_292
	s_branch .LBB108_293
.LBB108_291:
                                        ; implicit-def: $vgpr1_vgpr2
.LBB108_292:
	ds_load_b64 v[1:2], v3
.LBB108_293:
	s_and_saveexec_b32 s4, s1
	s_cbranch_execz .LBB108_297
; %bb.294:
	v_mov_b32_e32 v12, 0
	v_add_nc_u32_e32 v104, -15, v0
	s_movk_i32 s5, 0x1e8
	s_mov_b32 s1, 0
	s_delay_alu instid0(VALU_DEP_2)
	v_add_nc_u32_e32 v12, 0x78, v12
.LBB108_295:                            ; =>This Inner Loop Header: Depth=1
	scratch_load_b64 v[105:106], v12, off
	v_dual_mov_b32 v107, s5 :: v_dual_add_nc_u32 v104, -1, v104
	v_add_nc_u32_e32 v12, 8, v12
	s_add_i32 s5, s5, 8
	ds_load_b64 v[107:108], v107
	v_cmp_eq_u32_e32 vcc_lo, 0, v104
	s_or_b32 s1, vcc_lo, s1
	s_waitcnt vmcnt(0) lgkmcnt(0)
	v_fma_f64 v[1:2], v[105:106], v[107:108], v[1:2]
	s_and_not1_b32 exec_lo, exec_lo, s1
	s_cbranch_execnz .LBB108_295
; %bb.296:
	s_or_b32 exec_lo, exec_lo, s1
.LBB108_297:
	s_delay_alu instid0(SALU_CYCLE_1)
	s_or_b32 exec_lo, exec_lo, s4
	v_mov_b32_e32 v12, 0
	ds_load_b64 v[104:105], v12 offset:112
	s_waitcnt lgkmcnt(0)
	v_mul_f64 v[1:2], v[1:2], v[104:105]
	scratch_store_b64 off, v[1:2], off offset:112
.LBB108_298:
	s_or_b32 exec_lo, exec_lo, s2
	scratch_load_b64 v[1:2], off, off offset:104
	v_cmp_lt_u32_e64 s1, 13, v0
	s_waitcnt vmcnt(0)
	ds_store_b64 v3, v[1:2]
	s_waitcnt lgkmcnt(0)
	s_waitcnt_vscnt null, 0x0
	s_barrier
	buffer_gl0_inv
	s_and_saveexec_b32 s2, s1
	s_cbranch_execz .LBB108_308
; %bb.299:
	s_and_not1_b32 vcc_lo, exec_lo, s3
	s_cbranch_vccnz .LBB108_301
; %bb.300:
	scratch_load_b64 v[1:2], v4, off
	ds_load_b64 v[104:105], v3
	s_waitcnt vmcnt(0) lgkmcnt(0)
	v_mul_f64 v[1:2], v[1:2], v[104:105]
	s_cbranch_execz .LBB108_302
	s_branch .LBB108_303
.LBB108_301:
                                        ; implicit-def: $vgpr1_vgpr2
.LBB108_302:
	ds_load_b64 v[1:2], v3
.LBB108_303:
	s_and_saveexec_b32 s4, s0
	s_cbranch_execz .LBB108_307
; %bb.304:
	v_add_nc_u32_e32 v12, -14, v0
	s_movk_i32 s5, 0x1e0
	s_mov_b32 s0, 0
.LBB108_305:                            ; =>This Inner Loop Header: Depth=1
	scratch_load_b64 v[104:105], v11, off
	v_dual_mov_b32 v106, s5 :: v_dual_add_nc_u32 v11, 8, v11
	v_add_nc_u32_e32 v12, -1, v12
	s_add_i32 s5, s5, 8
	ds_load_b64 v[106:107], v106
	v_cmp_eq_u32_e32 vcc_lo, 0, v12
	s_or_b32 s0, vcc_lo, s0
	s_waitcnt vmcnt(0) lgkmcnt(0)
	v_fma_f64 v[1:2], v[104:105], v[106:107], v[1:2]
	s_and_not1_b32 exec_lo, exec_lo, s0
	s_cbranch_execnz .LBB108_305
; %bb.306:
	s_or_b32 exec_lo, exec_lo, s0
.LBB108_307:
	s_delay_alu instid0(SALU_CYCLE_1)
	s_or_b32 exec_lo, exec_lo, s4
	v_mov_b32_e32 v11, 0
	ds_load_b64 v[11:12], v11 offset:104
	s_waitcnt lgkmcnt(0)
	v_mul_f64 v[1:2], v[1:2], v[11:12]
	scratch_store_b64 off, v[1:2], off offset:104
.LBB108_308:
	s_or_b32 exec_lo, exec_lo, s2
	scratch_load_b64 v[1:2], off, off offset:96
	v_cmp_lt_u32_e64 s0, 12, v0
	s_waitcnt vmcnt(0)
	ds_store_b64 v3, v[1:2]
	s_waitcnt lgkmcnt(0)
	s_waitcnt_vscnt null, 0x0
	s_barrier
	buffer_gl0_inv
	s_and_saveexec_b32 s2, s0
	s_cbranch_execz .LBB108_318
; %bb.309:
	s_and_not1_b32 vcc_lo, exec_lo, s3
	s_cbranch_vccnz .LBB108_311
; %bb.310:
	scratch_load_b64 v[1:2], v4, off
	ds_load_b64 v[11:12], v3
	s_waitcnt vmcnt(0) lgkmcnt(0)
	v_mul_f64 v[1:2], v[1:2], v[11:12]
	s_cbranch_execz .LBB108_312
	s_branch .LBB108_313
.LBB108_311:
                                        ; implicit-def: $vgpr1_vgpr2
.LBB108_312:
	ds_load_b64 v[1:2], v3
.LBB108_313:
	s_and_saveexec_b32 s4, s1
	s_cbranch_execz .LBB108_317
; %bb.314:
	v_dual_mov_b32 v11, 0 :: v_dual_add_nc_u32 v12, -13, v0
	s_movk_i32 s5, 0x1d8
	s_mov_b32 s1, 0
	s_delay_alu instid0(VALU_DEP_1)
	v_add_nc_u32_e32 v11, 0x68, v11
.LBB108_315:                            ; =>This Inner Loop Header: Depth=1
	scratch_load_b64 v[104:105], v11, off
	v_dual_mov_b32 v106, s5 :: v_dual_add_nc_u32 v11, 8, v11
	v_add_nc_u32_e32 v12, -1, v12
	s_add_i32 s5, s5, 8
	ds_load_b64 v[106:107], v106
	v_cmp_eq_u32_e32 vcc_lo, 0, v12
	s_or_b32 s1, vcc_lo, s1
	s_waitcnt vmcnt(0) lgkmcnt(0)
	v_fma_f64 v[1:2], v[104:105], v[106:107], v[1:2]
	s_and_not1_b32 exec_lo, exec_lo, s1
	s_cbranch_execnz .LBB108_315
; %bb.316:
	s_or_b32 exec_lo, exec_lo, s1
.LBB108_317:
	s_delay_alu instid0(SALU_CYCLE_1)
	s_or_b32 exec_lo, exec_lo, s4
	v_mov_b32_e32 v11, 0
	ds_load_b64 v[11:12], v11 offset:96
	s_waitcnt lgkmcnt(0)
	v_mul_f64 v[1:2], v[1:2], v[11:12]
	scratch_store_b64 off, v[1:2], off offset:96
.LBB108_318:
	s_or_b32 exec_lo, exec_lo, s2
	scratch_load_b64 v[1:2], off, off offset:88
	v_cmp_lt_u32_e64 s1, 11, v0
	s_waitcnt vmcnt(0)
	ds_store_b64 v3, v[1:2]
	s_waitcnt lgkmcnt(0)
	s_waitcnt_vscnt null, 0x0
	s_barrier
	buffer_gl0_inv
	s_and_saveexec_b32 s2, s1
	s_cbranch_execz .LBB108_328
; %bb.319:
	s_and_not1_b32 vcc_lo, exec_lo, s3
	s_cbranch_vccnz .LBB108_321
; %bb.320:
	scratch_load_b64 v[1:2], v4, off
	ds_load_b64 v[11:12], v3
	s_waitcnt vmcnt(0) lgkmcnt(0)
	v_mul_f64 v[1:2], v[1:2], v[11:12]
	s_cbranch_execz .LBB108_322
	s_branch .LBB108_323
.LBB108_321:
                                        ; implicit-def: $vgpr1_vgpr2
.LBB108_322:
	ds_load_b64 v[1:2], v3
.LBB108_323:
	s_and_saveexec_b32 s4, s0
	s_cbranch_execz .LBB108_327
; %bb.324:
	v_add_nc_u32_e32 v11, -12, v0
	s_movk_i32 s5, 0x1d0
	s_mov_b32 s0, 0
.LBB108_325:                            ; =>This Inner Loop Header: Depth=1
	scratch_load_b64 v[104:105], v10, off
	v_dual_mov_b32 v12, s5 :: v_dual_add_nc_u32 v11, -1, v11
	v_add_nc_u32_e32 v10, 8, v10
	s_add_i32 s5, s5, 8
	ds_load_b64 v[106:107], v12
	v_cmp_eq_u32_e32 vcc_lo, 0, v11
	s_or_b32 s0, vcc_lo, s0
	s_waitcnt vmcnt(0) lgkmcnt(0)
	v_fma_f64 v[1:2], v[104:105], v[106:107], v[1:2]
	s_and_not1_b32 exec_lo, exec_lo, s0
	s_cbranch_execnz .LBB108_325
; %bb.326:
	s_or_b32 exec_lo, exec_lo, s0
.LBB108_327:
	s_delay_alu instid0(SALU_CYCLE_1)
	s_or_b32 exec_lo, exec_lo, s4
	v_mov_b32_e32 v10, 0
	ds_load_b64 v[10:11], v10 offset:88
	s_waitcnt lgkmcnt(0)
	v_mul_f64 v[1:2], v[1:2], v[10:11]
	scratch_store_b64 off, v[1:2], off offset:88
.LBB108_328:
	s_or_b32 exec_lo, exec_lo, s2
	scratch_load_b64 v[1:2], off, off offset:80
	v_cmp_lt_u32_e64 s0, 10, v0
	s_waitcnt vmcnt(0)
	ds_store_b64 v3, v[1:2]
	s_waitcnt lgkmcnt(0)
	s_waitcnt_vscnt null, 0x0
	s_barrier
	buffer_gl0_inv
	s_and_saveexec_b32 s2, s0
	s_cbranch_execz .LBB108_338
; %bb.329:
	s_and_not1_b32 vcc_lo, exec_lo, s3
	s_cbranch_vccnz .LBB108_331
; %bb.330:
	scratch_load_b64 v[1:2], v4, off
	ds_load_b64 v[10:11], v3
	s_waitcnt vmcnt(0) lgkmcnt(0)
	v_mul_f64 v[1:2], v[1:2], v[10:11]
	s_cbranch_execz .LBB108_332
	s_branch .LBB108_333
.LBB108_331:
                                        ; implicit-def: $vgpr1_vgpr2
.LBB108_332:
	ds_load_b64 v[1:2], v3
.LBB108_333:
	s_and_saveexec_b32 s4, s1
	s_cbranch_execz .LBB108_337
; %bb.334:
	v_dual_mov_b32 v10, 0 :: v_dual_add_nc_u32 v11, -11, v0
	s_movk_i32 s5, 0x1c8
	s_mov_b32 s1, 0
	s_delay_alu instid0(VALU_DEP_1)
	v_add_nc_u32_e32 v10, 0x58, v10
.LBB108_335:                            ; =>This Inner Loop Header: Depth=1
	scratch_load_b64 v[104:105], v10, off
	v_dual_mov_b32 v12, s5 :: v_dual_add_nc_u32 v11, -1, v11
	v_add_nc_u32_e32 v10, 8, v10
	s_add_i32 s5, s5, 8
	ds_load_b64 v[106:107], v12
	v_cmp_eq_u32_e32 vcc_lo, 0, v11
	s_or_b32 s1, vcc_lo, s1
	s_waitcnt vmcnt(0) lgkmcnt(0)
	v_fma_f64 v[1:2], v[104:105], v[106:107], v[1:2]
	s_and_not1_b32 exec_lo, exec_lo, s1
	s_cbranch_execnz .LBB108_335
; %bb.336:
	s_or_b32 exec_lo, exec_lo, s1
.LBB108_337:
	s_delay_alu instid0(SALU_CYCLE_1)
	s_or_b32 exec_lo, exec_lo, s4
	v_mov_b32_e32 v10, 0
	ds_load_b64 v[10:11], v10 offset:80
	s_waitcnt lgkmcnt(0)
	v_mul_f64 v[1:2], v[1:2], v[10:11]
	scratch_store_b64 off, v[1:2], off offset:80
.LBB108_338:
	s_or_b32 exec_lo, exec_lo, s2
	scratch_load_b64 v[1:2], off, off offset:72
	v_cmp_lt_u32_e64 s1, 9, v0
	s_waitcnt vmcnt(0)
	ds_store_b64 v3, v[1:2]
	s_waitcnt lgkmcnt(0)
	s_waitcnt_vscnt null, 0x0
	s_barrier
	buffer_gl0_inv
	s_and_saveexec_b32 s2, s1
	s_cbranch_execz .LBB108_348
; %bb.339:
	s_and_not1_b32 vcc_lo, exec_lo, s3
	s_cbranch_vccnz .LBB108_341
; %bb.340:
	scratch_load_b64 v[1:2], v4, off
	ds_load_b64 v[10:11], v3
	s_waitcnt vmcnt(0) lgkmcnt(0)
	v_mul_f64 v[1:2], v[1:2], v[10:11]
	s_cbranch_execz .LBB108_342
	s_branch .LBB108_343
.LBB108_341:
                                        ; implicit-def: $vgpr1_vgpr2
.LBB108_342:
	ds_load_b64 v[1:2], v3
.LBB108_343:
	s_and_saveexec_b32 s4, s0
	s_cbranch_execz .LBB108_347
; %bb.344:
	v_add_nc_u32_e32 v10, -10, v0
	s_movk_i32 s5, 0x1c0
	s_mov_b32 s0, 0
.LBB108_345:                            ; =>This Inner Loop Header: Depth=1
	scratch_load_b64 v[11:12], v9, off
	v_dual_mov_b32 v104, s5 :: v_dual_add_nc_u32 v9, 8, v9
	v_add_nc_u32_e32 v10, -1, v10
	s_add_i32 s5, s5, 8
	ds_load_b64 v[104:105], v104
	v_cmp_eq_u32_e32 vcc_lo, 0, v10
	s_or_b32 s0, vcc_lo, s0
	s_waitcnt vmcnt(0) lgkmcnt(0)
	v_fma_f64 v[1:2], v[11:12], v[104:105], v[1:2]
	s_and_not1_b32 exec_lo, exec_lo, s0
	s_cbranch_execnz .LBB108_345
; %bb.346:
	s_or_b32 exec_lo, exec_lo, s0
.LBB108_347:
	s_delay_alu instid0(SALU_CYCLE_1)
	s_or_b32 exec_lo, exec_lo, s4
	v_mov_b32_e32 v9, 0
	ds_load_b64 v[9:10], v9 offset:72
	s_waitcnt lgkmcnt(0)
	v_mul_f64 v[1:2], v[1:2], v[9:10]
	scratch_store_b64 off, v[1:2], off offset:72
.LBB108_348:
	s_or_b32 exec_lo, exec_lo, s2
	scratch_load_b64 v[1:2], off, off offset:64
	v_cmp_lt_u32_e64 s0, 8, v0
	s_waitcnt vmcnt(0)
	ds_store_b64 v3, v[1:2]
	s_waitcnt lgkmcnt(0)
	s_waitcnt_vscnt null, 0x0
	s_barrier
	buffer_gl0_inv
	s_and_saveexec_b32 s2, s0
	s_cbranch_execz .LBB108_358
; %bb.349:
	s_and_not1_b32 vcc_lo, exec_lo, s3
	s_cbranch_vccnz .LBB108_351
; %bb.350:
	scratch_load_b64 v[1:2], v4, off
	ds_load_b64 v[9:10], v3
	s_waitcnt vmcnt(0) lgkmcnt(0)
	v_mul_f64 v[1:2], v[1:2], v[9:10]
	s_cbranch_execz .LBB108_352
	s_branch .LBB108_353
.LBB108_351:
                                        ; implicit-def: $vgpr1_vgpr2
.LBB108_352:
	ds_load_b64 v[1:2], v3
.LBB108_353:
	s_and_saveexec_b32 s4, s1
	s_cbranch_execz .LBB108_357
; %bb.354:
	v_dual_mov_b32 v9, 0 :: v_dual_add_nc_u32 v10, -9, v0
	s_movk_i32 s5, 0x1b8
	s_mov_b32 s1, 0
	s_delay_alu instid0(VALU_DEP_1)
	v_add_nc_u32_e32 v9, 0x48, v9
.LBB108_355:                            ; =>This Inner Loop Header: Depth=1
	scratch_load_b64 v[11:12], v9, off
	v_dual_mov_b32 v104, s5 :: v_dual_add_nc_u32 v9, 8, v9
	v_add_nc_u32_e32 v10, -1, v10
	s_add_i32 s5, s5, 8
	ds_load_b64 v[104:105], v104
	v_cmp_eq_u32_e32 vcc_lo, 0, v10
	s_or_b32 s1, vcc_lo, s1
	s_waitcnt vmcnt(0) lgkmcnt(0)
	v_fma_f64 v[1:2], v[11:12], v[104:105], v[1:2]
	s_and_not1_b32 exec_lo, exec_lo, s1
	s_cbranch_execnz .LBB108_355
; %bb.356:
	s_or_b32 exec_lo, exec_lo, s1
.LBB108_357:
	s_delay_alu instid0(SALU_CYCLE_1)
	s_or_b32 exec_lo, exec_lo, s4
	v_mov_b32_e32 v9, 0
	ds_load_b64 v[9:10], v9 offset:64
	s_waitcnt lgkmcnt(0)
	v_mul_f64 v[1:2], v[1:2], v[9:10]
	scratch_store_b64 off, v[1:2], off offset:64
.LBB108_358:
	s_or_b32 exec_lo, exec_lo, s2
	scratch_load_b64 v[1:2], off, off offset:56
	v_cmp_lt_u32_e64 s1, 7, v0
	s_waitcnt vmcnt(0)
	ds_store_b64 v3, v[1:2]
	s_waitcnt lgkmcnt(0)
	s_waitcnt_vscnt null, 0x0
	s_barrier
	buffer_gl0_inv
	s_and_saveexec_b32 s2, s1
	s_cbranch_execz .LBB108_368
; %bb.359:
	s_and_not1_b32 vcc_lo, exec_lo, s3
	s_cbranch_vccnz .LBB108_361
; %bb.360:
	scratch_load_b64 v[1:2], v4, off
	ds_load_b64 v[9:10], v3
	s_waitcnt vmcnt(0) lgkmcnt(0)
	v_mul_f64 v[1:2], v[1:2], v[9:10]
	s_cbranch_execz .LBB108_362
	s_branch .LBB108_363
.LBB108_361:
                                        ; implicit-def: $vgpr1_vgpr2
.LBB108_362:
	ds_load_b64 v[1:2], v3
.LBB108_363:
	s_and_saveexec_b32 s4, s0
	s_cbranch_execz .LBB108_367
; %bb.364:
	v_add_nc_u32_e32 v9, -8, v0
	s_movk_i32 s5, 0x1b0
	s_mov_b32 s0, 0
.LBB108_365:                            ; =>This Inner Loop Header: Depth=1
	scratch_load_b64 v[10:11], v8, off
	v_dual_mov_b32 v12, s5 :: v_dual_add_nc_u32 v9, -1, v9
	v_add_nc_u32_e32 v8, 8, v8
	s_add_i32 s5, s5, 8
	ds_load_b64 v[104:105], v12
	v_cmp_eq_u32_e32 vcc_lo, 0, v9
	s_or_b32 s0, vcc_lo, s0
	s_waitcnt vmcnt(0) lgkmcnt(0)
	v_fma_f64 v[1:2], v[10:11], v[104:105], v[1:2]
	s_and_not1_b32 exec_lo, exec_lo, s0
	s_cbranch_execnz .LBB108_365
; %bb.366:
	s_or_b32 exec_lo, exec_lo, s0
.LBB108_367:
	s_delay_alu instid0(SALU_CYCLE_1)
	s_or_b32 exec_lo, exec_lo, s4
	v_mov_b32_e32 v8, 0
	ds_load_b64 v[8:9], v8 offset:56
	s_waitcnt lgkmcnt(0)
	v_mul_f64 v[1:2], v[1:2], v[8:9]
	scratch_store_b64 off, v[1:2], off offset:56
.LBB108_368:
	s_or_b32 exec_lo, exec_lo, s2
	scratch_load_b64 v[1:2], off, off offset:48
	v_cmp_lt_u32_e64 s0, 6, v0
	s_waitcnt vmcnt(0)
	ds_store_b64 v3, v[1:2]
	s_waitcnt lgkmcnt(0)
	s_waitcnt_vscnt null, 0x0
	s_barrier
	buffer_gl0_inv
	s_and_saveexec_b32 s2, s0
	s_cbranch_execz .LBB108_378
; %bb.369:
	s_and_not1_b32 vcc_lo, exec_lo, s3
	s_cbranch_vccnz .LBB108_371
; %bb.370:
	scratch_load_b64 v[1:2], v4, off
	ds_load_b64 v[8:9], v3
	s_waitcnt vmcnt(0) lgkmcnt(0)
	v_mul_f64 v[1:2], v[1:2], v[8:9]
	s_cbranch_execz .LBB108_372
	s_branch .LBB108_373
.LBB108_371:
                                        ; implicit-def: $vgpr1_vgpr2
.LBB108_372:
	ds_load_b64 v[1:2], v3
.LBB108_373:
	s_and_saveexec_b32 s4, s1
	s_cbranch_execz .LBB108_377
; %bb.374:
	v_add_nc_u32_e64 v8, 0, 56
	v_add_nc_u32_e32 v9, -7, v0
	s_movk_i32 s5, 0x1a8
	s_mov_b32 s1, 0
.LBB108_375:                            ; =>This Inner Loop Header: Depth=1
	scratch_load_b64 v[10:11], v8, off
	v_dual_mov_b32 v12, s5 :: v_dual_add_nc_u32 v9, -1, v9
	v_add_nc_u32_e32 v8, 8, v8
	s_add_i32 s5, s5, 8
	ds_load_b64 v[104:105], v12
	v_cmp_eq_u32_e32 vcc_lo, 0, v9
	s_or_b32 s1, vcc_lo, s1
	s_waitcnt vmcnt(0) lgkmcnt(0)
	v_fma_f64 v[1:2], v[10:11], v[104:105], v[1:2]
	s_and_not1_b32 exec_lo, exec_lo, s1
	s_cbranch_execnz .LBB108_375
; %bb.376:
	s_or_b32 exec_lo, exec_lo, s1
.LBB108_377:
	s_delay_alu instid0(SALU_CYCLE_1)
	s_or_b32 exec_lo, exec_lo, s4
	v_mov_b32_e32 v8, 0
	ds_load_b64 v[8:9], v8 offset:48
	s_waitcnt lgkmcnt(0)
	v_mul_f64 v[1:2], v[1:2], v[8:9]
	scratch_store_b64 off, v[1:2], off offset:48
.LBB108_378:
	s_or_b32 exec_lo, exec_lo, s2
	scratch_load_b64 v[1:2], off, off offset:40
	v_cmp_lt_u32_e64 s1, 5, v0
	s_waitcnt vmcnt(0)
	ds_store_b64 v3, v[1:2]
	s_waitcnt lgkmcnt(0)
	s_waitcnt_vscnt null, 0x0
	s_barrier
	buffer_gl0_inv
	s_and_saveexec_b32 s2, s1
	s_cbranch_execz .LBB108_388
; %bb.379:
	s_and_not1_b32 vcc_lo, exec_lo, s3
	s_cbranch_vccnz .LBB108_381
; %bb.380:
	scratch_load_b64 v[1:2], v4, off
	ds_load_b64 v[8:9], v3
	s_waitcnt vmcnt(0) lgkmcnt(0)
	v_mul_f64 v[1:2], v[1:2], v[8:9]
	s_cbranch_execz .LBB108_382
	s_branch .LBB108_383
.LBB108_381:
                                        ; implicit-def: $vgpr1_vgpr2
.LBB108_382:
	ds_load_b64 v[1:2], v3
.LBB108_383:
	s_and_saveexec_b32 s4, s0
	s_cbranch_execz .LBB108_387
; %bb.384:
	v_add_nc_u32_e32 v8, -6, v0
	s_movk_i32 s5, 0x1a0
	s_mov_b32 s0, 0
.LBB108_385:                            ; =>This Inner Loop Header: Depth=1
	scratch_load_b64 v[9:10], v7, off
	v_dual_mov_b32 v11, s5 :: v_dual_add_nc_u32 v8, -1, v8
	v_add_nc_u32_e32 v7, 8, v7
	s_add_i32 s5, s5, 8
	ds_load_b64 v[11:12], v11
	v_cmp_eq_u32_e32 vcc_lo, 0, v8
	s_or_b32 s0, vcc_lo, s0
	s_waitcnt vmcnt(0) lgkmcnt(0)
	v_fma_f64 v[1:2], v[9:10], v[11:12], v[1:2]
	s_and_not1_b32 exec_lo, exec_lo, s0
	s_cbranch_execnz .LBB108_385
; %bb.386:
	s_or_b32 exec_lo, exec_lo, s0
.LBB108_387:
	s_delay_alu instid0(SALU_CYCLE_1)
	s_or_b32 exec_lo, exec_lo, s4
	v_mov_b32_e32 v7, 0
	ds_load_b64 v[7:8], v7 offset:40
	s_waitcnt lgkmcnt(0)
	v_mul_f64 v[1:2], v[1:2], v[7:8]
	scratch_store_b64 off, v[1:2], off offset:40
.LBB108_388:
	s_or_b32 exec_lo, exec_lo, s2
	scratch_load_b64 v[1:2], off, off offset:32
	v_cmp_lt_u32_e64 s0, 4, v0
	s_waitcnt vmcnt(0)
	ds_store_b64 v3, v[1:2]
	s_waitcnt lgkmcnt(0)
	s_waitcnt_vscnt null, 0x0
	s_barrier
	buffer_gl0_inv
	s_and_saveexec_b32 s2, s0
	s_cbranch_execz .LBB108_398
; %bb.389:
	s_and_not1_b32 vcc_lo, exec_lo, s3
	s_cbranch_vccnz .LBB108_391
; %bb.390:
	scratch_load_b64 v[1:2], v4, off
	ds_load_b64 v[7:8], v3
	s_waitcnt vmcnt(0) lgkmcnt(0)
	v_mul_f64 v[1:2], v[1:2], v[7:8]
	s_cbranch_execz .LBB108_392
	s_branch .LBB108_393
.LBB108_391:
                                        ; implicit-def: $vgpr1_vgpr2
.LBB108_392:
	ds_load_b64 v[1:2], v3
.LBB108_393:
	s_and_saveexec_b32 s4, s1
	s_cbranch_execz .LBB108_397
; %bb.394:
	v_add_nc_u32_e64 v7, 0, 40
	v_add_nc_u32_e32 v8, -5, v0
	s_movk_i32 s5, 0x198
	s_mov_b32 s1, 0
.LBB108_395:                            ; =>This Inner Loop Header: Depth=1
	scratch_load_b64 v[9:10], v7, off
	v_dual_mov_b32 v11, s5 :: v_dual_add_nc_u32 v8, -1, v8
	v_add_nc_u32_e32 v7, 8, v7
	s_add_i32 s5, s5, 8
	ds_load_b64 v[11:12], v11
	v_cmp_eq_u32_e32 vcc_lo, 0, v8
	s_or_b32 s1, vcc_lo, s1
	s_waitcnt vmcnt(0) lgkmcnt(0)
	v_fma_f64 v[1:2], v[9:10], v[11:12], v[1:2]
	s_and_not1_b32 exec_lo, exec_lo, s1
	s_cbranch_execnz .LBB108_395
; %bb.396:
	s_or_b32 exec_lo, exec_lo, s1
.LBB108_397:
	s_delay_alu instid0(SALU_CYCLE_1)
	s_or_b32 exec_lo, exec_lo, s4
	v_mov_b32_e32 v7, 0
	ds_load_b64 v[7:8], v7 offset:32
	s_waitcnt lgkmcnt(0)
	v_mul_f64 v[1:2], v[1:2], v[7:8]
	scratch_store_b64 off, v[1:2], off offset:32
.LBB108_398:
	s_or_b32 exec_lo, exec_lo, s2
	scratch_load_b64 v[1:2], off, off offset:24
	v_cmp_lt_u32_e64 s1, 3, v0
	s_waitcnt vmcnt(0)
	ds_store_b64 v3, v[1:2]
	s_waitcnt lgkmcnt(0)
	s_waitcnt_vscnt null, 0x0
	s_barrier
	buffer_gl0_inv
	s_and_saveexec_b32 s2, s1
	s_cbranch_execz .LBB108_408
; %bb.399:
	s_and_not1_b32 vcc_lo, exec_lo, s3
	s_cbranch_vccnz .LBB108_401
; %bb.400:
	scratch_load_b64 v[1:2], v4, off
	ds_load_b64 v[7:8], v3
	s_waitcnt vmcnt(0) lgkmcnt(0)
	v_mul_f64 v[1:2], v[1:2], v[7:8]
	s_cbranch_execz .LBB108_402
	s_branch .LBB108_403
.LBB108_401:
                                        ; implicit-def: $vgpr1_vgpr2
.LBB108_402:
	ds_load_b64 v[1:2], v3
.LBB108_403:
	s_and_saveexec_b32 s4, s0
	s_cbranch_execz .LBB108_407
; %bb.404:
	v_add_nc_u32_e32 v7, -4, v0
	s_movk_i32 s5, 0x190
	s_mov_b32 s0, 0
.LBB108_405:                            ; =>This Inner Loop Header: Depth=1
	scratch_load_b64 v[8:9], v6, off
	v_dual_mov_b32 v10, s5 :: v_dual_add_nc_u32 v7, -1, v7
	v_add_nc_u32_e32 v6, 8, v6
	s_add_i32 s5, s5, 8
	ds_load_b64 v[10:11], v10
	v_cmp_eq_u32_e32 vcc_lo, 0, v7
	s_or_b32 s0, vcc_lo, s0
	s_waitcnt vmcnt(0) lgkmcnt(0)
	v_fma_f64 v[1:2], v[8:9], v[10:11], v[1:2]
	s_and_not1_b32 exec_lo, exec_lo, s0
	s_cbranch_execnz .LBB108_405
; %bb.406:
	s_or_b32 exec_lo, exec_lo, s0
.LBB108_407:
	s_delay_alu instid0(SALU_CYCLE_1)
	s_or_b32 exec_lo, exec_lo, s4
	v_mov_b32_e32 v6, 0
	ds_load_b64 v[6:7], v6 offset:24
	s_waitcnt lgkmcnt(0)
	v_mul_f64 v[1:2], v[1:2], v[6:7]
	scratch_store_b64 off, v[1:2], off offset:24
.LBB108_408:
	s_or_b32 exec_lo, exec_lo, s2
	scratch_load_b64 v[1:2], off, off offset:16
	v_cmp_lt_u32_e64 s0, 2, v0
	s_waitcnt vmcnt(0)
	ds_store_b64 v3, v[1:2]
	s_waitcnt lgkmcnt(0)
	s_waitcnt_vscnt null, 0x0
	s_barrier
	buffer_gl0_inv
	s_and_saveexec_b32 s2, s0
	s_cbranch_execz .LBB108_418
; %bb.409:
	s_and_not1_b32 vcc_lo, exec_lo, s3
	s_cbranch_vccnz .LBB108_411
; %bb.410:
	scratch_load_b64 v[1:2], v4, off
	ds_load_b64 v[6:7], v3
	s_waitcnt vmcnt(0) lgkmcnt(0)
	v_mul_f64 v[1:2], v[1:2], v[6:7]
	s_cbranch_execz .LBB108_412
	s_branch .LBB108_413
.LBB108_411:
                                        ; implicit-def: $vgpr1_vgpr2
.LBB108_412:
	ds_load_b64 v[1:2], v3
.LBB108_413:
	s_and_saveexec_b32 s4, s1
	s_cbranch_execz .LBB108_417
; %bb.414:
	v_add_nc_u32_e64 v6, 0, 24
	v_add_nc_u32_e32 v7, -3, v0
	s_movk_i32 s5, 0x188
	s_mov_b32 s1, 0
.LBB108_415:                            ; =>This Inner Loop Header: Depth=1
	scratch_load_b64 v[8:9], v6, off
	v_dual_mov_b32 v10, s5 :: v_dual_add_nc_u32 v7, -1, v7
	v_add_nc_u32_e32 v6, 8, v6
	s_add_i32 s5, s5, 8
	ds_load_b64 v[10:11], v10
	v_cmp_eq_u32_e32 vcc_lo, 0, v7
	s_or_b32 s1, vcc_lo, s1
	s_waitcnt vmcnt(0) lgkmcnt(0)
	v_fma_f64 v[1:2], v[8:9], v[10:11], v[1:2]
	s_and_not1_b32 exec_lo, exec_lo, s1
	s_cbranch_execnz .LBB108_415
; %bb.416:
	s_or_b32 exec_lo, exec_lo, s1
.LBB108_417:
	s_delay_alu instid0(SALU_CYCLE_1)
	s_or_b32 exec_lo, exec_lo, s4
	v_mov_b32_e32 v6, 0
	ds_load_b64 v[6:7], v6 offset:16
	s_waitcnt lgkmcnt(0)
	v_mul_f64 v[1:2], v[1:2], v[6:7]
	scratch_store_b64 off, v[1:2], off offset:16
.LBB108_418:
	s_or_b32 exec_lo, exec_lo, s2
	scratch_load_b64 v[1:2], off, off offset:8
	v_cmp_lt_u32_e64 s1, 1, v0
	s_waitcnt vmcnt(0)
	ds_store_b64 v3, v[1:2]
	s_waitcnt lgkmcnt(0)
	s_waitcnt_vscnt null, 0x0
	s_barrier
	buffer_gl0_inv
	s_and_saveexec_b32 s2, s1
	s_cbranch_execz .LBB108_428
; %bb.419:
	s_and_not1_b32 vcc_lo, exec_lo, s3
	s_cbranch_vccnz .LBB108_421
; %bb.420:
	scratch_load_b64 v[1:2], v4, off
	ds_load_b64 v[6:7], v3
	s_waitcnt vmcnt(0) lgkmcnt(0)
	v_mul_f64 v[1:2], v[1:2], v[6:7]
	s_cbranch_execz .LBB108_422
	s_branch .LBB108_423
.LBB108_421:
                                        ; implicit-def: $vgpr1_vgpr2
.LBB108_422:
	ds_load_b64 v[1:2], v3
.LBB108_423:
	s_and_saveexec_b32 s4, s0
	s_cbranch_execz .LBB108_427
; %bb.424:
	v_add_nc_u32_e32 v6, -2, v0
	s_movk_i32 s5, 0x180
	s_mov_b32 s0, 0
.LBB108_425:                            ; =>This Inner Loop Header: Depth=1
	scratch_load_b64 v[7:8], v5, off
	v_dual_mov_b32 v9, s5 :: v_dual_add_nc_u32 v6, -1, v6
	v_add_nc_u32_e32 v5, 8, v5
	s_add_i32 s5, s5, 8
	ds_load_b64 v[9:10], v9
	v_cmp_eq_u32_e32 vcc_lo, 0, v6
	s_or_b32 s0, vcc_lo, s0
	s_waitcnt vmcnt(0) lgkmcnt(0)
	v_fma_f64 v[1:2], v[7:8], v[9:10], v[1:2]
	s_and_not1_b32 exec_lo, exec_lo, s0
	s_cbranch_execnz .LBB108_425
; %bb.426:
	s_or_b32 exec_lo, exec_lo, s0
.LBB108_427:
	s_delay_alu instid0(SALU_CYCLE_1)
	s_or_b32 exec_lo, exec_lo, s4
	v_mov_b32_e32 v5, 0
	ds_load_b64 v[5:6], v5 offset:8
	s_waitcnt lgkmcnt(0)
	v_mul_f64 v[1:2], v[1:2], v[5:6]
	scratch_store_b64 off, v[1:2], off offset:8
.LBB108_428:
	s_or_b32 exec_lo, exec_lo, s2
	scratch_load_b64 v[1:2], off, off
	s_mov_b32 s0, 0
	s_mov_b32 s2, exec_lo
	s_waitcnt vmcnt(0)
	ds_store_b64 v3, v[1:2]
	s_waitcnt lgkmcnt(0)
	s_waitcnt_vscnt null, 0x0
	s_barrier
	buffer_gl0_inv
	v_cmpx_ne_u32_e32 0, v0
	s_cbranch_execz .LBB108_438
; %bb.429:
	s_and_not1_b32 vcc_lo, exec_lo, s3
	s_cbranch_vccnz .LBB108_431
; %bb.430:
	scratch_load_b64 v[1:2], v4, off
	ds_load_b64 v[5:6], v3
	s_waitcnt vmcnt(0) lgkmcnt(0)
	v_mul_f64 v[1:2], v[1:2], v[5:6]
	s_cbranch_execz .LBB108_432
	s_branch .LBB108_433
.LBB108_431:
                                        ; implicit-def: $vgpr1_vgpr2
.LBB108_432:
	ds_load_b64 v[1:2], v3
.LBB108_433:
	s_and_saveexec_b32 s4, s1
	s_cbranch_execz .LBB108_437
; %bb.434:
	v_or_b32_e64 v5, 0, 8
	v_add_nc_u32_e32 v6, -1, v0
	s_movk_i32 s5, 0x178
	s_mov_b32 s1, 0
.LBB108_435:                            ; =>This Inner Loop Header: Depth=1
	scratch_load_b64 v[7:8], v5, off
	v_dual_mov_b32 v9, s5 :: v_dual_add_nc_u32 v6, -1, v6
	v_add_nc_u32_e32 v5, 8, v5
	s_add_i32 s5, s5, 8
	ds_load_b64 v[9:10], v9
	v_cmp_eq_u32_e32 vcc_lo, 0, v6
	s_or_b32 s1, vcc_lo, s1
	s_waitcnt vmcnt(0) lgkmcnt(0)
	v_fma_f64 v[1:2], v[7:8], v[9:10], v[1:2]
	s_and_not1_b32 exec_lo, exec_lo, s1
	s_cbranch_execnz .LBB108_435
; %bb.436:
	s_or_b32 exec_lo, exec_lo, s1
.LBB108_437:
	s_delay_alu instid0(SALU_CYCLE_1)
	s_or_b32 exec_lo, exec_lo, s4
	v_mov_b32_e32 v5, 0
	ds_load_b64 v[5:6], v5
	s_waitcnt lgkmcnt(0)
	v_mul_f64 v[1:2], v[1:2], v[5:6]
	scratch_store_b64 off, v[1:2], off
.LBB108_438:
	s_or_b32 exec_lo, exec_lo, s2
.LBB108_439:
	s_delay_alu instid0(SALU_CYCLE_1)
	s_and_b32 vcc_lo, exec_lo, s0
	s_cbranch_vccz .LBB108_875
; %bb.440:
	scratch_load_b64 v[1:2], off, off offset:8
	v_cmp_eq_u32_e64 s0, 0, v0
	s_waitcnt vmcnt(0)
	ds_store_b64 v3, v[1:2]
	s_waitcnt lgkmcnt(0)
	s_waitcnt_vscnt null, 0x0
	s_barrier
	buffer_gl0_inv
	s_and_saveexec_b32 s1, s0
	s_cbranch_execz .LBB108_446
; %bb.441:
	s_and_b32 vcc_lo, exec_lo, s3
	s_cbranch_vccz .LBB108_443
; %bb.442:
	scratch_load_b64 v[1:2], v4, off
	ds_load_b64 v[5:6], v3
	s_waitcnt vmcnt(0) lgkmcnt(0)
	v_mul_f64 v[1:2], v[1:2], v[5:6]
	s_cbranch_execz .LBB108_444
	s_branch .LBB108_445
.LBB108_443:
                                        ; implicit-def: $vgpr1_vgpr2
.LBB108_444:
	ds_load_b64 v[1:2], v3
.LBB108_445:
	v_mov_b32_e32 v5, 0
	ds_load_b64 v[5:6], v5 offset:8
	s_waitcnt lgkmcnt(0)
	v_mul_f64 v[1:2], v[1:2], v[5:6]
	scratch_store_b64 off, v[1:2], off offset:8
.LBB108_446:
	s_or_b32 exec_lo, exec_lo, s1
	scratch_load_b64 v[1:2], off, off offset:16
	v_cndmask_b32_e64 v5, 0, 1, s3
	s_mov_b32 s1, exec_lo
	s_waitcnt vmcnt(0)
	ds_store_b64 v3, v[1:2]
	s_waitcnt lgkmcnt(0)
	s_waitcnt_vscnt null, 0x0
	s_barrier
	buffer_gl0_inv
	v_cmpx_gt_u32_e32 2, v0
	s_cbranch_execz .LBB108_454
; %bb.447:
	s_and_not1_b32 vcc_lo, exec_lo, s3
	s_cbranch_vccnz .LBB108_449
; %bb.448:
	scratch_load_b64 v[1:2], v4, off
	ds_load_b64 v[6:7], v3
	s_waitcnt vmcnt(0) lgkmcnt(0)
	v_mul_f64 v[1:2], v[1:2], v[6:7]
	s_cbranch_execz .LBB108_450
	s_branch .LBB108_451
.LBB108_449:
                                        ; implicit-def: $vgpr1_vgpr2
.LBB108_450:
	ds_load_b64 v[1:2], v3
.LBB108_451:
	s_and_saveexec_b32 s2, s0
	s_cbranch_execz .LBB108_453
; %bb.452:
	scratch_load_b64 v[6:7], v4, off offset:8
	ds_load_b64 v[8:9], v3 offset:8
	s_waitcnt vmcnt(0) lgkmcnt(0)
	v_fma_f64 v[1:2], v[6:7], v[8:9], v[1:2]
.LBB108_453:
	s_or_b32 exec_lo, exec_lo, s2
	v_mov_b32_e32 v6, 0
	ds_load_b64 v[6:7], v6 offset:16
	s_waitcnt lgkmcnt(0)
	v_mul_f64 v[1:2], v[1:2], v[6:7]
	scratch_store_b64 off, v[1:2], off offset:16
.LBB108_454:
	s_or_b32 exec_lo, exec_lo, s1
	scratch_load_b64 v[1:2], off, off offset:24
	s_mov_b32 s1, exec_lo
	s_waitcnt vmcnt(0)
	ds_store_b64 v3, v[1:2]
	s_waitcnt lgkmcnt(0)
	s_waitcnt_vscnt null, 0x0
	s_barrier
	buffer_gl0_inv
	v_cmpx_gt_u32_e32 3, v0
	s_cbranch_execz .LBB108_464
; %bb.455:
	v_cmp_ne_u32_e32 vcc_lo, 1, v5
	s_cbranch_vccnz .LBB108_457
; %bb.456:
	scratch_load_b64 v[1:2], v4, off
	ds_load_b64 v[6:7], v3
	s_waitcnt vmcnt(0) lgkmcnt(0)
	v_mul_f64 v[1:2], v[1:2], v[6:7]
	s_cbranch_execz .LBB108_458
	s_branch .LBB108_459
.LBB108_457:
                                        ; implicit-def: $vgpr1_vgpr2
.LBB108_458:
	ds_load_b64 v[1:2], v3
.LBB108_459:
	s_mov_b32 s2, exec_lo
	v_cmpx_ne_u32_e32 2, v0
	s_cbranch_execz .LBB108_463
; %bb.460:
	scratch_load_b64 v[6:7], v4, off offset:8
	ds_load_b64 v[8:9], v3 offset:8
	s_waitcnt vmcnt(0) lgkmcnt(0)
	v_fma_f64 v[1:2], v[6:7], v[8:9], v[1:2]
	s_and_saveexec_b32 s3, s0
	s_cbranch_execz .LBB108_462
; %bb.461:
	scratch_load_b64 v[6:7], off, off offset:16
	v_mov_b32_e32 v8, 0
	ds_load_b64 v[8:9], v8 offset:384
	s_waitcnt vmcnt(0) lgkmcnt(0)
	v_fma_f64 v[1:2], v[6:7], v[8:9], v[1:2]
.LBB108_462:
	s_or_b32 exec_lo, exec_lo, s3
.LBB108_463:
	s_delay_alu instid0(SALU_CYCLE_1)
	s_or_b32 exec_lo, exec_lo, s2
	v_mov_b32_e32 v6, 0
	ds_load_b64 v[6:7], v6 offset:24
	s_waitcnt lgkmcnt(0)
	v_mul_f64 v[1:2], v[1:2], v[6:7]
	scratch_store_b64 off, v[1:2], off offset:24
.LBB108_464:
	s_or_b32 exec_lo, exec_lo, s1
	scratch_load_b64 v[1:2], off, off offset:32
	s_mov_b32 s0, exec_lo
	s_waitcnt vmcnt(0)
	ds_store_b64 v3, v[1:2]
	s_waitcnt lgkmcnt(0)
	s_waitcnt_vscnt null, 0x0
	s_barrier
	buffer_gl0_inv
	v_cmpx_gt_u32_e32 4, v0
	s_cbranch_execz .LBB108_474
; %bb.465:
	v_cmp_ne_u32_e32 vcc_lo, 1, v5
	s_cbranch_vccnz .LBB108_467
; %bb.466:
	scratch_load_b64 v[1:2], v4, off
	ds_load_b64 v[6:7], v3
	s_waitcnt vmcnt(0) lgkmcnt(0)
	v_mul_f64 v[1:2], v[1:2], v[6:7]
	s_cbranch_execz .LBB108_468
	s_branch .LBB108_469
.LBB108_467:
                                        ; implicit-def: $vgpr1_vgpr2
.LBB108_468:
	ds_load_b64 v[1:2], v3
.LBB108_469:
	s_mov_b32 s1, exec_lo
	v_cmpx_ne_u32_e32 3, v0
	s_cbranch_execz .LBB108_473
; %bb.470:
	v_add_nc_u32_e32 v6, 0x178, v103
	v_add3_u32 v7, 0, v103, 8
	v_mov_b32_e32 v8, v0
	s_mov_b32 s2, 0
.LBB108_471:                            ; =>This Inner Loop Header: Depth=1
	scratch_load_b64 v[9:10], v7, off
	ds_load_b64 v[11:12], v6
	v_add_nc_u32_e32 v8, 1, v8
	v_add_nc_u32_e32 v6, 8, v6
	v_add_nc_u32_e32 v7, 8, v7
	s_delay_alu instid0(VALU_DEP_3)
	v_cmp_lt_u32_e32 vcc_lo, 2, v8
	s_or_b32 s2, vcc_lo, s2
	s_waitcnt vmcnt(0) lgkmcnt(0)
	v_fma_f64 v[1:2], v[9:10], v[11:12], v[1:2]
	s_and_not1_b32 exec_lo, exec_lo, s2
	s_cbranch_execnz .LBB108_471
; %bb.472:
	s_or_b32 exec_lo, exec_lo, s2
.LBB108_473:
	s_delay_alu instid0(SALU_CYCLE_1)
	s_or_b32 exec_lo, exec_lo, s1
	v_mov_b32_e32 v6, 0
	ds_load_b64 v[6:7], v6 offset:32
	s_waitcnt lgkmcnt(0)
	v_mul_f64 v[1:2], v[1:2], v[6:7]
	scratch_store_b64 off, v[1:2], off offset:32
.LBB108_474:
	s_or_b32 exec_lo, exec_lo, s0
	scratch_load_b64 v[1:2], off, off offset:40
	s_mov_b32 s0, exec_lo
	s_waitcnt vmcnt(0)
	ds_store_b64 v3, v[1:2]
	s_waitcnt lgkmcnt(0)
	s_waitcnt_vscnt null, 0x0
	s_barrier
	buffer_gl0_inv
	v_cmpx_gt_u32_e32 5, v0
	s_cbranch_execz .LBB108_484
; %bb.475:
	v_cmp_ne_u32_e32 vcc_lo, 1, v5
	s_cbranch_vccnz .LBB108_477
; %bb.476:
	scratch_load_b64 v[1:2], v4, off
	ds_load_b64 v[6:7], v3
	s_waitcnt vmcnt(0) lgkmcnt(0)
	v_mul_f64 v[1:2], v[1:2], v[6:7]
	s_cbranch_execz .LBB108_478
	s_branch .LBB108_479
.LBB108_477:
                                        ; implicit-def: $vgpr1_vgpr2
.LBB108_478:
	ds_load_b64 v[1:2], v3
.LBB108_479:
	s_mov_b32 s1, exec_lo
	v_cmpx_ne_u32_e32 4, v0
	s_cbranch_execz .LBB108_483
; %bb.480:
	v_add_nc_u32_e32 v6, 0x178, v103
	v_add3_u32 v7, 0, v103, 8
	v_mov_b32_e32 v8, v0
	s_mov_b32 s2, 0
.LBB108_481:                            ; =>This Inner Loop Header: Depth=1
	scratch_load_b64 v[9:10], v7, off
	ds_load_b64 v[11:12], v6
	v_add_nc_u32_e32 v8, 1, v8
	v_add_nc_u32_e32 v6, 8, v6
	v_add_nc_u32_e32 v7, 8, v7
	s_delay_alu instid0(VALU_DEP_3)
	v_cmp_lt_u32_e32 vcc_lo, 3, v8
	s_or_b32 s2, vcc_lo, s2
	s_waitcnt vmcnt(0) lgkmcnt(0)
	v_fma_f64 v[1:2], v[9:10], v[11:12], v[1:2]
	s_and_not1_b32 exec_lo, exec_lo, s2
	s_cbranch_execnz .LBB108_481
; %bb.482:
	s_or_b32 exec_lo, exec_lo, s2
.LBB108_483:
	s_delay_alu instid0(SALU_CYCLE_1)
	s_or_b32 exec_lo, exec_lo, s1
	v_mov_b32_e32 v6, 0
	ds_load_b64 v[6:7], v6 offset:40
	s_waitcnt lgkmcnt(0)
	v_mul_f64 v[1:2], v[1:2], v[6:7]
	scratch_store_b64 off, v[1:2], off offset:40
.LBB108_484:
	;; [unrolled: 58-line block ×39, first 2 shown]
	s_or_b32 exec_lo, exec_lo, s0
	scratch_load_b64 v[1:2], off, off offset:344
	v_cmp_gt_u32_e64 s0, 43, v0
	s_waitcnt vmcnt(0)
	ds_store_b64 v3, v[1:2]
	s_waitcnt lgkmcnt(0)
	s_waitcnt_vscnt null, 0x0
	s_barrier
	buffer_gl0_inv
	s_and_saveexec_b32 s1, s0
	s_cbranch_execz .LBB108_864
; %bb.855:
	v_cmp_ne_u32_e32 vcc_lo, 1, v5
	s_cbranch_vccnz .LBB108_857
; %bb.856:
	scratch_load_b64 v[1:2], v4, off
	ds_load_b64 v[6:7], v3
	s_waitcnt vmcnt(0) lgkmcnt(0)
	v_mul_f64 v[1:2], v[1:2], v[6:7]
	s_cbranch_execz .LBB108_858
	s_branch .LBB108_859
.LBB108_857:
                                        ; implicit-def: $vgpr1_vgpr2
.LBB108_858:
	ds_load_b64 v[1:2], v3
.LBB108_859:
	s_mov_b32 s2, exec_lo
	v_cmpx_ne_u32_e32 42, v0
	s_cbranch_execz .LBB108_863
; %bb.860:
	v_add_nc_u32_e32 v6, 0x178, v103
	v_add3_u32 v7, 0, v103, 8
	v_mov_b32_e32 v8, v0
	s_mov_b32 s3, 0
.LBB108_861:                            ; =>This Inner Loop Header: Depth=1
	scratch_load_b64 v[9:10], v7, off
	ds_load_b64 v[11:12], v6
	v_add_nc_u32_e32 v8, 1, v8
	v_add_nc_u32_e32 v6, 8, v6
	;; [unrolled: 1-line block ×3, first 2 shown]
	s_delay_alu instid0(VALU_DEP_3)
	v_cmp_lt_u32_e32 vcc_lo, 41, v8
	s_or_b32 s3, vcc_lo, s3
	s_waitcnt vmcnt(0) lgkmcnt(0)
	v_fma_f64 v[1:2], v[9:10], v[11:12], v[1:2]
	s_and_not1_b32 exec_lo, exec_lo, s3
	s_cbranch_execnz .LBB108_861
; %bb.862:
	s_or_b32 exec_lo, exec_lo, s3
.LBB108_863:
	s_delay_alu instid0(SALU_CYCLE_1)
	s_or_b32 exec_lo, exec_lo, s2
	v_mov_b32_e32 v6, 0
	ds_load_b64 v[6:7], v6 offset:344
	s_waitcnt lgkmcnt(0)
	v_mul_f64 v[1:2], v[1:2], v[6:7]
	scratch_store_b64 off, v[1:2], off offset:344
.LBB108_864:
	s_or_b32 exec_lo, exec_lo, s1
	scratch_load_b64 v[1:2], off, off offset:352
	s_mov_b32 s1, exec_lo
	s_waitcnt vmcnt(0)
	ds_store_b64 v3, v[1:2]
	s_waitcnt lgkmcnt(0)
	s_waitcnt_vscnt null, 0x0
	s_barrier
	buffer_gl0_inv
	v_cmpx_ne_u32_e32 44, v0
	s_cbranch_execz .LBB108_874
; %bb.865:
	v_cmp_ne_u32_e32 vcc_lo, 1, v5
	s_cbranch_vccnz .LBB108_867
; %bb.866:
	scratch_load_b64 v[1:2], v4, off
	ds_load_b64 v[4:5], v3
	s_waitcnt vmcnt(0) lgkmcnt(0)
	v_mul_f64 v[1:2], v[1:2], v[4:5]
	s_cbranch_execz .LBB108_868
	s_branch .LBB108_869
.LBB108_867:
                                        ; implicit-def: $vgpr1_vgpr2
.LBB108_868:
	ds_load_b64 v[1:2], v3
.LBB108_869:
	s_and_saveexec_b32 s2, s0
	s_cbranch_execz .LBB108_873
; %bb.870:
	v_add_nc_u32_e32 v3, 0x178, v103
	v_add3_u32 v4, 0, v103, 8
	s_mov_b32 s0, 0
.LBB108_871:                            ; =>This Inner Loop Header: Depth=1
	scratch_load_b64 v[5:6], v4, off
	ds_load_b64 v[7:8], v3
	v_add_nc_u32_e32 v0, 1, v0
	v_add_nc_u32_e32 v3, 8, v3
	;; [unrolled: 1-line block ×3, first 2 shown]
	s_delay_alu instid0(VALU_DEP_3)
	v_cmp_lt_u32_e32 vcc_lo, 42, v0
	s_or_b32 s0, vcc_lo, s0
	s_waitcnt vmcnt(0) lgkmcnt(0)
	v_fma_f64 v[1:2], v[5:6], v[7:8], v[1:2]
	s_and_not1_b32 exec_lo, exec_lo, s0
	s_cbranch_execnz .LBB108_871
; %bb.872:
	s_or_b32 exec_lo, exec_lo, s0
.LBB108_873:
	s_delay_alu instid0(SALU_CYCLE_1)
	s_or_b32 exec_lo, exec_lo, s2
	v_mov_b32_e32 v0, 0
	ds_load_b64 v[3:4], v0 offset:352
	s_waitcnt lgkmcnt(0)
	v_mul_f64 v[0:1], v[1:2], v[3:4]
	scratch_store_b64 off, v[0:1], off offset:352
.LBB108_874:
	s_or_b32 exec_lo, exec_lo, s1
.LBB108_875:
	s_clause 0xd
	scratch_load_b128 v[0:3], off, off
	scratch_load_b128 v[4:7], off, off offset:16
	scratch_load_b128 v[8:11], off, off offset:32
	;; [unrolled: 1-line block ×13, first 2 shown]
	s_waitcnt vmcnt(13)
	s_clause 0x1
	global_store_b64 v[33:34], v[0:1], off
	global_store_b64 v[29:30], v[2:3], off
	s_waitcnt vmcnt(12)
	s_clause 0x1
	global_store_b64 v[21:22], v[4:5], off
	global_store_b64 v[15:16], v[6:7], off
	scratch_load_b128 v[4:7], off, off offset:240
	s_waitcnt vmcnt(12)
	s_clause 0x1
	global_store_b64 v[13:14], v[8:9], off
	global_store_b64 v[17:18], v[10:11], off
	s_waitcnt vmcnt(11)
	s_clause 0x1
	global_store_b64 v[19:20], v[103:104], off
	global_store_b64 v[23:24], v[105:106], off
	s_waitcnt vmcnt(10)
	s_clause 0x1
	global_store_b64 v[25:26], v[107:108], off
	global_store_b64 v[31:32], v[109:110], off
	s_clause 0x7
	scratch_load_b128 v[0:3], off, off offset:208
	scratch_load_b128 v[12:15], off, off offset:256
	;; [unrolled: 1-line block ×7, first 2 shown]
	scratch_load_b64 v[24:25], off, off offset:352
	s_waitcnt vmcnt(17)
	s_clause 0x1
	global_store_b64 v[27:28], v[111:112], off
	global_store_b64 v[35:36], v[113:114], off
	s_waitcnt vmcnt(16)
	s_clause 0x1
	global_store_b64 v[37:38], v[115:116], off
	global_store_b64 v[39:40], v[117:118], off
	;; [unrolled: 4-line block ×9, first 2 shown]
	global_store_b64 v[69:70], v[143:144], off
	global_store_b64 v[71:72], v[145:146], off
	;; [unrolled: 1-line block ×4, first 2 shown]
	s_waitcnt vmcnt(6)
	s_clause 0x1
	global_store_b64 v[77:78], v[12:13], off
	global_store_b64 v[79:80], v[14:15], off
	s_waitcnt vmcnt(5)
	s_clause 0x1
	global_store_b64 v[81:82], v[8:9], off
	global_store_b64 v[83:84], v[10:11], off
	;; [unrolled: 4-line block ×6, first 2 shown]
	s_waitcnt vmcnt(0)
	global_store_b64 v[101:102], v[24:25], off
.LBB108_876:
	s_endpgm
	.section	.rodata,"a",@progbits
	.p2align	6, 0x0
	.amdhsa_kernel _ZN9rocsolver6v33100L18trti2_kernel_smallILi45EdPKPdEEv13rocblas_fill_17rocblas_diagonal_T1_iil
		.amdhsa_group_segment_fixed_size 728
		.amdhsa_private_segment_fixed_size 368
		.amdhsa_kernarg_size 32
		.amdhsa_user_sgpr_count 15
		.amdhsa_user_sgpr_dispatch_ptr 0
		.amdhsa_user_sgpr_queue_ptr 0
		.amdhsa_user_sgpr_kernarg_segment_ptr 1
		.amdhsa_user_sgpr_dispatch_id 0
		.amdhsa_user_sgpr_private_segment_size 0
		.amdhsa_wavefront_size32 1
		.amdhsa_uses_dynamic_stack 0
		.amdhsa_enable_private_segment 1
		.amdhsa_system_sgpr_workgroup_id_x 1
		.amdhsa_system_sgpr_workgroup_id_y 0
		.amdhsa_system_sgpr_workgroup_id_z 0
		.amdhsa_system_sgpr_workgroup_info 0
		.amdhsa_system_vgpr_workitem_id 0
		.amdhsa_next_free_vgpr 147
		.amdhsa_next_free_sgpr 20
		.amdhsa_reserve_vcc 1
		.amdhsa_float_round_mode_32 0
		.amdhsa_float_round_mode_16_64 0
		.amdhsa_float_denorm_mode_32 3
		.amdhsa_float_denorm_mode_16_64 3
		.amdhsa_dx10_clamp 1
		.amdhsa_ieee_mode 1
		.amdhsa_fp16_overflow 0
		.amdhsa_workgroup_processor_mode 1
		.amdhsa_memory_ordered 1
		.amdhsa_forward_progress 0
		.amdhsa_shared_vgpr_count 0
		.amdhsa_exception_fp_ieee_invalid_op 0
		.amdhsa_exception_fp_denorm_src 0
		.amdhsa_exception_fp_ieee_div_zero 0
		.amdhsa_exception_fp_ieee_overflow 0
		.amdhsa_exception_fp_ieee_underflow 0
		.amdhsa_exception_fp_ieee_inexact 0
		.amdhsa_exception_int_div_zero 0
	.end_amdhsa_kernel
	.section	.text._ZN9rocsolver6v33100L18trti2_kernel_smallILi45EdPKPdEEv13rocblas_fill_17rocblas_diagonal_T1_iil,"axG",@progbits,_ZN9rocsolver6v33100L18trti2_kernel_smallILi45EdPKPdEEv13rocblas_fill_17rocblas_diagonal_T1_iil,comdat
.Lfunc_end108:
	.size	_ZN9rocsolver6v33100L18trti2_kernel_smallILi45EdPKPdEEv13rocblas_fill_17rocblas_diagonal_T1_iil, .Lfunc_end108-_ZN9rocsolver6v33100L18trti2_kernel_smallILi45EdPKPdEEv13rocblas_fill_17rocblas_diagonal_T1_iil
                                        ; -- End function
	.section	.AMDGPU.csdata,"",@progbits
; Kernel info:
; codeLenInByte = 24512
; NumSgprs: 22
; NumVgprs: 147
; ScratchSize: 368
; MemoryBound: 0
; FloatMode: 240
; IeeeMode: 1
; LDSByteSize: 728 bytes/workgroup (compile time only)
; SGPRBlocks: 2
; VGPRBlocks: 18
; NumSGPRsForWavesPerEU: 22
; NumVGPRsForWavesPerEU: 147
; Occupancy: 9
; WaveLimiterHint : 1
; COMPUTE_PGM_RSRC2:SCRATCH_EN: 1
; COMPUTE_PGM_RSRC2:USER_SGPR: 15
; COMPUTE_PGM_RSRC2:TRAP_HANDLER: 0
; COMPUTE_PGM_RSRC2:TGID_X_EN: 1
; COMPUTE_PGM_RSRC2:TGID_Y_EN: 0
; COMPUTE_PGM_RSRC2:TGID_Z_EN: 0
; COMPUTE_PGM_RSRC2:TIDIG_COMP_CNT: 0
	.section	.text._ZN9rocsolver6v33100L18trti2_kernel_smallILi46EdPKPdEEv13rocblas_fill_17rocblas_diagonal_T1_iil,"axG",@progbits,_ZN9rocsolver6v33100L18trti2_kernel_smallILi46EdPKPdEEv13rocblas_fill_17rocblas_diagonal_T1_iil,comdat
	.globl	_ZN9rocsolver6v33100L18trti2_kernel_smallILi46EdPKPdEEv13rocblas_fill_17rocblas_diagonal_T1_iil ; -- Begin function _ZN9rocsolver6v33100L18trti2_kernel_smallILi46EdPKPdEEv13rocblas_fill_17rocblas_diagonal_T1_iil
	.p2align	8
	.type	_ZN9rocsolver6v33100L18trti2_kernel_smallILi46EdPKPdEEv13rocblas_fill_17rocblas_diagonal_T1_iil,@function
_ZN9rocsolver6v33100L18trti2_kernel_smallILi46EdPKPdEEv13rocblas_fill_17rocblas_diagonal_T1_iil: ; @_ZN9rocsolver6v33100L18trti2_kernel_smallILi46EdPKPdEEv13rocblas_fill_17rocblas_diagonal_T1_iil
; %bb.0:
	s_mov_b32 s2, exec_lo
	v_cmpx_gt_u32_e32 46, v0
	s_cbranch_execz .LBB109_896
; %bb.1:
	s_clause 0x1
	s_load_b64 s[4:5], s[0:1], 0x10
	s_load_b128 s[0:3], s[0:1], 0x0
	s_mov_b32 s6, s15
	s_ashr_i32 s7, s15, 31
	v_lshlrev_b32_e32 v95, 3, v0
	s_lshl_b64 s[6:7], s[6:7], 3
	s_waitcnt lgkmcnt(0)
	s_ashr_i32 s9, s4, 31
	s_add_u32 s2, s2, s6
	s_addc_u32 s3, s3, s7
	s_mov_b32 s8, s4
	s_load_b64 s[2:3], s[2:3], 0x0
	s_lshl_b64 s[6:7], s[8:9], 3
	v_add3_u32 v1, s5, s5, v0
	s_mov_b32 s8, s5
	s_delay_alu instid0(VALU_DEP_1) | instskip(SKIP_1) | instid1(VALU_DEP_2)
	v_add_nc_u32_e32 v5, s5, v1
	v_ashrrev_i32_e32 v2, 31, v1
	v_ashrrev_i32_e32 v6, 31, v5
	s_delay_alu instid0(VALU_DEP_2) | instskip(NEXT) | instid1(VALU_DEP_2)
	v_lshlrev_b64 v[1:2], 3, v[1:2]
	v_lshlrev_b64 v[3:4], 3, v[5:6]
	v_add_nc_u32_e32 v5, s5, v5
	s_waitcnt lgkmcnt(0)
	s_add_u32 s2, s2, s6
	s_addc_u32 s3, s3, s7
	v_add_co_u32 v13, s4, s2, v95
	s_ashr_i32 s9, s5, 31
	v_add_co_ci_u32_e64 v14, null, s3, 0, s4
	s_lshl_b64 s[6:7], s[8:9], 3
	v_add_nc_u32_e32 v7, s5, v5
	v_add_co_u32 v15, vcc_lo, v13, s6
	s_delay_alu instid0(VALU_DEP_3)
	v_add_co_ci_u32_e32 v16, vcc_lo, s7, v14, vcc_lo
	s_clause 0x1
	global_load_b64 v[47:48], v95, s[2:3]
	global_load_b64 v[49:50], v[15:16], off
	v_add_co_u32 v1, vcc_lo, s2, v1
	v_add_co_ci_u32_e32 v2, vcc_lo, s3, v2, vcc_lo
	v_add_co_u32 v3, vcc_lo, s2, v3
	v_add_co_ci_u32_e32 v4, vcc_lo, s3, v4, vcc_lo
	s_clause 0x1
	global_load_b64 v[51:52], v[1:2], off
	global_load_b64 v[53:54], v[3:4], off
	v_add_nc_u32_e32 v9, s5, v7
	v_ashrrev_i32_e32 v6, 31, v5
	v_ashrrev_i32_e32 v8, 31, v7
	s_cmpk_lg_i32 s1, 0x84
	s_delay_alu instid0(VALU_DEP_3) | instskip(NEXT) | instid1(VALU_DEP_3)
	v_add_nc_u32_e32 v11, s5, v9
	v_lshlrev_b64 v[5:6], 3, v[5:6]
	v_ashrrev_i32_e32 v10, 31, v9
	v_lshlrev_b64 v[7:8], 3, v[7:8]
	s_delay_alu instid0(VALU_DEP_4) | instskip(SKIP_3) | instid1(VALU_DEP_4)
	v_add_nc_u32_e32 v17, s5, v11
	v_ashrrev_i32_e32 v12, 31, v11
	v_add_co_u32 v21, vcc_lo, s2, v5
	v_add_co_ci_u32_e32 v22, vcc_lo, s3, v6, vcc_lo
	v_add_nc_u32_e32 v19, s5, v17
	v_lshlrev_b64 v[5:6], 3, v[9:10]
	v_add_co_u32 v27, vcc_lo, s2, v7
	v_ashrrev_i32_e32 v18, 31, v17
	s_delay_alu instid0(VALU_DEP_4) | instskip(SKIP_3) | instid1(VALU_DEP_4)
	v_add_nc_u32_e32 v23, s5, v19
	v_add_co_ci_u32_e32 v28, vcc_lo, s3, v8, vcc_lo
	v_lshlrev_b64 v[7:8], 3, v[11:12]
	v_add_co_u32 v9, vcc_lo, s2, v5
	v_add_nc_u32_e32 v29, s5, v23
	v_ashrrev_i32_e32 v20, 31, v19
	v_add_co_ci_u32_e32 v10, vcc_lo, s3, v6, vcc_lo
	v_lshlrev_b64 v[5:6], 3, v[17:18]
	s_delay_alu instid0(VALU_DEP_4) | instskip(SKIP_3) | instid1(VALU_DEP_4)
	v_add_nc_u32_e32 v31, s5, v29
	v_add_co_u32 v25, vcc_lo, s2, v7
	v_lshlrev_b64 v[11:12], 3, v[19:20]
	v_ashrrev_i32_e32 v24, 31, v23
	v_add_nc_u32_e32 v33, s5, v31
	v_add_co_ci_u32_e32 v26, vcc_lo, s3, v8, vcc_lo
	v_add_co_u32 v7, vcc_lo, s2, v5
	s_delay_alu instid0(VALU_DEP_3) | instskip(SKIP_3) | instid1(VALU_DEP_4)
	v_add_nc_u32_e32 v35, s5, v33
	v_ashrrev_i32_e32 v30, 31, v29
	v_add_co_ci_u32_e32 v8, vcc_lo, s3, v6, vcc_lo
	v_lshlrev_b64 v[5:6], 3, v[23:24]
	v_add_nc_u32_e32 v37, s5, v35
	v_add_co_u32 v19, vcc_lo, s2, v11
	v_ashrrev_i32_e32 v32, 31, v31
	s_clause 0x1
	global_load_b64 v[57:58], v[27:28], off
	global_load_b64 v[55:56], v[21:22], off
	v_add_nc_u32_e32 v39, s5, v37
	v_add_co_ci_u32_e32 v20, vcc_lo, s3, v12, vcc_lo
	v_lshlrev_b64 v[11:12], 3, v[29:30]
	v_ashrrev_i32_e32 v34, 31, v33
	s_delay_alu instid0(VALU_DEP_4) | instskip(SKIP_3) | instid1(VALU_DEP_4)
	v_add_nc_u32_e32 v41, s5, v39
	v_add_co_u32 v5, vcc_lo, s2, v5
	v_lshlrev_b64 v[23:24], 3, v[31:32]
	v_ashrrev_i32_e32 v36, 31, v35
	v_add_nc_u32_e32 v43, s5, v41
	v_add_co_ci_u32_e32 v6, vcc_lo, s3, v6, vcc_lo
	v_add_co_u32 v17, vcc_lo, s2, v11
	s_delay_alu instid0(VALU_DEP_3) | instskip(SKIP_3) | instid1(VALU_DEP_4)
	v_add_nc_u32_e32 v45, s5, v43
	v_lshlrev_b64 v[29:30], 3, v[33:34]
	v_ashrrev_i32_e32 v38, 31, v37
	v_add_co_ci_u32_e32 v18, vcc_lo, s3, v12, vcc_lo
	v_add_nc_u32_e32 v59, s5, v45
	v_add_co_u32 v11, vcc_lo, s2, v23
	v_lshlrev_b64 v[31:32], 3, v[35:36]
	v_ashrrev_i32_e32 v40, 31, v39
	s_delay_alu instid0(VALU_DEP_4)
	v_add_nc_u32_e32 v85, s5, v59
	s_clause 0x2
	global_load_b64 v[61:62], v[9:10], off
	global_load_b64 v[63:64], v[25:26], off
	;; [unrolled: 1-line block ×3, first 2 shown]
	v_add_co_ci_u32_e32 v12, vcc_lo, s3, v24, vcc_lo
	global_load_b64 v[67:68], v[19:20], off
	v_add_nc_u32_e32 v93, s5, v85
	v_add_co_u32 v23, vcc_lo, s2, v29
	v_lshlrev_b64 v[33:34], 3, v[37:38]
	v_add_co_ci_u32_e32 v24, vcc_lo, s3, v30, vcc_lo
	s_delay_alu instid0(VALU_DEP_4) | instskip(SKIP_3) | instid1(VALU_DEP_4)
	v_add_nc_u32_e32 v96, s5, v93
	v_add_co_u32 v29, vcc_lo, s2, v31
	v_lshlrev_b64 v[35:36], 3, v[39:40]
	v_ashrrev_i32_e32 v42, 31, v41
	v_add_nc_u32_e32 v104, s5, v96
	v_add_co_ci_u32_e32 v30, vcc_lo, s3, v32, vcc_lo
	v_add_co_u32 v31, vcc_lo, s2, v33
	s_delay_alu instid0(VALU_DEP_3) | instskip(SKIP_3) | instid1(VALU_DEP_4)
	v_add_nc_u32_e32 v106, s5, v104
	v_ashrrev_i32_e32 v44, 31, v43
	v_add_co_ci_u32_e32 v32, vcc_lo, s3, v34, vcc_lo
	v_lshlrev_b64 v[37:38], 3, v[41:42]
	v_add_nc_u32_e32 v108, s5, v106
	v_add_co_u32 v33, vcc_lo, s2, v35
	s_clause 0x2
	global_load_b64 v[69:70], v[5:6], off
	global_load_b64 v[71:72], v[17:18], off
	;; [unrolled: 1-line block ×3, first 2 shown]
	v_add_co_ci_u32_e32 v34, vcc_lo, s3, v36, vcc_lo
	v_add_nc_u32_e32 v110, s5, v108
	v_lshlrev_b64 v[35:36], 3, v[43:44]
	v_ashrrev_i32_e32 v46, 31, v45
	global_load_b64 v[75:76], v[23:24], off
	v_add_co_u32 v37, vcc_lo, s2, v37
	v_add_nc_u32_e32 v112, s5, v110
	v_ashrrev_i32_e32 v60, 31, v59
	v_add_co_ci_u32_e32 v38, vcc_lo, s3, v38, vcc_lo
	v_lshlrev_b64 v[41:42], 3, v[45:46]
	s_delay_alu instid0(VALU_DEP_4) | instskip(SKIP_2) | instid1(VALU_DEP_3)
	v_add_nc_u32_e32 v114, s5, v112
	v_add_co_u32 v39, vcc_lo, s2, v35
	v_add_co_ci_u32_e32 v40, vcc_lo, s3, v36, vcc_lo
	v_add_nc_u32_e32 v116, s5, v114
	v_lshlrev_b64 v[35:36], 3, v[59:60]
	v_ashrrev_i32_e32 v86, 31, v85
	v_add_co_u32 v41, vcc_lo, s2, v41
	s_delay_alu instid0(VALU_DEP_4)
	v_add_nc_u32_e32 v118, s5, v116
	s_clause 0x3
	global_load_b64 v[77:78], v[29:30], off
	global_load_b64 v[79:80], v[31:32], off
	;; [unrolled: 1-line block ×4, first 2 shown]
	v_add_co_ci_u32_e32 v42, vcc_lo, s3, v42, vcc_lo
	v_add_nc_u32_e32 v120, s5, v118
	v_lshlrev_b64 v[45:46], 3, v[85:86]
	v_ashrrev_i32_e32 v94, 31, v93
	v_ashrrev_i32_e32 v97, 31, v96
	v_ashrrev_i32_e32 v105, 31, v104
	v_add_nc_u32_e32 v122, s5, v120
	v_ashrrev_i32_e32 v107, 31, v106
	v_ashrrev_i32_e32 v109, 31, v108
	v_ashrrev_i32_e32 v111, 31, v110
	v_ashrrev_i32_e32 v113, 31, v112
	v_add_nc_u32_e32 v124, s5, v122
	v_ashrrev_i32_e32 v115, 31, v114
	;; [unrolled: 5-line block ×3, first 2 shown]
	v_ashrrev_i32_e32 v125, 31, v124
	s_delay_alu instid0(VALU_DEP_3) | instskip(SKIP_1) | instid1(VALU_DEP_2)
	v_add_nc_u32_e32 v128, s5, v126
	v_ashrrev_i32_e32 v127, 31, v126
	v_add_nc_u32_e32 v130, s5, v128
	v_ashrrev_i32_e32 v129, 31, v128
	s_delay_alu instid0(VALU_DEP_2) | instskip(SKIP_1) | instid1(VALU_DEP_2)
	v_add_nc_u32_e32 v132, s5, v130
	v_ashrrev_i32_e32 v131, 31, v130
	v_add_nc_u32_e32 v134, s5, v132
	v_ashrrev_i32_e32 v133, 31, v132
	s_delay_alu instid0(VALU_DEP_2) | instskip(SKIP_1) | instid1(VALU_DEP_2)
	;; [unrolled: 5-line block ×4, first 2 shown]
	v_add_nc_u32_e32 v144, s5, v142
	v_ashrrev_i32_e32 v143, 31, v142
	v_add_nc_u32_e32 v43, s5, v144
	v_ashrrev_i32_e32 v145, 31, v144
	s_delay_alu instid0(VALU_DEP_2) | instskip(NEXT) | instid1(VALU_DEP_1)
	v_ashrrev_i32_e32 v44, 31, v43
	v_lshlrev_b64 v[59:60], 3, v[43:44]
	v_add_co_u32 v43, vcc_lo, s2, v35
	v_add_co_ci_u32_e32 v44, vcc_lo, s3, v36, vcc_lo
	s_delay_alu instid0(VALU_DEP_3) | instskip(NEXT) | instid1(VALU_DEP_4)
	v_add_co_u32 v35, vcc_lo, s2, v59
	v_add_co_ci_u32_e32 v36, vcc_lo, s3, v60, vcc_lo
	v_add_co_u32 v45, vcc_lo, s2, v45
	v_add_co_ci_u32_e32 v46, vcc_lo, s3, v46, vcc_lo
	global_load_b64 v[98:99], v[35:36], off
	v_lshlrev_b64 v[59:60], 3, v[108:109]
	s_waitcnt vmcnt(17)
	scratch_store_b128 off, v[47:50], off
	v_lshlrev_b64 v[47:48], 3, v[93:94]
	s_clause 0x3
	global_load_b64 v[85:86], v[39:40], off
	global_load_b64 v[87:88], v[41:42], off
	;; [unrolled: 1-line block ×4, first 2 shown]
	v_lshlrev_b64 v[49:50], 3, v[96:97]
	v_lshlrev_b64 v[93:94], 3, v[114:115]
	;; [unrolled: 1-line block ×3, first 2 shown]
	v_add_co_u32 v47, vcc_lo, s2, v47
	v_add_co_ci_u32_e32 v48, vcc_lo, s3, v48, vcc_lo
	v_add_co_u32 v49, vcc_lo, s2, v49
	v_add_co_ci_u32_e32 v50, vcc_lo, s3, v50, vcc_lo
	s_waitcnt vmcnt(19)
	scratch_store_b128 off, v[51:54], off offset:16
	s_clause 0x1
	global_load_b64 v[100:101], v[47:48], off
	global_load_b64 v[102:103], v[49:50], off
	v_lshlrev_b64 v[51:52], 3, v[104:105]
	v_lshlrev_b64 v[53:54], 3, v[106:107]
	s_delay_alu instid0(VALU_DEP_2) | instskip(NEXT) | instid1(VALU_DEP_3)
	v_add_co_u32 v51, vcc_lo, s2, v51
	v_add_co_ci_u32_e32 v52, vcc_lo, s3, v52, vcc_lo
	s_delay_alu instid0(VALU_DEP_3) | instskip(NEXT) | instid1(VALU_DEP_4)
	v_add_co_u32 v53, vcc_lo, s2, v53
	v_add_co_ci_u32_e32 v54, vcc_lo, s3, v54, vcc_lo
	global_load_b64 v[104:105], v[51:52], off
	s_waitcnt vmcnt(20)
	scratch_store_b128 off, v[55:58], off offset:32
	v_lshlrev_b64 v[57:58], 3, v[110:111]
	v_add_co_u32 v55, vcc_lo, s2, v59
	v_add_co_ci_u32_e32 v56, vcc_lo, s3, v60, vcc_lo
	v_lshlrev_b64 v[59:60], 3, v[112:113]
	s_delay_alu instid0(VALU_DEP_4)
	v_add_co_u32 v57, vcc_lo, s2, v57
	v_add_co_ci_u32_e32 v58, vcc_lo, s3, v58, vcc_lo
	s_waitcnt vmcnt(18)
	scratch_store_b128 off, v[61:64], off offset:48
	s_waitcnt vmcnt(16)
	scratch_store_b128 off, v[65:68], off offset:64
	v_add_co_u32 v59, vcc_lo, s2, v59
	v_add_co_ci_u32_e32 v60, vcc_lo, s3, v60, vcc_lo
	v_add_co_u32 v61, vcc_lo, s2, v93
	v_lshlrev_b64 v[65:66], 3, v[118:119]
	v_add_co_ci_u32_e32 v62, vcc_lo, s3, v94, vcc_lo
	v_add_co_u32 v63, vcc_lo, s2, v96
	v_lshlrev_b64 v[67:68], 3, v[120:121]
	;; [unrolled: 3-line block ×4, first 2 shown]
	v_add_co_ci_u32_e32 v68, vcc_lo, s3, v68, vcc_lo
	s_clause 0x3
	global_load_b64 v[106:107], v[53:54], off
	global_load_b64 v[108:109], v[55:56], off
	;; [unrolled: 1-line block ×4, first 2 shown]
	s_waitcnt vmcnt(18)
	scratch_store_b128 off, v[69:72], off offset:80
	s_waitcnt vmcnt(16)
	scratch_store_b128 off, v[73:76], off offset:96
	v_add_co_u32 v69, vcc_lo, s2, v93
	v_lshlrev_b64 v[73:74], 3, v[126:127]
	v_add_co_ci_u32_e32 v70, vcc_lo, s3, v94, vcc_lo
	v_add_co_u32 v71, vcc_lo, s2, v96
	v_lshlrev_b64 v[75:76], 3, v[128:129]
	v_add_co_ci_u32_e32 v72, vcc_lo, s3, v97, vcc_lo
	v_add_co_u32 v73, vcc_lo, s2, v73
	v_lshlrev_b64 v[93:94], 3, v[130:131]
	v_add_co_ci_u32_e32 v74, vcc_lo, s3, v74, vcc_lo
	v_add_co_u32 v75, vcc_lo, s2, v75
	v_lshlrev_b64 v[96:97], 3, v[132:133]
	v_add_co_ci_u32_e32 v76, vcc_lo, s3, v76, vcc_lo
	s_clause 0x3
	global_load_b64 v[114:115], v[61:62], off
	global_load_b64 v[116:117], v[63:64], off
	;; [unrolled: 1-line block ×4, first 2 shown]
	s_waitcnt vmcnt(18)
	scratch_store_b128 off, v[77:80], off offset:112
	s_waitcnt vmcnt(16)
	scratch_store_b128 off, v[81:84], off offset:128
	v_add_co_u32 v77, vcc_lo, s2, v93
	v_lshlrev_b64 v[81:82], 3, v[134:135]
	v_add_co_ci_u32_e32 v78, vcc_lo, s3, v94, vcc_lo
	v_add_co_u32 v79, vcc_lo, s2, v96
	v_lshlrev_b64 v[83:84], 3, v[136:137]
	v_add_co_ci_u32_e32 v80, vcc_lo, s3, v97, vcc_lo
	;; [unrolled: 3-line block ×4, first 2 shown]
	s_clause 0x3
	global_load_b64 v[122:123], v[69:70], off
	global_load_b64 v[124:125], v[71:72], off
	;; [unrolled: 1-line block ×4, first 2 shown]
	s_waitcnt vmcnt(17)
	scratch_store_b128 off, v[85:88], off offset:144
	s_waitcnt vmcnt(15)
	scratch_store_b128 off, v[89:92], off offset:160
	v_add_co_u32 v85, vcc_lo, s2, v93
	v_lshlrev_b64 v[87:88], 3, v[142:143]
	v_add_co_ci_u32_e32 v86, vcc_lo, s3, v94, vcc_lo
	v_add_co_u32 v89, vcc_lo, s2, v96
	v_lshlrev_b64 v[93:94], 3, v[144:145]
	v_add_co_ci_u32_e32 v90, vcc_lo, s3, v97, vcc_lo
	v_add_co_u32 v91, vcc_lo, s2, v87
	v_add_co_ci_u32_e32 v92, vcc_lo, s3, v88, vcc_lo
	s_delay_alu instid0(VALU_DEP_4)
	v_add_co_u32 v87, vcc_lo, s2, v93
	v_add_co_ci_u32_e32 v88, vcc_lo, s3, v94, vcc_lo
	s_clause 0x3
	global_load_b64 v[130:131], v[77:78], off
	global_load_b64 v[132:133], v[79:80], off
	;; [unrolled: 1-line block ×4, first 2 shown]
	s_waitcnt vmcnt(17)
	scratch_store_b128 off, v[100:103], off offset:176
	s_clause 0x3
	global_load_b64 v[138:139], v[85:86], off
	global_load_b64 v[100:101], v[89:90], off
	global_load_b64 v[102:103], v[91:92], off
	global_load_b64 v[96:97], v[87:88], off
	v_mov_b32_e32 v93, 0
	v_mov_b32_e32 v94, 0xbff00000
	s_cselect_b32 s2, -1, 0
	s_cmpk_eq_i32 s1, 0x84
	s_waitcnt vmcnt(19)
	scratch_store_b128 off, v[104:107], off offset:192
	s_waitcnt vmcnt(17)
	scratch_store_b128 off, v[108:111], off offset:208
	;; [unrolled: 2-line block ×11, first 2 shown]
	s_cbranch_scc1 .LBB109_3
; %bb.2:
	scratch_load_b64 v[93:94], v95, off
	s_waitcnt vmcnt(0)
	v_div_scale_f64 v[96:97], null, v[93:94], v[93:94], 1.0
	v_div_scale_f64 v[102:103], vcc_lo, 1.0, v[93:94], 1.0
	s_delay_alu instid0(VALU_DEP_2) | instskip(SKIP_2) | instid1(VALU_DEP_1)
	v_rcp_f64_e32 v[98:99], v[96:97]
	s_waitcnt_depctr 0xfff
	v_fma_f64 v[100:101], -v[96:97], v[98:99], 1.0
	v_fma_f64 v[98:99], v[98:99], v[100:101], v[98:99]
	s_delay_alu instid0(VALU_DEP_1) | instskip(NEXT) | instid1(VALU_DEP_1)
	v_fma_f64 v[100:101], -v[96:97], v[98:99], 1.0
	v_fma_f64 v[98:99], v[98:99], v[100:101], v[98:99]
	s_delay_alu instid0(VALU_DEP_1) | instskip(NEXT) | instid1(VALU_DEP_1)
	v_mul_f64 v[100:101], v[102:103], v[98:99]
	v_fma_f64 v[96:97], -v[96:97], v[100:101], v[102:103]
	s_delay_alu instid0(VALU_DEP_1) | instskip(NEXT) | instid1(VALU_DEP_1)
	v_div_fmas_f64 v[96:97], v[96:97], v[98:99], v[100:101]
	v_div_fixup_f64 v[93:94], v[96:97], v[93:94], 1.0
	scratch_store_b64 v95, v[93:94], off
	v_xor_b32_e32 v94, 0x80000000, v94
.LBB109_3:
	v_add_nc_u32_e32 v96, 0x170, v95
	v_add_nc_u32_e32 v97, 0, v95
	s_cmpk_eq_i32 s0, 0x79
	s_mov_b32 s0, -1
	ds_store_b64 v95, v[93:94]
	s_cbranch_scc1 .LBB109_449
; %bb.4:
	scratch_load_b64 v[93:94], off, off offset:352
	v_cmp_eq_u32_e64 s0, 45, v0
	s_movk_i32 s1, 0x50
	s_movk_i32 s3, 0x60
	;; [unrolled: 1-line block ×17, first 2 shown]
	s_waitcnt vmcnt(0)
	ds_store_b64 v96, v[93:94]
	s_waitcnt lgkmcnt(0)
	s_waitcnt_vscnt null, 0x0
	s_barrier
	buffer_gl0_inv
	s_and_saveexec_b32 s19, s0
	s_cbranch_execz .LBB109_10
; %bb.5:
	s_and_b32 vcc_lo, exec_lo, s2
	s_cbranch_vccz .LBB109_7
; %bb.6:
	scratch_load_b64 v[93:94], v97, off
	ds_load_b64 v[98:99], v96
	s_waitcnt vmcnt(0) lgkmcnt(0)
	v_mul_f64 v[93:94], v[93:94], v[98:99]
	s_cbranch_execz .LBB109_8
	s_branch .LBB109_9
.LBB109_7:
                                        ; implicit-def: $vgpr93_vgpr94
.LBB109_8:
	ds_load_b64 v[93:94], v96
.LBB109_9:
	v_mov_b32_e32 v98, 0
	ds_load_b64 v[98:99], v98 offset:352
	s_waitcnt lgkmcnt(0)
	v_mul_f64 v[93:94], v[93:94], v[98:99]
	scratch_store_b64 off, v[93:94], off offset:352
.LBB109_10:
	s_or_b32 exec_lo, exec_lo, s19
	scratch_load_b64 v[93:94], off, off offset:344
	v_add_nc_u32_e64 v98, 0, 16
	v_add_nc_u32_e64 v99, 0, 32
	;; [unrolled: 1-line block ×21, first 2 shown]
	v_cmp_lt_u32_e64 s1, 43, v0
	s_waitcnt vmcnt(0)
	ds_store_b64 v96, v[93:94]
	s_waitcnt lgkmcnt(0)
	s_waitcnt_vscnt null, 0x0
	s_barrier
	buffer_gl0_inv
	s_and_saveexec_b32 s3, s1
	s_cbranch_execz .LBB109_18
; %bb.11:
	s_and_not1_b32 vcc_lo, exec_lo, s2
	s_cbranch_vccnz .LBB109_13
; %bb.12:
	scratch_load_b64 v[93:94], v97, off
	ds_load_b64 v[119:120], v96
	s_waitcnt vmcnt(0) lgkmcnt(0)
	v_mul_f64 v[93:94], v[93:94], v[119:120]
	s_cbranch_execz .LBB109_14
	s_branch .LBB109_15
.LBB109_13:
                                        ; implicit-def: $vgpr93_vgpr94
.LBB109_14:
	ds_load_b64 v[93:94], v96
.LBB109_15:
	s_and_saveexec_b32 s4, s0
	s_cbranch_execz .LBB109_17
; %bb.16:
	scratch_load_b64 v[119:120], off, off offset:352
	v_mov_b32_e32 v121, 0
	ds_load_b64 v[121:122], v121 offset:720
	s_waitcnt vmcnt(0) lgkmcnt(0)
	v_fma_f64 v[93:94], v[119:120], v[121:122], v[93:94]
.LBB109_17:
	s_or_b32 exec_lo, exec_lo, s4
	v_mov_b32_e32 v119, 0
	ds_load_b64 v[119:120], v119 offset:344
	s_waitcnt lgkmcnt(0)
	v_mul_f64 v[93:94], v[93:94], v[119:120]
	scratch_store_b64 off, v[93:94], off offset:344
.LBB109_18:
	s_or_b32 exec_lo, exec_lo, s3
	scratch_load_b64 v[93:94], off, off offset:336
	v_cmp_lt_u32_e64 s0, 42, v0
	s_waitcnt vmcnt(0)
	ds_store_b64 v96, v[93:94]
	s_waitcnt lgkmcnt(0)
	s_waitcnt_vscnt null, 0x0
	s_barrier
	buffer_gl0_inv
	s_and_saveexec_b32 s3, s0
	s_cbranch_execz .LBB109_28
; %bb.19:
	s_and_not1_b32 vcc_lo, exec_lo, s2
	s_cbranch_vccnz .LBB109_21
; %bb.20:
	scratch_load_b64 v[93:94], v97, off
	ds_load_b64 v[119:120], v96
	s_waitcnt vmcnt(0) lgkmcnt(0)
	v_mul_f64 v[93:94], v[93:94], v[119:120]
	s_cbranch_execz .LBB109_22
	s_branch .LBB109_23
.LBB109_21:
                                        ; implicit-def: $vgpr93_vgpr94
.LBB109_22:
	ds_load_b64 v[93:94], v96
.LBB109_23:
	s_and_saveexec_b32 s4, s1
	s_cbranch_execz .LBB109_27
; %bb.24:
	v_mov_b32_e32 v119, 0
	v_subrev_nc_u32_e32 v120, 43, v0
	s_movk_i32 s5, 0x2c8
	s_mov_b32 s1, 0
	s_delay_alu instid0(VALU_DEP_2)
	v_add_nc_u32_e32 v119, 0x158, v119
.LBB109_25:                             ; =>This Inner Loop Header: Depth=1
	scratch_load_b64 v[121:122], v119, off
	v_dual_mov_b32 v123, s5 :: v_dual_add_nc_u32 v120, -1, v120
	v_add_nc_u32_e32 v119, 8, v119
	s_add_i32 s5, s5, 8
	ds_load_b64 v[123:124], v123
	v_cmp_eq_u32_e32 vcc_lo, 0, v120
	s_or_b32 s1, vcc_lo, s1
	s_waitcnt vmcnt(0) lgkmcnt(0)
	v_fma_f64 v[93:94], v[121:122], v[123:124], v[93:94]
	s_and_not1_b32 exec_lo, exec_lo, s1
	s_cbranch_execnz .LBB109_25
; %bb.26:
	s_or_b32 exec_lo, exec_lo, s1
.LBB109_27:
	s_delay_alu instid0(SALU_CYCLE_1)
	s_or_b32 exec_lo, exec_lo, s4
	v_mov_b32_e32 v119, 0
	ds_load_b64 v[119:120], v119 offset:336
	s_waitcnt lgkmcnt(0)
	v_mul_f64 v[93:94], v[93:94], v[119:120]
	scratch_store_b64 off, v[93:94], off offset:336
.LBB109_28:
	s_or_b32 exec_lo, exec_lo, s3
	scratch_load_b64 v[93:94], off, off offset:328
	v_cmp_lt_u32_e64 s1, 41, v0
	s_waitcnt vmcnt(0)
	ds_store_b64 v96, v[93:94]
	s_waitcnt lgkmcnt(0)
	s_waitcnt_vscnt null, 0x0
	s_barrier
	buffer_gl0_inv
	s_and_saveexec_b32 s3, s1
	s_cbranch_execz .LBB109_38
; %bb.29:
	s_and_not1_b32 vcc_lo, exec_lo, s2
	s_cbranch_vccnz .LBB109_31
; %bb.30:
	scratch_load_b64 v[93:94], v97, off
	ds_load_b64 v[119:120], v96
	s_waitcnt vmcnt(0) lgkmcnt(0)
	v_mul_f64 v[93:94], v[93:94], v[119:120]
	s_cbranch_execz .LBB109_32
	s_branch .LBB109_33
.LBB109_31:
                                        ; implicit-def: $vgpr93_vgpr94
.LBB109_32:
	ds_load_b64 v[93:94], v96
.LBB109_33:
	s_and_saveexec_b32 s4, s0
	s_cbranch_execz .LBB109_37
; %bb.34:
	v_subrev_nc_u32_e32 v119, 42, v0
	s_movk_i32 s5, 0x2c0
	s_mov_b32 s0, 0
.LBB109_35:                             ; =>This Inner Loop Header: Depth=1
	scratch_load_b64 v[120:121], v118, off
	v_dual_mov_b32 v122, s5 :: v_dual_add_nc_u32 v119, -1, v119
	v_add_nc_u32_e32 v118, 8, v118
	s_add_i32 s5, s5, 8
	ds_load_b64 v[122:123], v122
	v_cmp_eq_u32_e32 vcc_lo, 0, v119
	s_or_b32 s0, vcc_lo, s0
	s_waitcnt vmcnt(0) lgkmcnt(0)
	v_fma_f64 v[93:94], v[120:121], v[122:123], v[93:94]
	s_and_not1_b32 exec_lo, exec_lo, s0
	s_cbranch_execnz .LBB109_35
; %bb.36:
	s_or_b32 exec_lo, exec_lo, s0
.LBB109_37:
	s_delay_alu instid0(SALU_CYCLE_1)
	s_or_b32 exec_lo, exec_lo, s4
	v_mov_b32_e32 v118, 0
	ds_load_b64 v[118:119], v118 offset:328
	s_waitcnt lgkmcnt(0)
	v_mul_f64 v[93:94], v[93:94], v[118:119]
	scratch_store_b64 off, v[93:94], off offset:328
.LBB109_38:
	s_or_b32 exec_lo, exec_lo, s3
	scratch_load_b64 v[93:94], off, off offset:320
	v_cmp_lt_u32_e64 s0, 40, v0
	s_waitcnt vmcnt(0)
	ds_store_b64 v96, v[93:94]
	s_waitcnt lgkmcnt(0)
	s_waitcnt_vscnt null, 0x0
	s_barrier
	buffer_gl0_inv
	s_and_saveexec_b32 s3, s0
	s_cbranch_execz .LBB109_48
; %bb.39:
	s_and_not1_b32 vcc_lo, exec_lo, s2
	s_cbranch_vccnz .LBB109_41
; %bb.40:
	scratch_load_b64 v[93:94], v97, off
	ds_load_b64 v[118:119], v96
	s_waitcnt vmcnt(0) lgkmcnt(0)
	v_mul_f64 v[93:94], v[93:94], v[118:119]
	s_cbranch_execz .LBB109_42
	s_branch .LBB109_43
.LBB109_41:
                                        ; implicit-def: $vgpr93_vgpr94
.LBB109_42:
	ds_load_b64 v[93:94], v96
.LBB109_43:
	s_and_saveexec_b32 s4, s1
	s_cbranch_execz .LBB109_47
; %bb.44:
	v_mov_b32_e32 v118, 0
	v_subrev_nc_u32_e32 v119, 41, v0
	s_movk_i32 s5, 0x2b8
	s_mov_b32 s1, 0
	s_delay_alu instid0(VALU_DEP_2)
	v_add_nc_u32_e32 v118, 0x148, v118
.LBB109_45:                             ; =>This Inner Loop Header: Depth=1
	scratch_load_b64 v[120:121], v118, off
	v_dual_mov_b32 v122, s5 :: v_dual_add_nc_u32 v119, -1, v119
	v_add_nc_u32_e32 v118, 8, v118
	s_add_i32 s5, s5, 8
	ds_load_b64 v[122:123], v122
	v_cmp_eq_u32_e32 vcc_lo, 0, v119
	s_or_b32 s1, vcc_lo, s1
	s_waitcnt vmcnt(0) lgkmcnt(0)
	v_fma_f64 v[93:94], v[120:121], v[122:123], v[93:94]
	s_and_not1_b32 exec_lo, exec_lo, s1
	s_cbranch_execnz .LBB109_45
; %bb.46:
	s_or_b32 exec_lo, exec_lo, s1
.LBB109_47:
	s_delay_alu instid0(SALU_CYCLE_1)
	s_or_b32 exec_lo, exec_lo, s4
	v_mov_b32_e32 v118, 0
	ds_load_b64 v[118:119], v118 offset:320
	s_waitcnt lgkmcnt(0)
	v_mul_f64 v[93:94], v[93:94], v[118:119]
	scratch_store_b64 off, v[93:94], off offset:320
.LBB109_48:
	s_or_b32 exec_lo, exec_lo, s3
	scratch_load_b64 v[93:94], off, off offset:312
	v_cmp_lt_u32_e64 s1, 39, v0
	s_waitcnt vmcnt(0)
	ds_store_b64 v96, v[93:94]
	s_waitcnt lgkmcnt(0)
	s_waitcnt_vscnt null, 0x0
	s_barrier
	buffer_gl0_inv
	s_and_saveexec_b32 s3, s1
	s_cbranch_execz .LBB109_58
; %bb.49:
	s_and_not1_b32 vcc_lo, exec_lo, s2
	s_cbranch_vccnz .LBB109_51
; %bb.50:
	scratch_load_b64 v[93:94], v97, off
	ds_load_b64 v[118:119], v96
	s_waitcnt vmcnt(0) lgkmcnt(0)
	v_mul_f64 v[93:94], v[93:94], v[118:119]
	s_cbranch_execz .LBB109_52
	s_branch .LBB109_53
.LBB109_51:
                                        ; implicit-def: $vgpr93_vgpr94
.LBB109_52:
	ds_load_b64 v[93:94], v96
.LBB109_53:
	s_and_saveexec_b32 s4, s0
	s_cbranch_execz .LBB109_57
; %bb.54:
	v_subrev_nc_u32_e32 v118, 40, v0
	s_movk_i32 s5, 0x2b0
	s_mov_b32 s0, 0
.LBB109_55:                             ; =>This Inner Loop Header: Depth=1
	scratch_load_b64 v[119:120], v117, off
	v_dual_mov_b32 v121, s5 :: v_dual_add_nc_u32 v118, -1, v118
	v_add_nc_u32_e32 v117, 8, v117
	s_add_i32 s5, s5, 8
	ds_load_b64 v[121:122], v121
	v_cmp_eq_u32_e32 vcc_lo, 0, v118
	s_or_b32 s0, vcc_lo, s0
	s_waitcnt vmcnt(0) lgkmcnt(0)
	v_fma_f64 v[93:94], v[119:120], v[121:122], v[93:94]
	s_and_not1_b32 exec_lo, exec_lo, s0
	s_cbranch_execnz .LBB109_55
; %bb.56:
	s_or_b32 exec_lo, exec_lo, s0
.LBB109_57:
	s_delay_alu instid0(SALU_CYCLE_1)
	s_or_b32 exec_lo, exec_lo, s4
	v_mov_b32_e32 v117, 0
	ds_load_b64 v[117:118], v117 offset:312
	s_waitcnt lgkmcnt(0)
	v_mul_f64 v[93:94], v[93:94], v[117:118]
	scratch_store_b64 off, v[93:94], off offset:312
.LBB109_58:
	s_or_b32 exec_lo, exec_lo, s3
	scratch_load_b64 v[93:94], off, off offset:304
	v_cmp_lt_u32_e64 s0, 38, v0
	s_waitcnt vmcnt(0)
	ds_store_b64 v96, v[93:94]
	s_waitcnt lgkmcnt(0)
	s_waitcnt_vscnt null, 0x0
	s_barrier
	buffer_gl0_inv
	s_and_saveexec_b32 s3, s0
	s_cbranch_execz .LBB109_68
; %bb.59:
	s_and_not1_b32 vcc_lo, exec_lo, s2
	s_cbranch_vccnz .LBB109_61
; %bb.60:
	scratch_load_b64 v[93:94], v97, off
	ds_load_b64 v[117:118], v96
	s_waitcnt vmcnt(0) lgkmcnt(0)
	v_mul_f64 v[93:94], v[93:94], v[117:118]
	s_cbranch_execz .LBB109_62
	s_branch .LBB109_63
.LBB109_61:
                                        ; implicit-def: $vgpr93_vgpr94
.LBB109_62:
	ds_load_b64 v[93:94], v96
.LBB109_63:
	s_and_saveexec_b32 s4, s1
	s_cbranch_execz .LBB109_67
; %bb.64:
	v_mov_b32_e32 v117, 0
	v_subrev_nc_u32_e32 v118, 39, v0
	s_movk_i32 s5, 0x2a8
	s_mov_b32 s1, 0
	s_delay_alu instid0(VALU_DEP_2)
	v_add_nc_u32_e32 v117, 0x138, v117
.LBB109_65:                             ; =>This Inner Loop Header: Depth=1
	scratch_load_b64 v[119:120], v117, off
	v_dual_mov_b32 v121, s5 :: v_dual_add_nc_u32 v118, -1, v118
	v_add_nc_u32_e32 v117, 8, v117
	s_add_i32 s5, s5, 8
	ds_load_b64 v[121:122], v121
	v_cmp_eq_u32_e32 vcc_lo, 0, v118
	s_or_b32 s1, vcc_lo, s1
	s_waitcnt vmcnt(0) lgkmcnt(0)
	v_fma_f64 v[93:94], v[119:120], v[121:122], v[93:94]
	s_and_not1_b32 exec_lo, exec_lo, s1
	s_cbranch_execnz .LBB109_65
; %bb.66:
	s_or_b32 exec_lo, exec_lo, s1
.LBB109_67:
	s_delay_alu instid0(SALU_CYCLE_1)
	s_or_b32 exec_lo, exec_lo, s4
	v_mov_b32_e32 v117, 0
	ds_load_b64 v[117:118], v117 offset:304
	s_waitcnt lgkmcnt(0)
	v_mul_f64 v[93:94], v[93:94], v[117:118]
	scratch_store_b64 off, v[93:94], off offset:304
.LBB109_68:
	s_or_b32 exec_lo, exec_lo, s3
	scratch_load_b64 v[93:94], off, off offset:296
	v_cmp_lt_u32_e64 s1, 37, v0
	s_waitcnt vmcnt(0)
	ds_store_b64 v96, v[93:94]
	s_waitcnt lgkmcnt(0)
	s_waitcnt_vscnt null, 0x0
	s_barrier
	buffer_gl0_inv
	s_and_saveexec_b32 s3, s1
	s_cbranch_execz .LBB109_78
; %bb.69:
	s_and_not1_b32 vcc_lo, exec_lo, s2
	s_cbranch_vccnz .LBB109_71
; %bb.70:
	scratch_load_b64 v[93:94], v97, off
	ds_load_b64 v[117:118], v96
	s_waitcnt vmcnt(0) lgkmcnt(0)
	v_mul_f64 v[93:94], v[93:94], v[117:118]
	s_cbranch_execz .LBB109_72
	s_branch .LBB109_73
.LBB109_71:
                                        ; implicit-def: $vgpr93_vgpr94
.LBB109_72:
	ds_load_b64 v[93:94], v96
.LBB109_73:
	s_and_saveexec_b32 s4, s0
	s_cbranch_execz .LBB109_77
; %bb.74:
	v_subrev_nc_u32_e32 v117, 38, v0
	s_movk_i32 s5, 0x2a0
	s_mov_b32 s0, 0
.LBB109_75:                             ; =>This Inner Loop Header: Depth=1
	scratch_load_b64 v[118:119], v116, off
	v_dual_mov_b32 v120, s5 :: v_dual_add_nc_u32 v117, -1, v117
	v_add_nc_u32_e32 v116, 8, v116
	s_add_i32 s5, s5, 8
	ds_load_b64 v[120:121], v120
	v_cmp_eq_u32_e32 vcc_lo, 0, v117
	s_or_b32 s0, vcc_lo, s0
	s_waitcnt vmcnt(0) lgkmcnt(0)
	v_fma_f64 v[93:94], v[118:119], v[120:121], v[93:94]
	s_and_not1_b32 exec_lo, exec_lo, s0
	s_cbranch_execnz .LBB109_75
; %bb.76:
	s_or_b32 exec_lo, exec_lo, s0
.LBB109_77:
	s_delay_alu instid0(SALU_CYCLE_1)
	s_or_b32 exec_lo, exec_lo, s4
	v_mov_b32_e32 v116, 0
	ds_load_b64 v[116:117], v116 offset:296
	s_waitcnt lgkmcnt(0)
	v_mul_f64 v[93:94], v[93:94], v[116:117]
	scratch_store_b64 off, v[93:94], off offset:296
.LBB109_78:
	s_or_b32 exec_lo, exec_lo, s3
	scratch_load_b64 v[93:94], off, off offset:288
	v_cmp_lt_u32_e64 s0, 36, v0
	s_waitcnt vmcnt(0)
	ds_store_b64 v96, v[93:94]
	s_waitcnt lgkmcnt(0)
	s_waitcnt_vscnt null, 0x0
	s_barrier
	buffer_gl0_inv
	s_and_saveexec_b32 s3, s0
	s_cbranch_execz .LBB109_88
; %bb.79:
	s_and_not1_b32 vcc_lo, exec_lo, s2
	s_cbranch_vccnz .LBB109_81
; %bb.80:
	scratch_load_b64 v[93:94], v97, off
	ds_load_b64 v[116:117], v96
	s_waitcnt vmcnt(0) lgkmcnt(0)
	v_mul_f64 v[93:94], v[93:94], v[116:117]
	s_cbranch_execz .LBB109_82
	s_branch .LBB109_83
.LBB109_81:
                                        ; implicit-def: $vgpr93_vgpr94
.LBB109_82:
	ds_load_b64 v[93:94], v96
.LBB109_83:
	s_and_saveexec_b32 s4, s1
	s_cbranch_execz .LBB109_87
; %bb.84:
	v_mov_b32_e32 v116, 0
	v_subrev_nc_u32_e32 v117, 37, v0
	s_movk_i32 s5, 0x298
	s_mov_b32 s1, 0
	s_delay_alu instid0(VALU_DEP_2)
	v_add_nc_u32_e32 v116, 0x128, v116
.LBB109_85:                             ; =>This Inner Loop Header: Depth=1
	scratch_load_b64 v[118:119], v116, off
	v_dual_mov_b32 v120, s5 :: v_dual_add_nc_u32 v117, -1, v117
	v_add_nc_u32_e32 v116, 8, v116
	s_add_i32 s5, s5, 8
	ds_load_b64 v[120:121], v120
	v_cmp_eq_u32_e32 vcc_lo, 0, v117
	s_or_b32 s1, vcc_lo, s1
	s_waitcnt vmcnt(0) lgkmcnt(0)
	v_fma_f64 v[93:94], v[118:119], v[120:121], v[93:94]
	s_and_not1_b32 exec_lo, exec_lo, s1
	s_cbranch_execnz .LBB109_85
; %bb.86:
	s_or_b32 exec_lo, exec_lo, s1
.LBB109_87:
	s_delay_alu instid0(SALU_CYCLE_1)
	s_or_b32 exec_lo, exec_lo, s4
	v_mov_b32_e32 v116, 0
	ds_load_b64 v[116:117], v116 offset:288
	s_waitcnt lgkmcnt(0)
	v_mul_f64 v[93:94], v[93:94], v[116:117]
	scratch_store_b64 off, v[93:94], off offset:288
.LBB109_88:
	s_or_b32 exec_lo, exec_lo, s3
	scratch_load_b64 v[93:94], off, off offset:280
	v_cmp_lt_u32_e64 s1, 35, v0
	s_waitcnt vmcnt(0)
	ds_store_b64 v96, v[93:94]
	s_waitcnt lgkmcnt(0)
	s_waitcnt_vscnt null, 0x0
	s_barrier
	buffer_gl0_inv
	s_and_saveexec_b32 s3, s1
	s_cbranch_execz .LBB109_98
; %bb.89:
	s_and_not1_b32 vcc_lo, exec_lo, s2
	s_cbranch_vccnz .LBB109_91
; %bb.90:
	scratch_load_b64 v[93:94], v97, off
	ds_load_b64 v[116:117], v96
	s_waitcnt vmcnt(0) lgkmcnt(0)
	v_mul_f64 v[93:94], v[93:94], v[116:117]
	s_cbranch_execz .LBB109_92
	s_branch .LBB109_93
.LBB109_91:
                                        ; implicit-def: $vgpr93_vgpr94
.LBB109_92:
	ds_load_b64 v[93:94], v96
.LBB109_93:
	s_and_saveexec_b32 s4, s0
	s_cbranch_execz .LBB109_97
; %bb.94:
	v_subrev_nc_u32_e32 v116, 36, v0
	s_movk_i32 s5, 0x290
	s_mov_b32 s0, 0
.LBB109_95:                             ; =>This Inner Loop Header: Depth=1
	scratch_load_b64 v[117:118], v115, off
	v_dual_mov_b32 v119, s5 :: v_dual_add_nc_u32 v116, -1, v116
	v_add_nc_u32_e32 v115, 8, v115
	s_add_i32 s5, s5, 8
	ds_load_b64 v[119:120], v119
	v_cmp_eq_u32_e32 vcc_lo, 0, v116
	s_or_b32 s0, vcc_lo, s0
	s_waitcnt vmcnt(0) lgkmcnt(0)
	v_fma_f64 v[93:94], v[117:118], v[119:120], v[93:94]
	s_and_not1_b32 exec_lo, exec_lo, s0
	s_cbranch_execnz .LBB109_95
; %bb.96:
	s_or_b32 exec_lo, exec_lo, s0
.LBB109_97:
	s_delay_alu instid0(SALU_CYCLE_1)
	s_or_b32 exec_lo, exec_lo, s4
	v_mov_b32_e32 v115, 0
	ds_load_b64 v[115:116], v115 offset:280
	s_waitcnt lgkmcnt(0)
	v_mul_f64 v[93:94], v[93:94], v[115:116]
	scratch_store_b64 off, v[93:94], off offset:280
.LBB109_98:
	s_or_b32 exec_lo, exec_lo, s3
	scratch_load_b64 v[93:94], off, off offset:272
	v_cmp_lt_u32_e64 s0, 34, v0
	s_waitcnt vmcnt(0)
	ds_store_b64 v96, v[93:94]
	s_waitcnt lgkmcnt(0)
	s_waitcnt_vscnt null, 0x0
	s_barrier
	buffer_gl0_inv
	s_and_saveexec_b32 s3, s0
	s_cbranch_execz .LBB109_108
; %bb.99:
	s_and_not1_b32 vcc_lo, exec_lo, s2
	s_cbranch_vccnz .LBB109_101
; %bb.100:
	scratch_load_b64 v[93:94], v97, off
	ds_load_b64 v[115:116], v96
	s_waitcnt vmcnt(0) lgkmcnt(0)
	v_mul_f64 v[93:94], v[93:94], v[115:116]
	s_cbranch_execz .LBB109_102
	s_branch .LBB109_103
.LBB109_101:
                                        ; implicit-def: $vgpr93_vgpr94
.LBB109_102:
	ds_load_b64 v[93:94], v96
.LBB109_103:
	s_and_saveexec_b32 s4, s1
	s_cbranch_execz .LBB109_107
; %bb.104:
	v_mov_b32_e32 v115, 0
	v_subrev_nc_u32_e32 v116, 35, v0
	s_movk_i32 s5, 0x288
	s_mov_b32 s1, 0
	s_delay_alu instid0(VALU_DEP_2)
	v_add_nc_u32_e32 v115, 0x118, v115
.LBB109_105:                            ; =>This Inner Loop Header: Depth=1
	scratch_load_b64 v[117:118], v115, off
	v_dual_mov_b32 v119, s5 :: v_dual_add_nc_u32 v116, -1, v116
	v_add_nc_u32_e32 v115, 8, v115
	s_add_i32 s5, s5, 8
	ds_load_b64 v[119:120], v119
	v_cmp_eq_u32_e32 vcc_lo, 0, v116
	s_or_b32 s1, vcc_lo, s1
	s_waitcnt vmcnt(0) lgkmcnt(0)
	v_fma_f64 v[93:94], v[117:118], v[119:120], v[93:94]
	s_and_not1_b32 exec_lo, exec_lo, s1
	s_cbranch_execnz .LBB109_105
; %bb.106:
	s_or_b32 exec_lo, exec_lo, s1
.LBB109_107:
	s_delay_alu instid0(SALU_CYCLE_1)
	s_or_b32 exec_lo, exec_lo, s4
	v_mov_b32_e32 v115, 0
	ds_load_b64 v[115:116], v115 offset:272
	s_waitcnt lgkmcnt(0)
	v_mul_f64 v[93:94], v[93:94], v[115:116]
	scratch_store_b64 off, v[93:94], off offset:272
.LBB109_108:
	s_or_b32 exec_lo, exec_lo, s3
	scratch_load_b64 v[93:94], off, off offset:264
	v_cmp_lt_u32_e64 s1, 33, v0
	s_waitcnt vmcnt(0)
	ds_store_b64 v96, v[93:94]
	s_waitcnt lgkmcnt(0)
	s_waitcnt_vscnt null, 0x0
	s_barrier
	buffer_gl0_inv
	s_and_saveexec_b32 s3, s1
	s_cbranch_execz .LBB109_118
; %bb.109:
	s_and_not1_b32 vcc_lo, exec_lo, s2
	s_cbranch_vccnz .LBB109_111
; %bb.110:
	scratch_load_b64 v[93:94], v97, off
	ds_load_b64 v[115:116], v96
	s_waitcnt vmcnt(0) lgkmcnt(0)
	v_mul_f64 v[93:94], v[93:94], v[115:116]
	s_cbranch_execz .LBB109_112
	s_branch .LBB109_113
.LBB109_111:
                                        ; implicit-def: $vgpr93_vgpr94
.LBB109_112:
	ds_load_b64 v[93:94], v96
.LBB109_113:
	s_and_saveexec_b32 s4, s0
	s_cbranch_execz .LBB109_117
; %bb.114:
	v_subrev_nc_u32_e32 v115, 34, v0
	s_movk_i32 s5, 0x280
	s_mov_b32 s0, 0
.LBB109_115:                            ; =>This Inner Loop Header: Depth=1
	scratch_load_b64 v[116:117], v114, off
	v_dual_mov_b32 v118, s5 :: v_dual_add_nc_u32 v115, -1, v115
	v_add_nc_u32_e32 v114, 8, v114
	s_add_i32 s5, s5, 8
	ds_load_b64 v[118:119], v118
	v_cmp_eq_u32_e32 vcc_lo, 0, v115
	s_or_b32 s0, vcc_lo, s0
	s_waitcnt vmcnt(0) lgkmcnt(0)
	v_fma_f64 v[93:94], v[116:117], v[118:119], v[93:94]
	s_and_not1_b32 exec_lo, exec_lo, s0
	s_cbranch_execnz .LBB109_115
; %bb.116:
	s_or_b32 exec_lo, exec_lo, s0
.LBB109_117:
	s_delay_alu instid0(SALU_CYCLE_1)
	s_or_b32 exec_lo, exec_lo, s4
	v_mov_b32_e32 v114, 0
	ds_load_b64 v[114:115], v114 offset:264
	s_waitcnt lgkmcnt(0)
	v_mul_f64 v[93:94], v[93:94], v[114:115]
	scratch_store_b64 off, v[93:94], off offset:264
.LBB109_118:
	s_or_b32 exec_lo, exec_lo, s3
	scratch_load_b64 v[93:94], off, off offset:256
	v_cmp_lt_u32_e64 s0, 32, v0
	s_waitcnt vmcnt(0)
	ds_store_b64 v96, v[93:94]
	s_waitcnt lgkmcnt(0)
	s_waitcnt_vscnt null, 0x0
	s_barrier
	buffer_gl0_inv
	s_and_saveexec_b32 s3, s0
	s_cbranch_execz .LBB109_128
; %bb.119:
	s_and_not1_b32 vcc_lo, exec_lo, s2
	s_cbranch_vccnz .LBB109_121
; %bb.120:
	scratch_load_b64 v[93:94], v97, off
	ds_load_b64 v[114:115], v96
	s_waitcnt vmcnt(0) lgkmcnt(0)
	v_mul_f64 v[93:94], v[93:94], v[114:115]
	s_cbranch_execz .LBB109_122
	s_branch .LBB109_123
.LBB109_121:
                                        ; implicit-def: $vgpr93_vgpr94
.LBB109_122:
	ds_load_b64 v[93:94], v96
.LBB109_123:
	s_and_saveexec_b32 s4, s1
	s_cbranch_execz .LBB109_127
; %bb.124:
	v_mov_b32_e32 v114, 0
	v_subrev_nc_u32_e32 v115, 33, v0
	s_movk_i32 s5, 0x278
	s_mov_b32 s1, 0
	s_delay_alu instid0(VALU_DEP_2)
	v_add_nc_u32_e32 v114, 0x108, v114
.LBB109_125:                            ; =>This Inner Loop Header: Depth=1
	scratch_load_b64 v[116:117], v114, off
	v_dual_mov_b32 v118, s5 :: v_dual_add_nc_u32 v115, -1, v115
	v_add_nc_u32_e32 v114, 8, v114
	s_add_i32 s5, s5, 8
	ds_load_b64 v[118:119], v118
	v_cmp_eq_u32_e32 vcc_lo, 0, v115
	s_or_b32 s1, vcc_lo, s1
	s_waitcnt vmcnt(0) lgkmcnt(0)
	v_fma_f64 v[93:94], v[116:117], v[118:119], v[93:94]
	s_and_not1_b32 exec_lo, exec_lo, s1
	s_cbranch_execnz .LBB109_125
; %bb.126:
	s_or_b32 exec_lo, exec_lo, s1
.LBB109_127:
	s_delay_alu instid0(SALU_CYCLE_1)
	s_or_b32 exec_lo, exec_lo, s4
	v_mov_b32_e32 v114, 0
	ds_load_b64 v[114:115], v114 offset:256
	s_waitcnt lgkmcnt(0)
	v_mul_f64 v[93:94], v[93:94], v[114:115]
	scratch_store_b64 off, v[93:94], off offset:256
.LBB109_128:
	s_or_b32 exec_lo, exec_lo, s3
	scratch_load_b64 v[93:94], off, off offset:248
	v_cmp_lt_u32_e64 s1, 31, v0
	s_waitcnt vmcnt(0)
	ds_store_b64 v96, v[93:94]
	s_waitcnt lgkmcnt(0)
	s_waitcnt_vscnt null, 0x0
	s_barrier
	buffer_gl0_inv
	s_and_saveexec_b32 s3, s1
	s_cbranch_execz .LBB109_138
; %bb.129:
	s_and_not1_b32 vcc_lo, exec_lo, s2
	s_cbranch_vccnz .LBB109_131
; %bb.130:
	scratch_load_b64 v[93:94], v97, off
	ds_load_b64 v[114:115], v96
	s_waitcnt vmcnt(0) lgkmcnt(0)
	v_mul_f64 v[93:94], v[93:94], v[114:115]
	s_cbranch_execz .LBB109_132
	s_branch .LBB109_133
.LBB109_131:
                                        ; implicit-def: $vgpr93_vgpr94
.LBB109_132:
	ds_load_b64 v[93:94], v96
.LBB109_133:
	s_and_saveexec_b32 s4, s0
	s_cbranch_execz .LBB109_137
; %bb.134:
	v_subrev_nc_u32_e32 v114, 32, v0
	s_movk_i32 s5, 0x270
	s_mov_b32 s0, 0
.LBB109_135:                            ; =>This Inner Loop Header: Depth=1
	scratch_load_b64 v[115:116], v113, off
	v_dual_mov_b32 v117, s5 :: v_dual_add_nc_u32 v114, -1, v114
	v_add_nc_u32_e32 v113, 8, v113
	s_add_i32 s5, s5, 8
	ds_load_b64 v[117:118], v117
	v_cmp_eq_u32_e32 vcc_lo, 0, v114
	s_or_b32 s0, vcc_lo, s0
	s_waitcnt vmcnt(0) lgkmcnt(0)
	v_fma_f64 v[93:94], v[115:116], v[117:118], v[93:94]
	s_and_not1_b32 exec_lo, exec_lo, s0
	s_cbranch_execnz .LBB109_135
; %bb.136:
	s_or_b32 exec_lo, exec_lo, s0
.LBB109_137:
	s_delay_alu instid0(SALU_CYCLE_1)
	s_or_b32 exec_lo, exec_lo, s4
	v_mov_b32_e32 v113, 0
	ds_load_b64 v[113:114], v113 offset:248
	s_waitcnt lgkmcnt(0)
	v_mul_f64 v[93:94], v[93:94], v[113:114]
	scratch_store_b64 off, v[93:94], off offset:248
.LBB109_138:
	s_or_b32 exec_lo, exec_lo, s3
	scratch_load_b64 v[93:94], off, off offset:240
	v_cmp_lt_u32_e64 s0, 30, v0
	s_waitcnt vmcnt(0)
	ds_store_b64 v96, v[93:94]
	s_waitcnt lgkmcnt(0)
	s_waitcnt_vscnt null, 0x0
	s_barrier
	buffer_gl0_inv
	s_and_saveexec_b32 s3, s0
	s_cbranch_execz .LBB109_148
; %bb.139:
	s_and_not1_b32 vcc_lo, exec_lo, s2
	s_cbranch_vccnz .LBB109_141
; %bb.140:
	scratch_load_b64 v[93:94], v97, off
	ds_load_b64 v[113:114], v96
	s_waitcnt vmcnt(0) lgkmcnt(0)
	v_mul_f64 v[93:94], v[93:94], v[113:114]
	s_cbranch_execz .LBB109_142
	s_branch .LBB109_143
.LBB109_141:
                                        ; implicit-def: $vgpr93_vgpr94
.LBB109_142:
	ds_load_b64 v[93:94], v96
.LBB109_143:
	s_and_saveexec_b32 s4, s1
	s_cbranch_execz .LBB109_147
; %bb.144:
	v_mov_b32_e32 v113, 0
	v_subrev_nc_u32_e32 v114, 31, v0
	s_movk_i32 s5, 0x268
	s_mov_b32 s1, 0
	s_delay_alu instid0(VALU_DEP_2)
	v_add_nc_u32_e32 v113, 0xf8, v113
.LBB109_145:                            ; =>This Inner Loop Header: Depth=1
	scratch_load_b64 v[115:116], v113, off
	v_dual_mov_b32 v117, s5 :: v_dual_add_nc_u32 v114, -1, v114
	v_add_nc_u32_e32 v113, 8, v113
	s_add_i32 s5, s5, 8
	ds_load_b64 v[117:118], v117
	v_cmp_eq_u32_e32 vcc_lo, 0, v114
	s_or_b32 s1, vcc_lo, s1
	s_waitcnt vmcnt(0) lgkmcnt(0)
	v_fma_f64 v[93:94], v[115:116], v[117:118], v[93:94]
	s_and_not1_b32 exec_lo, exec_lo, s1
	s_cbranch_execnz .LBB109_145
; %bb.146:
	s_or_b32 exec_lo, exec_lo, s1
.LBB109_147:
	s_delay_alu instid0(SALU_CYCLE_1)
	s_or_b32 exec_lo, exec_lo, s4
	v_mov_b32_e32 v113, 0
	ds_load_b64 v[113:114], v113 offset:240
	s_waitcnt lgkmcnt(0)
	v_mul_f64 v[93:94], v[93:94], v[113:114]
	scratch_store_b64 off, v[93:94], off offset:240
.LBB109_148:
	s_or_b32 exec_lo, exec_lo, s3
	scratch_load_b64 v[93:94], off, off offset:232
	v_cmp_lt_u32_e64 s1, 29, v0
	s_waitcnt vmcnt(0)
	ds_store_b64 v96, v[93:94]
	s_waitcnt lgkmcnt(0)
	s_waitcnt_vscnt null, 0x0
	s_barrier
	buffer_gl0_inv
	s_and_saveexec_b32 s3, s1
	s_cbranch_execz .LBB109_158
; %bb.149:
	s_and_not1_b32 vcc_lo, exec_lo, s2
	s_cbranch_vccnz .LBB109_151
; %bb.150:
	scratch_load_b64 v[93:94], v97, off
	ds_load_b64 v[113:114], v96
	s_waitcnt vmcnt(0) lgkmcnt(0)
	v_mul_f64 v[93:94], v[93:94], v[113:114]
	s_cbranch_execz .LBB109_152
	s_branch .LBB109_153
.LBB109_151:
                                        ; implicit-def: $vgpr93_vgpr94
.LBB109_152:
	ds_load_b64 v[93:94], v96
.LBB109_153:
	s_and_saveexec_b32 s4, s0
	s_cbranch_execz .LBB109_157
; %bb.154:
	v_subrev_nc_u32_e32 v113, 30, v0
	s_movk_i32 s5, 0x260
	s_mov_b32 s0, 0
.LBB109_155:                            ; =>This Inner Loop Header: Depth=1
	scratch_load_b64 v[114:115], v112, off
	v_dual_mov_b32 v116, s5 :: v_dual_add_nc_u32 v113, -1, v113
	v_add_nc_u32_e32 v112, 8, v112
	s_add_i32 s5, s5, 8
	ds_load_b64 v[116:117], v116
	v_cmp_eq_u32_e32 vcc_lo, 0, v113
	s_or_b32 s0, vcc_lo, s0
	s_waitcnt vmcnt(0) lgkmcnt(0)
	v_fma_f64 v[93:94], v[114:115], v[116:117], v[93:94]
	s_and_not1_b32 exec_lo, exec_lo, s0
	s_cbranch_execnz .LBB109_155
; %bb.156:
	s_or_b32 exec_lo, exec_lo, s0
.LBB109_157:
	s_delay_alu instid0(SALU_CYCLE_1)
	s_or_b32 exec_lo, exec_lo, s4
	v_mov_b32_e32 v112, 0
	ds_load_b64 v[112:113], v112 offset:232
	s_waitcnt lgkmcnt(0)
	v_mul_f64 v[93:94], v[93:94], v[112:113]
	scratch_store_b64 off, v[93:94], off offset:232
.LBB109_158:
	s_or_b32 exec_lo, exec_lo, s3
	scratch_load_b64 v[93:94], off, off offset:224
	v_cmp_lt_u32_e64 s0, 28, v0
	s_waitcnt vmcnt(0)
	ds_store_b64 v96, v[93:94]
	s_waitcnt lgkmcnt(0)
	s_waitcnt_vscnt null, 0x0
	s_barrier
	buffer_gl0_inv
	s_and_saveexec_b32 s3, s0
	s_cbranch_execz .LBB109_168
; %bb.159:
	s_and_not1_b32 vcc_lo, exec_lo, s2
	s_cbranch_vccnz .LBB109_161
; %bb.160:
	scratch_load_b64 v[93:94], v97, off
	ds_load_b64 v[112:113], v96
	s_waitcnt vmcnt(0) lgkmcnt(0)
	v_mul_f64 v[93:94], v[93:94], v[112:113]
	s_cbranch_execz .LBB109_162
	s_branch .LBB109_163
.LBB109_161:
                                        ; implicit-def: $vgpr93_vgpr94
.LBB109_162:
	ds_load_b64 v[93:94], v96
.LBB109_163:
	s_and_saveexec_b32 s4, s1
	s_cbranch_execz .LBB109_167
; %bb.164:
	v_mov_b32_e32 v112, 0
	v_subrev_nc_u32_e32 v113, 29, v0
	s_movk_i32 s5, 0x258
	s_mov_b32 s1, 0
	s_delay_alu instid0(VALU_DEP_2)
	v_add_nc_u32_e32 v112, 0xe8, v112
.LBB109_165:                            ; =>This Inner Loop Header: Depth=1
	scratch_load_b64 v[114:115], v112, off
	v_dual_mov_b32 v116, s5 :: v_dual_add_nc_u32 v113, -1, v113
	v_add_nc_u32_e32 v112, 8, v112
	s_add_i32 s5, s5, 8
	ds_load_b64 v[116:117], v116
	v_cmp_eq_u32_e32 vcc_lo, 0, v113
	s_or_b32 s1, vcc_lo, s1
	s_waitcnt vmcnt(0) lgkmcnt(0)
	v_fma_f64 v[93:94], v[114:115], v[116:117], v[93:94]
	s_and_not1_b32 exec_lo, exec_lo, s1
	s_cbranch_execnz .LBB109_165
; %bb.166:
	s_or_b32 exec_lo, exec_lo, s1
.LBB109_167:
	s_delay_alu instid0(SALU_CYCLE_1)
	s_or_b32 exec_lo, exec_lo, s4
	v_mov_b32_e32 v112, 0
	ds_load_b64 v[112:113], v112 offset:224
	s_waitcnt lgkmcnt(0)
	v_mul_f64 v[93:94], v[93:94], v[112:113]
	scratch_store_b64 off, v[93:94], off offset:224
.LBB109_168:
	s_or_b32 exec_lo, exec_lo, s3
	scratch_load_b64 v[93:94], off, off offset:216
	v_cmp_lt_u32_e64 s1, 27, v0
	s_waitcnt vmcnt(0)
	ds_store_b64 v96, v[93:94]
	s_waitcnt lgkmcnt(0)
	s_waitcnt_vscnt null, 0x0
	s_barrier
	buffer_gl0_inv
	s_and_saveexec_b32 s3, s1
	s_cbranch_execz .LBB109_178
; %bb.169:
	s_and_not1_b32 vcc_lo, exec_lo, s2
	s_cbranch_vccnz .LBB109_171
; %bb.170:
	scratch_load_b64 v[93:94], v97, off
	ds_load_b64 v[112:113], v96
	s_waitcnt vmcnt(0) lgkmcnt(0)
	v_mul_f64 v[93:94], v[93:94], v[112:113]
	s_cbranch_execz .LBB109_172
	s_branch .LBB109_173
.LBB109_171:
                                        ; implicit-def: $vgpr93_vgpr94
.LBB109_172:
	ds_load_b64 v[93:94], v96
.LBB109_173:
	s_and_saveexec_b32 s4, s0
	s_cbranch_execz .LBB109_177
; %bb.174:
	v_subrev_nc_u32_e32 v112, 28, v0
	s_movk_i32 s5, 0x250
	s_mov_b32 s0, 0
.LBB109_175:                            ; =>This Inner Loop Header: Depth=1
	scratch_load_b64 v[113:114], v111, off
	v_dual_mov_b32 v115, s5 :: v_dual_add_nc_u32 v112, -1, v112
	v_add_nc_u32_e32 v111, 8, v111
	s_add_i32 s5, s5, 8
	ds_load_b64 v[115:116], v115
	v_cmp_eq_u32_e32 vcc_lo, 0, v112
	s_or_b32 s0, vcc_lo, s0
	s_waitcnt vmcnt(0) lgkmcnt(0)
	v_fma_f64 v[93:94], v[113:114], v[115:116], v[93:94]
	s_and_not1_b32 exec_lo, exec_lo, s0
	s_cbranch_execnz .LBB109_175
; %bb.176:
	s_or_b32 exec_lo, exec_lo, s0
.LBB109_177:
	s_delay_alu instid0(SALU_CYCLE_1)
	s_or_b32 exec_lo, exec_lo, s4
	v_mov_b32_e32 v111, 0
	ds_load_b64 v[111:112], v111 offset:216
	s_waitcnt lgkmcnt(0)
	v_mul_f64 v[93:94], v[93:94], v[111:112]
	scratch_store_b64 off, v[93:94], off offset:216
.LBB109_178:
	s_or_b32 exec_lo, exec_lo, s3
	scratch_load_b64 v[93:94], off, off offset:208
	v_cmp_lt_u32_e64 s0, 26, v0
	s_waitcnt vmcnt(0)
	ds_store_b64 v96, v[93:94]
	s_waitcnt lgkmcnt(0)
	s_waitcnt_vscnt null, 0x0
	s_barrier
	buffer_gl0_inv
	s_and_saveexec_b32 s3, s0
	s_cbranch_execz .LBB109_188
; %bb.179:
	s_and_not1_b32 vcc_lo, exec_lo, s2
	s_cbranch_vccnz .LBB109_181
; %bb.180:
	scratch_load_b64 v[93:94], v97, off
	ds_load_b64 v[111:112], v96
	s_waitcnt vmcnt(0) lgkmcnt(0)
	v_mul_f64 v[93:94], v[93:94], v[111:112]
	s_cbranch_execz .LBB109_182
	s_branch .LBB109_183
.LBB109_181:
                                        ; implicit-def: $vgpr93_vgpr94
.LBB109_182:
	ds_load_b64 v[93:94], v96
.LBB109_183:
	s_and_saveexec_b32 s4, s1
	s_cbranch_execz .LBB109_187
; %bb.184:
	v_mov_b32_e32 v111, 0
	v_subrev_nc_u32_e32 v112, 27, v0
	s_movk_i32 s5, 0x248
	s_mov_b32 s1, 0
	s_delay_alu instid0(VALU_DEP_2)
	v_add_nc_u32_e32 v111, 0xd8, v111
.LBB109_185:                            ; =>This Inner Loop Header: Depth=1
	scratch_load_b64 v[113:114], v111, off
	v_dual_mov_b32 v115, s5 :: v_dual_add_nc_u32 v112, -1, v112
	v_add_nc_u32_e32 v111, 8, v111
	s_add_i32 s5, s5, 8
	ds_load_b64 v[115:116], v115
	v_cmp_eq_u32_e32 vcc_lo, 0, v112
	s_or_b32 s1, vcc_lo, s1
	s_waitcnt vmcnt(0) lgkmcnt(0)
	v_fma_f64 v[93:94], v[113:114], v[115:116], v[93:94]
	s_and_not1_b32 exec_lo, exec_lo, s1
	s_cbranch_execnz .LBB109_185
; %bb.186:
	s_or_b32 exec_lo, exec_lo, s1
.LBB109_187:
	s_delay_alu instid0(SALU_CYCLE_1)
	s_or_b32 exec_lo, exec_lo, s4
	v_mov_b32_e32 v111, 0
	ds_load_b64 v[111:112], v111 offset:208
	s_waitcnt lgkmcnt(0)
	v_mul_f64 v[93:94], v[93:94], v[111:112]
	scratch_store_b64 off, v[93:94], off offset:208
.LBB109_188:
	s_or_b32 exec_lo, exec_lo, s3
	scratch_load_b64 v[93:94], off, off offset:200
	v_cmp_lt_u32_e64 s1, 25, v0
	s_waitcnt vmcnt(0)
	ds_store_b64 v96, v[93:94]
	s_waitcnt lgkmcnt(0)
	s_waitcnt_vscnt null, 0x0
	s_barrier
	buffer_gl0_inv
	s_and_saveexec_b32 s3, s1
	s_cbranch_execz .LBB109_198
; %bb.189:
	s_and_not1_b32 vcc_lo, exec_lo, s2
	s_cbranch_vccnz .LBB109_191
; %bb.190:
	scratch_load_b64 v[93:94], v97, off
	ds_load_b64 v[111:112], v96
	s_waitcnt vmcnt(0) lgkmcnt(0)
	v_mul_f64 v[93:94], v[93:94], v[111:112]
	s_cbranch_execz .LBB109_192
	s_branch .LBB109_193
.LBB109_191:
                                        ; implicit-def: $vgpr93_vgpr94
.LBB109_192:
	ds_load_b64 v[93:94], v96
.LBB109_193:
	s_and_saveexec_b32 s4, s0
	s_cbranch_execz .LBB109_197
; %bb.194:
	v_subrev_nc_u32_e32 v111, 26, v0
	s_movk_i32 s5, 0x240
	s_mov_b32 s0, 0
.LBB109_195:                            ; =>This Inner Loop Header: Depth=1
	scratch_load_b64 v[112:113], v110, off
	v_dual_mov_b32 v114, s5 :: v_dual_add_nc_u32 v111, -1, v111
	v_add_nc_u32_e32 v110, 8, v110
	s_add_i32 s5, s5, 8
	ds_load_b64 v[114:115], v114
	v_cmp_eq_u32_e32 vcc_lo, 0, v111
	s_or_b32 s0, vcc_lo, s0
	s_waitcnt vmcnt(0) lgkmcnt(0)
	v_fma_f64 v[93:94], v[112:113], v[114:115], v[93:94]
	s_and_not1_b32 exec_lo, exec_lo, s0
	s_cbranch_execnz .LBB109_195
; %bb.196:
	s_or_b32 exec_lo, exec_lo, s0
.LBB109_197:
	s_delay_alu instid0(SALU_CYCLE_1)
	s_or_b32 exec_lo, exec_lo, s4
	v_mov_b32_e32 v110, 0
	ds_load_b64 v[110:111], v110 offset:200
	s_waitcnt lgkmcnt(0)
	v_mul_f64 v[93:94], v[93:94], v[110:111]
	scratch_store_b64 off, v[93:94], off offset:200
.LBB109_198:
	s_or_b32 exec_lo, exec_lo, s3
	scratch_load_b64 v[93:94], off, off offset:192
	v_cmp_lt_u32_e64 s0, 24, v0
	s_waitcnt vmcnt(0)
	ds_store_b64 v96, v[93:94]
	s_waitcnt lgkmcnt(0)
	s_waitcnt_vscnt null, 0x0
	s_barrier
	buffer_gl0_inv
	s_and_saveexec_b32 s3, s0
	s_cbranch_execz .LBB109_208
; %bb.199:
	s_and_not1_b32 vcc_lo, exec_lo, s2
	s_cbranch_vccnz .LBB109_201
; %bb.200:
	scratch_load_b64 v[93:94], v97, off
	ds_load_b64 v[110:111], v96
	s_waitcnt vmcnt(0) lgkmcnt(0)
	v_mul_f64 v[93:94], v[93:94], v[110:111]
	s_cbranch_execz .LBB109_202
	s_branch .LBB109_203
.LBB109_201:
                                        ; implicit-def: $vgpr93_vgpr94
.LBB109_202:
	ds_load_b64 v[93:94], v96
.LBB109_203:
	s_and_saveexec_b32 s4, s1
	s_cbranch_execz .LBB109_207
; %bb.204:
	v_mov_b32_e32 v110, 0
	v_subrev_nc_u32_e32 v111, 25, v0
	s_movk_i32 s5, 0x238
	s_mov_b32 s1, 0
	s_delay_alu instid0(VALU_DEP_2)
	v_add_nc_u32_e32 v110, 0xc8, v110
.LBB109_205:                            ; =>This Inner Loop Header: Depth=1
	scratch_load_b64 v[112:113], v110, off
	v_dual_mov_b32 v114, s5 :: v_dual_add_nc_u32 v111, -1, v111
	v_add_nc_u32_e32 v110, 8, v110
	s_add_i32 s5, s5, 8
	ds_load_b64 v[114:115], v114
	v_cmp_eq_u32_e32 vcc_lo, 0, v111
	s_or_b32 s1, vcc_lo, s1
	s_waitcnt vmcnt(0) lgkmcnt(0)
	v_fma_f64 v[93:94], v[112:113], v[114:115], v[93:94]
	s_and_not1_b32 exec_lo, exec_lo, s1
	s_cbranch_execnz .LBB109_205
; %bb.206:
	s_or_b32 exec_lo, exec_lo, s1
.LBB109_207:
	s_delay_alu instid0(SALU_CYCLE_1)
	s_or_b32 exec_lo, exec_lo, s4
	v_mov_b32_e32 v110, 0
	ds_load_b64 v[110:111], v110 offset:192
	s_waitcnt lgkmcnt(0)
	v_mul_f64 v[93:94], v[93:94], v[110:111]
	scratch_store_b64 off, v[93:94], off offset:192
.LBB109_208:
	s_or_b32 exec_lo, exec_lo, s3
	scratch_load_b64 v[93:94], off, off offset:184
	v_cmp_lt_u32_e64 s1, 23, v0
	s_waitcnt vmcnt(0)
	ds_store_b64 v96, v[93:94]
	s_waitcnt lgkmcnt(0)
	s_waitcnt_vscnt null, 0x0
	s_barrier
	buffer_gl0_inv
	s_and_saveexec_b32 s3, s1
	s_cbranch_execz .LBB109_218
; %bb.209:
	s_and_not1_b32 vcc_lo, exec_lo, s2
	s_cbranch_vccnz .LBB109_211
; %bb.210:
	scratch_load_b64 v[93:94], v97, off
	ds_load_b64 v[110:111], v96
	s_waitcnt vmcnt(0) lgkmcnt(0)
	v_mul_f64 v[93:94], v[93:94], v[110:111]
	s_cbranch_execz .LBB109_212
	s_branch .LBB109_213
.LBB109_211:
                                        ; implicit-def: $vgpr93_vgpr94
.LBB109_212:
	ds_load_b64 v[93:94], v96
.LBB109_213:
	s_and_saveexec_b32 s4, s0
	s_cbranch_execz .LBB109_217
; %bb.214:
	v_subrev_nc_u32_e32 v110, 24, v0
	s_movk_i32 s5, 0x230
	s_mov_b32 s0, 0
.LBB109_215:                            ; =>This Inner Loop Header: Depth=1
	scratch_load_b64 v[111:112], v109, off
	v_dual_mov_b32 v113, s5 :: v_dual_add_nc_u32 v110, -1, v110
	v_add_nc_u32_e32 v109, 8, v109
	s_add_i32 s5, s5, 8
	ds_load_b64 v[113:114], v113
	v_cmp_eq_u32_e32 vcc_lo, 0, v110
	s_or_b32 s0, vcc_lo, s0
	s_waitcnt vmcnt(0) lgkmcnt(0)
	v_fma_f64 v[93:94], v[111:112], v[113:114], v[93:94]
	s_and_not1_b32 exec_lo, exec_lo, s0
	s_cbranch_execnz .LBB109_215
; %bb.216:
	s_or_b32 exec_lo, exec_lo, s0
.LBB109_217:
	s_delay_alu instid0(SALU_CYCLE_1)
	s_or_b32 exec_lo, exec_lo, s4
	v_mov_b32_e32 v109, 0
	ds_load_b64 v[109:110], v109 offset:184
	s_waitcnt lgkmcnt(0)
	v_mul_f64 v[93:94], v[93:94], v[109:110]
	scratch_store_b64 off, v[93:94], off offset:184
.LBB109_218:
	s_or_b32 exec_lo, exec_lo, s3
	scratch_load_b64 v[93:94], off, off offset:176
	v_cmp_lt_u32_e64 s0, 22, v0
	s_waitcnt vmcnt(0)
	ds_store_b64 v96, v[93:94]
	s_waitcnt lgkmcnt(0)
	s_waitcnt_vscnt null, 0x0
	s_barrier
	buffer_gl0_inv
	s_and_saveexec_b32 s3, s0
	s_cbranch_execz .LBB109_228
; %bb.219:
	s_and_not1_b32 vcc_lo, exec_lo, s2
	s_cbranch_vccnz .LBB109_221
; %bb.220:
	scratch_load_b64 v[93:94], v97, off
	ds_load_b64 v[109:110], v96
	s_waitcnt vmcnt(0) lgkmcnt(0)
	v_mul_f64 v[93:94], v[93:94], v[109:110]
	s_cbranch_execz .LBB109_222
	s_branch .LBB109_223
.LBB109_221:
                                        ; implicit-def: $vgpr93_vgpr94
.LBB109_222:
	ds_load_b64 v[93:94], v96
.LBB109_223:
	s_and_saveexec_b32 s4, s1
	s_cbranch_execz .LBB109_227
; %bb.224:
	v_mov_b32_e32 v109, 0
	v_subrev_nc_u32_e32 v110, 23, v0
	s_movk_i32 s5, 0x228
	s_mov_b32 s1, 0
	s_delay_alu instid0(VALU_DEP_2)
	v_add_nc_u32_e32 v109, 0xb8, v109
.LBB109_225:                            ; =>This Inner Loop Header: Depth=1
	scratch_load_b64 v[111:112], v109, off
	v_dual_mov_b32 v113, s5 :: v_dual_add_nc_u32 v110, -1, v110
	v_add_nc_u32_e32 v109, 8, v109
	s_add_i32 s5, s5, 8
	ds_load_b64 v[113:114], v113
	v_cmp_eq_u32_e32 vcc_lo, 0, v110
	s_or_b32 s1, vcc_lo, s1
	s_waitcnt vmcnt(0) lgkmcnt(0)
	v_fma_f64 v[93:94], v[111:112], v[113:114], v[93:94]
	s_and_not1_b32 exec_lo, exec_lo, s1
	s_cbranch_execnz .LBB109_225
; %bb.226:
	s_or_b32 exec_lo, exec_lo, s1
.LBB109_227:
	s_delay_alu instid0(SALU_CYCLE_1)
	s_or_b32 exec_lo, exec_lo, s4
	v_mov_b32_e32 v109, 0
	ds_load_b64 v[109:110], v109 offset:176
	s_waitcnt lgkmcnt(0)
	v_mul_f64 v[93:94], v[93:94], v[109:110]
	scratch_store_b64 off, v[93:94], off offset:176
.LBB109_228:
	s_or_b32 exec_lo, exec_lo, s3
	scratch_load_b64 v[93:94], off, off offset:168
	v_cmp_lt_u32_e64 s1, 21, v0
	s_waitcnt vmcnt(0)
	ds_store_b64 v96, v[93:94]
	s_waitcnt lgkmcnt(0)
	s_waitcnt_vscnt null, 0x0
	s_barrier
	buffer_gl0_inv
	s_and_saveexec_b32 s3, s1
	s_cbranch_execz .LBB109_238
; %bb.229:
	s_and_not1_b32 vcc_lo, exec_lo, s2
	s_cbranch_vccnz .LBB109_231
; %bb.230:
	scratch_load_b64 v[93:94], v97, off
	ds_load_b64 v[109:110], v96
	s_waitcnt vmcnt(0) lgkmcnt(0)
	v_mul_f64 v[93:94], v[93:94], v[109:110]
	s_cbranch_execz .LBB109_232
	s_branch .LBB109_233
.LBB109_231:
                                        ; implicit-def: $vgpr93_vgpr94
.LBB109_232:
	ds_load_b64 v[93:94], v96
.LBB109_233:
	s_and_saveexec_b32 s4, s0
	s_cbranch_execz .LBB109_237
; %bb.234:
	v_subrev_nc_u32_e32 v109, 22, v0
	s_movk_i32 s5, 0x220
	s_mov_b32 s0, 0
.LBB109_235:                            ; =>This Inner Loop Header: Depth=1
	scratch_load_b64 v[110:111], v108, off
	v_dual_mov_b32 v112, s5 :: v_dual_add_nc_u32 v109, -1, v109
	v_add_nc_u32_e32 v108, 8, v108
	s_add_i32 s5, s5, 8
	ds_load_b64 v[112:113], v112
	v_cmp_eq_u32_e32 vcc_lo, 0, v109
	s_or_b32 s0, vcc_lo, s0
	s_waitcnt vmcnt(0) lgkmcnt(0)
	v_fma_f64 v[93:94], v[110:111], v[112:113], v[93:94]
	s_and_not1_b32 exec_lo, exec_lo, s0
	s_cbranch_execnz .LBB109_235
; %bb.236:
	s_or_b32 exec_lo, exec_lo, s0
.LBB109_237:
	s_delay_alu instid0(SALU_CYCLE_1)
	s_or_b32 exec_lo, exec_lo, s4
	v_mov_b32_e32 v108, 0
	ds_load_b64 v[108:109], v108 offset:168
	s_waitcnt lgkmcnt(0)
	v_mul_f64 v[93:94], v[93:94], v[108:109]
	scratch_store_b64 off, v[93:94], off offset:168
.LBB109_238:
	s_or_b32 exec_lo, exec_lo, s3
	scratch_load_b64 v[93:94], off, off offset:160
	v_cmp_lt_u32_e64 s0, 20, v0
	s_waitcnt vmcnt(0)
	ds_store_b64 v96, v[93:94]
	s_waitcnt lgkmcnt(0)
	s_waitcnt_vscnt null, 0x0
	s_barrier
	buffer_gl0_inv
	s_and_saveexec_b32 s3, s0
	s_cbranch_execz .LBB109_248
; %bb.239:
	s_and_not1_b32 vcc_lo, exec_lo, s2
	s_cbranch_vccnz .LBB109_241
; %bb.240:
	scratch_load_b64 v[93:94], v97, off
	ds_load_b64 v[108:109], v96
	s_waitcnt vmcnt(0) lgkmcnt(0)
	v_mul_f64 v[93:94], v[93:94], v[108:109]
	s_cbranch_execz .LBB109_242
	s_branch .LBB109_243
.LBB109_241:
                                        ; implicit-def: $vgpr93_vgpr94
.LBB109_242:
	ds_load_b64 v[93:94], v96
.LBB109_243:
	s_and_saveexec_b32 s4, s1
	s_cbranch_execz .LBB109_247
; %bb.244:
	v_mov_b32_e32 v108, 0
	v_subrev_nc_u32_e32 v109, 21, v0
	s_movk_i32 s5, 0x218
	s_mov_b32 s1, 0
	s_delay_alu instid0(VALU_DEP_2)
	v_add_nc_u32_e32 v108, 0xa8, v108
.LBB109_245:                            ; =>This Inner Loop Header: Depth=1
	scratch_load_b64 v[110:111], v108, off
	v_dual_mov_b32 v112, s5 :: v_dual_add_nc_u32 v109, -1, v109
	v_add_nc_u32_e32 v108, 8, v108
	s_add_i32 s5, s5, 8
	ds_load_b64 v[112:113], v112
	v_cmp_eq_u32_e32 vcc_lo, 0, v109
	s_or_b32 s1, vcc_lo, s1
	s_waitcnt vmcnt(0) lgkmcnt(0)
	v_fma_f64 v[93:94], v[110:111], v[112:113], v[93:94]
	s_and_not1_b32 exec_lo, exec_lo, s1
	s_cbranch_execnz .LBB109_245
; %bb.246:
	s_or_b32 exec_lo, exec_lo, s1
.LBB109_247:
	s_delay_alu instid0(SALU_CYCLE_1)
	s_or_b32 exec_lo, exec_lo, s4
	v_mov_b32_e32 v108, 0
	ds_load_b64 v[108:109], v108 offset:160
	s_waitcnt lgkmcnt(0)
	v_mul_f64 v[93:94], v[93:94], v[108:109]
	scratch_store_b64 off, v[93:94], off offset:160
.LBB109_248:
	s_or_b32 exec_lo, exec_lo, s3
	scratch_load_b64 v[93:94], off, off offset:152
	v_cmp_lt_u32_e64 s1, 19, v0
	s_waitcnt vmcnt(0)
	ds_store_b64 v96, v[93:94]
	s_waitcnt lgkmcnt(0)
	s_waitcnt_vscnt null, 0x0
	s_barrier
	buffer_gl0_inv
	s_and_saveexec_b32 s3, s1
	s_cbranch_execz .LBB109_258
; %bb.249:
	s_and_not1_b32 vcc_lo, exec_lo, s2
	s_cbranch_vccnz .LBB109_251
; %bb.250:
	scratch_load_b64 v[93:94], v97, off
	ds_load_b64 v[108:109], v96
	s_waitcnt vmcnt(0) lgkmcnt(0)
	v_mul_f64 v[93:94], v[93:94], v[108:109]
	s_cbranch_execz .LBB109_252
	s_branch .LBB109_253
.LBB109_251:
                                        ; implicit-def: $vgpr93_vgpr94
.LBB109_252:
	ds_load_b64 v[93:94], v96
.LBB109_253:
	s_and_saveexec_b32 s4, s0
	s_cbranch_execz .LBB109_257
; %bb.254:
	v_subrev_nc_u32_e32 v108, 20, v0
	s_movk_i32 s5, 0x210
	s_mov_b32 s0, 0
.LBB109_255:                            ; =>This Inner Loop Header: Depth=1
	scratch_load_b64 v[109:110], v107, off
	v_dual_mov_b32 v111, s5 :: v_dual_add_nc_u32 v108, -1, v108
	v_add_nc_u32_e32 v107, 8, v107
	s_add_i32 s5, s5, 8
	ds_load_b64 v[111:112], v111
	v_cmp_eq_u32_e32 vcc_lo, 0, v108
	s_or_b32 s0, vcc_lo, s0
	s_waitcnt vmcnt(0) lgkmcnt(0)
	v_fma_f64 v[93:94], v[109:110], v[111:112], v[93:94]
	s_and_not1_b32 exec_lo, exec_lo, s0
	s_cbranch_execnz .LBB109_255
; %bb.256:
	s_or_b32 exec_lo, exec_lo, s0
.LBB109_257:
	s_delay_alu instid0(SALU_CYCLE_1)
	s_or_b32 exec_lo, exec_lo, s4
	v_mov_b32_e32 v107, 0
	ds_load_b64 v[107:108], v107 offset:152
	s_waitcnt lgkmcnt(0)
	v_mul_f64 v[93:94], v[93:94], v[107:108]
	scratch_store_b64 off, v[93:94], off offset:152
.LBB109_258:
	s_or_b32 exec_lo, exec_lo, s3
	scratch_load_b64 v[93:94], off, off offset:144
	v_cmp_lt_u32_e64 s0, 18, v0
	s_waitcnt vmcnt(0)
	ds_store_b64 v96, v[93:94]
	s_waitcnt lgkmcnt(0)
	s_waitcnt_vscnt null, 0x0
	s_barrier
	buffer_gl0_inv
	s_and_saveexec_b32 s3, s0
	s_cbranch_execz .LBB109_268
; %bb.259:
	s_and_not1_b32 vcc_lo, exec_lo, s2
	s_cbranch_vccnz .LBB109_261
; %bb.260:
	scratch_load_b64 v[93:94], v97, off
	ds_load_b64 v[107:108], v96
	s_waitcnt vmcnt(0) lgkmcnt(0)
	v_mul_f64 v[93:94], v[93:94], v[107:108]
	s_cbranch_execz .LBB109_262
	s_branch .LBB109_263
.LBB109_261:
                                        ; implicit-def: $vgpr93_vgpr94
.LBB109_262:
	ds_load_b64 v[93:94], v96
.LBB109_263:
	s_and_saveexec_b32 s4, s1
	s_cbranch_execz .LBB109_267
; %bb.264:
	v_mov_b32_e32 v107, 0
	v_subrev_nc_u32_e32 v108, 19, v0
	s_movk_i32 s5, 0x208
	s_mov_b32 s1, 0
	s_delay_alu instid0(VALU_DEP_2)
	v_add_nc_u32_e32 v107, 0x98, v107
.LBB109_265:                            ; =>This Inner Loop Header: Depth=1
	scratch_load_b64 v[109:110], v107, off
	v_dual_mov_b32 v111, s5 :: v_dual_add_nc_u32 v108, -1, v108
	v_add_nc_u32_e32 v107, 8, v107
	s_add_i32 s5, s5, 8
	ds_load_b64 v[111:112], v111
	v_cmp_eq_u32_e32 vcc_lo, 0, v108
	s_or_b32 s1, vcc_lo, s1
	s_waitcnt vmcnt(0) lgkmcnt(0)
	v_fma_f64 v[93:94], v[109:110], v[111:112], v[93:94]
	s_and_not1_b32 exec_lo, exec_lo, s1
	s_cbranch_execnz .LBB109_265
; %bb.266:
	s_or_b32 exec_lo, exec_lo, s1
.LBB109_267:
	s_delay_alu instid0(SALU_CYCLE_1)
	s_or_b32 exec_lo, exec_lo, s4
	v_mov_b32_e32 v107, 0
	ds_load_b64 v[107:108], v107 offset:144
	s_waitcnt lgkmcnt(0)
	v_mul_f64 v[93:94], v[93:94], v[107:108]
	scratch_store_b64 off, v[93:94], off offset:144
.LBB109_268:
	s_or_b32 exec_lo, exec_lo, s3
	scratch_load_b64 v[93:94], off, off offset:136
	v_cmp_lt_u32_e64 s1, 17, v0
	s_waitcnt vmcnt(0)
	ds_store_b64 v96, v[93:94]
	s_waitcnt lgkmcnt(0)
	s_waitcnt_vscnt null, 0x0
	s_barrier
	buffer_gl0_inv
	s_and_saveexec_b32 s3, s1
	s_cbranch_execz .LBB109_278
; %bb.269:
	s_and_not1_b32 vcc_lo, exec_lo, s2
	s_cbranch_vccnz .LBB109_271
; %bb.270:
	scratch_load_b64 v[93:94], v97, off
	ds_load_b64 v[107:108], v96
	s_waitcnt vmcnt(0) lgkmcnt(0)
	v_mul_f64 v[93:94], v[93:94], v[107:108]
	s_cbranch_execz .LBB109_272
	s_branch .LBB109_273
.LBB109_271:
                                        ; implicit-def: $vgpr93_vgpr94
.LBB109_272:
	ds_load_b64 v[93:94], v96
.LBB109_273:
	s_and_saveexec_b32 s4, s0
	s_cbranch_execz .LBB109_277
; %bb.274:
	v_subrev_nc_u32_e32 v107, 18, v0
	s_movk_i32 s5, 0x200
	s_mov_b32 s0, 0
.LBB109_275:                            ; =>This Inner Loop Header: Depth=1
	scratch_load_b64 v[108:109], v106, off
	v_dual_mov_b32 v110, s5 :: v_dual_add_nc_u32 v107, -1, v107
	v_add_nc_u32_e32 v106, 8, v106
	s_add_i32 s5, s5, 8
	ds_load_b64 v[110:111], v110
	v_cmp_eq_u32_e32 vcc_lo, 0, v107
	s_or_b32 s0, vcc_lo, s0
	s_waitcnt vmcnt(0) lgkmcnt(0)
	v_fma_f64 v[93:94], v[108:109], v[110:111], v[93:94]
	s_and_not1_b32 exec_lo, exec_lo, s0
	s_cbranch_execnz .LBB109_275
; %bb.276:
	s_or_b32 exec_lo, exec_lo, s0
.LBB109_277:
	s_delay_alu instid0(SALU_CYCLE_1)
	s_or_b32 exec_lo, exec_lo, s4
	v_mov_b32_e32 v106, 0
	ds_load_b64 v[106:107], v106 offset:136
	s_waitcnt lgkmcnt(0)
	v_mul_f64 v[93:94], v[93:94], v[106:107]
	scratch_store_b64 off, v[93:94], off offset:136
.LBB109_278:
	s_or_b32 exec_lo, exec_lo, s3
	scratch_load_b64 v[93:94], off, off offset:128
	v_cmp_lt_u32_e64 s0, 16, v0
	s_waitcnt vmcnt(0)
	ds_store_b64 v96, v[93:94]
	s_waitcnt lgkmcnt(0)
	s_waitcnt_vscnt null, 0x0
	s_barrier
	buffer_gl0_inv
	s_and_saveexec_b32 s3, s0
	s_cbranch_execz .LBB109_288
; %bb.279:
	s_and_not1_b32 vcc_lo, exec_lo, s2
	s_cbranch_vccnz .LBB109_281
; %bb.280:
	scratch_load_b64 v[93:94], v97, off
	ds_load_b64 v[106:107], v96
	s_waitcnt vmcnt(0) lgkmcnt(0)
	v_mul_f64 v[93:94], v[93:94], v[106:107]
	s_cbranch_execz .LBB109_282
	s_branch .LBB109_283
.LBB109_281:
                                        ; implicit-def: $vgpr93_vgpr94
.LBB109_282:
	ds_load_b64 v[93:94], v96
.LBB109_283:
	s_and_saveexec_b32 s4, s1
	s_cbranch_execz .LBB109_287
; %bb.284:
	v_mov_b32_e32 v106, 0
	v_subrev_nc_u32_e32 v107, 17, v0
	s_movk_i32 s5, 0x1f8
	s_mov_b32 s1, 0
	s_delay_alu instid0(VALU_DEP_2)
	v_add_nc_u32_e32 v106, 0x88, v106
.LBB109_285:                            ; =>This Inner Loop Header: Depth=1
	scratch_load_b64 v[108:109], v106, off
	v_dual_mov_b32 v110, s5 :: v_dual_add_nc_u32 v107, -1, v107
	v_add_nc_u32_e32 v106, 8, v106
	s_add_i32 s5, s5, 8
	ds_load_b64 v[110:111], v110
	v_cmp_eq_u32_e32 vcc_lo, 0, v107
	s_or_b32 s1, vcc_lo, s1
	s_waitcnt vmcnt(0) lgkmcnt(0)
	v_fma_f64 v[93:94], v[108:109], v[110:111], v[93:94]
	s_and_not1_b32 exec_lo, exec_lo, s1
	s_cbranch_execnz .LBB109_285
; %bb.286:
	s_or_b32 exec_lo, exec_lo, s1
.LBB109_287:
	s_delay_alu instid0(SALU_CYCLE_1)
	s_or_b32 exec_lo, exec_lo, s4
	v_mov_b32_e32 v106, 0
	ds_load_b64 v[106:107], v106 offset:128
	s_waitcnt lgkmcnt(0)
	v_mul_f64 v[93:94], v[93:94], v[106:107]
	scratch_store_b64 off, v[93:94], off offset:128
.LBB109_288:
	s_or_b32 exec_lo, exec_lo, s3
	scratch_load_b64 v[93:94], off, off offset:120
	v_cmp_lt_u32_e64 s1, 15, v0
	s_waitcnt vmcnt(0)
	ds_store_b64 v96, v[93:94]
	s_waitcnt lgkmcnt(0)
	s_waitcnt_vscnt null, 0x0
	s_barrier
	buffer_gl0_inv
	s_and_saveexec_b32 s3, s1
	s_cbranch_execz .LBB109_298
; %bb.289:
	s_and_not1_b32 vcc_lo, exec_lo, s2
	s_cbranch_vccnz .LBB109_291
; %bb.290:
	scratch_load_b64 v[93:94], v97, off
	ds_load_b64 v[106:107], v96
	s_waitcnt vmcnt(0) lgkmcnt(0)
	v_mul_f64 v[93:94], v[93:94], v[106:107]
	s_cbranch_execz .LBB109_292
	s_branch .LBB109_293
.LBB109_291:
                                        ; implicit-def: $vgpr93_vgpr94
.LBB109_292:
	ds_load_b64 v[93:94], v96
.LBB109_293:
	s_and_saveexec_b32 s4, s0
	s_cbranch_execz .LBB109_297
; %bb.294:
	v_add_nc_u32_e32 v106, -16, v0
	s_movk_i32 s5, 0x1f0
	s_mov_b32 s0, 0
.LBB109_295:                            ; =>This Inner Loop Header: Depth=1
	scratch_load_b64 v[107:108], v105, off
	v_dual_mov_b32 v109, s5 :: v_dual_add_nc_u32 v106, -1, v106
	v_add_nc_u32_e32 v105, 8, v105
	s_add_i32 s5, s5, 8
	ds_load_b64 v[109:110], v109
	v_cmp_eq_u32_e32 vcc_lo, 0, v106
	s_or_b32 s0, vcc_lo, s0
	s_waitcnt vmcnt(0) lgkmcnt(0)
	v_fma_f64 v[93:94], v[107:108], v[109:110], v[93:94]
	s_and_not1_b32 exec_lo, exec_lo, s0
	s_cbranch_execnz .LBB109_295
; %bb.296:
	s_or_b32 exec_lo, exec_lo, s0
.LBB109_297:
	s_delay_alu instid0(SALU_CYCLE_1)
	s_or_b32 exec_lo, exec_lo, s4
	v_mov_b32_e32 v105, 0
	ds_load_b64 v[105:106], v105 offset:120
	s_waitcnt lgkmcnt(0)
	v_mul_f64 v[93:94], v[93:94], v[105:106]
	scratch_store_b64 off, v[93:94], off offset:120
.LBB109_298:
	s_or_b32 exec_lo, exec_lo, s3
	scratch_load_b64 v[93:94], off, off offset:112
	v_cmp_lt_u32_e64 s0, 14, v0
	s_waitcnt vmcnt(0)
	ds_store_b64 v96, v[93:94]
	s_waitcnt lgkmcnt(0)
	s_waitcnt_vscnt null, 0x0
	s_barrier
	buffer_gl0_inv
	s_and_saveexec_b32 s3, s0
	s_cbranch_execz .LBB109_308
; %bb.299:
	s_and_not1_b32 vcc_lo, exec_lo, s2
	s_cbranch_vccnz .LBB109_301
; %bb.300:
	scratch_load_b64 v[93:94], v97, off
	ds_load_b64 v[105:106], v96
	s_waitcnt vmcnt(0) lgkmcnt(0)
	v_mul_f64 v[93:94], v[93:94], v[105:106]
	s_cbranch_execz .LBB109_302
	s_branch .LBB109_303
.LBB109_301:
                                        ; implicit-def: $vgpr93_vgpr94
.LBB109_302:
	ds_load_b64 v[93:94], v96
.LBB109_303:
	s_and_saveexec_b32 s4, s1
	s_cbranch_execz .LBB109_307
; %bb.304:
	v_dual_mov_b32 v105, 0 :: v_dual_add_nc_u32 v106, -15, v0
	s_movk_i32 s5, 0x1e8
	s_mov_b32 s1, 0
	s_delay_alu instid0(VALU_DEP_1)
	v_add_nc_u32_e32 v105, 0x78, v105
.LBB109_305:                            ; =>This Inner Loop Header: Depth=1
	scratch_load_b64 v[107:108], v105, off
	v_dual_mov_b32 v109, s5 :: v_dual_add_nc_u32 v106, -1, v106
	v_add_nc_u32_e32 v105, 8, v105
	s_add_i32 s5, s5, 8
	ds_load_b64 v[109:110], v109
	v_cmp_eq_u32_e32 vcc_lo, 0, v106
	s_or_b32 s1, vcc_lo, s1
	s_waitcnt vmcnt(0) lgkmcnt(0)
	v_fma_f64 v[93:94], v[107:108], v[109:110], v[93:94]
	s_and_not1_b32 exec_lo, exec_lo, s1
	s_cbranch_execnz .LBB109_305
; %bb.306:
	s_or_b32 exec_lo, exec_lo, s1
.LBB109_307:
	s_delay_alu instid0(SALU_CYCLE_1)
	s_or_b32 exec_lo, exec_lo, s4
	v_mov_b32_e32 v105, 0
	ds_load_b64 v[105:106], v105 offset:112
	s_waitcnt lgkmcnt(0)
	v_mul_f64 v[93:94], v[93:94], v[105:106]
	scratch_store_b64 off, v[93:94], off offset:112
.LBB109_308:
	s_or_b32 exec_lo, exec_lo, s3
	scratch_load_b64 v[93:94], off, off offset:104
	v_cmp_lt_u32_e64 s1, 13, v0
	s_waitcnt vmcnt(0)
	ds_store_b64 v96, v[93:94]
	s_waitcnt lgkmcnt(0)
	s_waitcnt_vscnt null, 0x0
	s_barrier
	buffer_gl0_inv
	s_and_saveexec_b32 s3, s1
	s_cbranch_execz .LBB109_318
; %bb.309:
	s_and_not1_b32 vcc_lo, exec_lo, s2
	s_cbranch_vccnz .LBB109_311
; %bb.310:
	scratch_load_b64 v[93:94], v97, off
	ds_load_b64 v[105:106], v96
	s_waitcnt vmcnt(0) lgkmcnt(0)
	v_mul_f64 v[93:94], v[93:94], v[105:106]
	s_cbranch_execz .LBB109_312
	s_branch .LBB109_313
.LBB109_311:
                                        ; implicit-def: $vgpr93_vgpr94
.LBB109_312:
	ds_load_b64 v[93:94], v96
.LBB109_313:
	s_and_saveexec_b32 s4, s0
	s_cbranch_execz .LBB109_317
; %bb.314:
	v_add_nc_u32_e32 v105, -14, v0
	s_movk_i32 s5, 0x1e0
	s_mov_b32 s0, 0
.LBB109_315:                            ; =>This Inner Loop Header: Depth=1
	scratch_load_b64 v[106:107], v104, off
	v_dual_mov_b32 v108, s5 :: v_dual_add_nc_u32 v105, -1, v105
	v_add_nc_u32_e32 v104, 8, v104
	s_add_i32 s5, s5, 8
	ds_load_b64 v[108:109], v108
	v_cmp_eq_u32_e32 vcc_lo, 0, v105
	s_or_b32 s0, vcc_lo, s0
	s_waitcnt vmcnt(0) lgkmcnt(0)
	v_fma_f64 v[93:94], v[106:107], v[108:109], v[93:94]
	s_and_not1_b32 exec_lo, exec_lo, s0
	s_cbranch_execnz .LBB109_315
; %bb.316:
	s_or_b32 exec_lo, exec_lo, s0
.LBB109_317:
	s_delay_alu instid0(SALU_CYCLE_1)
	s_or_b32 exec_lo, exec_lo, s4
	v_mov_b32_e32 v104, 0
	ds_load_b64 v[104:105], v104 offset:104
	s_waitcnt lgkmcnt(0)
	v_mul_f64 v[93:94], v[93:94], v[104:105]
	scratch_store_b64 off, v[93:94], off offset:104
.LBB109_318:
	s_or_b32 exec_lo, exec_lo, s3
	scratch_load_b64 v[93:94], off, off offset:96
	v_cmp_lt_u32_e64 s0, 12, v0
	s_waitcnt vmcnt(0)
	ds_store_b64 v96, v[93:94]
	s_waitcnt lgkmcnt(0)
	s_waitcnt_vscnt null, 0x0
	s_barrier
	buffer_gl0_inv
	s_and_saveexec_b32 s3, s0
	s_cbranch_execz .LBB109_328
; %bb.319:
	s_and_not1_b32 vcc_lo, exec_lo, s2
	s_cbranch_vccnz .LBB109_321
; %bb.320:
	scratch_load_b64 v[93:94], v97, off
	ds_load_b64 v[104:105], v96
	s_waitcnt vmcnt(0) lgkmcnt(0)
	v_mul_f64 v[93:94], v[93:94], v[104:105]
	s_cbranch_execz .LBB109_322
	s_branch .LBB109_323
.LBB109_321:
                                        ; implicit-def: $vgpr93_vgpr94
.LBB109_322:
	ds_load_b64 v[93:94], v96
.LBB109_323:
	s_and_saveexec_b32 s4, s1
	s_cbranch_execz .LBB109_327
; %bb.324:
	v_dual_mov_b32 v104, 0 :: v_dual_add_nc_u32 v105, -13, v0
	s_movk_i32 s5, 0x1d8
	s_mov_b32 s1, 0
	s_delay_alu instid0(VALU_DEP_1)
	v_add_nc_u32_e32 v104, 0x68, v104
.LBB109_325:                            ; =>This Inner Loop Header: Depth=1
	scratch_load_b64 v[106:107], v104, off
	v_dual_mov_b32 v108, s5 :: v_dual_add_nc_u32 v105, -1, v105
	v_add_nc_u32_e32 v104, 8, v104
	s_add_i32 s5, s5, 8
	ds_load_b64 v[108:109], v108
	v_cmp_eq_u32_e32 vcc_lo, 0, v105
	s_or_b32 s1, vcc_lo, s1
	s_waitcnt vmcnt(0) lgkmcnt(0)
	v_fma_f64 v[93:94], v[106:107], v[108:109], v[93:94]
	s_and_not1_b32 exec_lo, exec_lo, s1
	s_cbranch_execnz .LBB109_325
; %bb.326:
	s_or_b32 exec_lo, exec_lo, s1
.LBB109_327:
	s_delay_alu instid0(SALU_CYCLE_1)
	s_or_b32 exec_lo, exec_lo, s4
	v_mov_b32_e32 v104, 0
	ds_load_b64 v[104:105], v104 offset:96
	s_waitcnt lgkmcnt(0)
	v_mul_f64 v[93:94], v[93:94], v[104:105]
	scratch_store_b64 off, v[93:94], off offset:96
.LBB109_328:
	s_or_b32 exec_lo, exec_lo, s3
	scratch_load_b64 v[93:94], off, off offset:88
	v_cmp_lt_u32_e64 s1, 11, v0
	s_waitcnt vmcnt(0)
	ds_store_b64 v96, v[93:94]
	s_waitcnt lgkmcnt(0)
	s_waitcnt_vscnt null, 0x0
	s_barrier
	buffer_gl0_inv
	s_and_saveexec_b32 s3, s1
	s_cbranch_execz .LBB109_338
; %bb.329:
	s_and_not1_b32 vcc_lo, exec_lo, s2
	s_cbranch_vccnz .LBB109_331
; %bb.330:
	scratch_load_b64 v[93:94], v97, off
	ds_load_b64 v[104:105], v96
	s_waitcnt vmcnt(0) lgkmcnt(0)
	v_mul_f64 v[93:94], v[93:94], v[104:105]
	s_cbranch_execz .LBB109_332
	s_branch .LBB109_333
.LBB109_331:
                                        ; implicit-def: $vgpr93_vgpr94
.LBB109_332:
	ds_load_b64 v[93:94], v96
.LBB109_333:
	s_and_saveexec_b32 s4, s0
	s_cbranch_execz .LBB109_337
; %bb.334:
	v_add_nc_u32_e32 v104, -12, v0
	s_movk_i32 s5, 0x1d0
	s_mov_b32 s0, 0
.LBB109_335:                            ; =>This Inner Loop Header: Depth=1
	scratch_load_b64 v[105:106], v103, off
	v_dual_mov_b32 v107, s5 :: v_dual_add_nc_u32 v104, -1, v104
	v_add_nc_u32_e32 v103, 8, v103
	s_add_i32 s5, s5, 8
	ds_load_b64 v[107:108], v107
	v_cmp_eq_u32_e32 vcc_lo, 0, v104
	s_or_b32 s0, vcc_lo, s0
	s_waitcnt vmcnt(0) lgkmcnt(0)
	v_fma_f64 v[93:94], v[105:106], v[107:108], v[93:94]
	s_and_not1_b32 exec_lo, exec_lo, s0
	s_cbranch_execnz .LBB109_335
; %bb.336:
	s_or_b32 exec_lo, exec_lo, s0
.LBB109_337:
	s_delay_alu instid0(SALU_CYCLE_1)
	s_or_b32 exec_lo, exec_lo, s4
	v_mov_b32_e32 v103, 0
	ds_load_b64 v[103:104], v103 offset:88
	s_waitcnt lgkmcnt(0)
	v_mul_f64 v[93:94], v[93:94], v[103:104]
	scratch_store_b64 off, v[93:94], off offset:88
.LBB109_338:
	s_or_b32 exec_lo, exec_lo, s3
	scratch_load_b64 v[93:94], off, off offset:80
	v_cmp_lt_u32_e64 s0, 10, v0
	s_waitcnt vmcnt(0)
	ds_store_b64 v96, v[93:94]
	s_waitcnt lgkmcnt(0)
	s_waitcnt_vscnt null, 0x0
	s_barrier
	buffer_gl0_inv
	s_and_saveexec_b32 s3, s0
	s_cbranch_execz .LBB109_348
; %bb.339:
	s_and_not1_b32 vcc_lo, exec_lo, s2
	s_cbranch_vccnz .LBB109_341
; %bb.340:
	scratch_load_b64 v[93:94], v97, off
	ds_load_b64 v[103:104], v96
	s_waitcnt vmcnt(0) lgkmcnt(0)
	v_mul_f64 v[93:94], v[93:94], v[103:104]
	s_cbranch_execz .LBB109_342
	s_branch .LBB109_343
.LBB109_341:
                                        ; implicit-def: $vgpr93_vgpr94
.LBB109_342:
	ds_load_b64 v[93:94], v96
.LBB109_343:
	s_and_saveexec_b32 s4, s1
	s_cbranch_execz .LBB109_347
; %bb.344:
	v_dual_mov_b32 v103, 0 :: v_dual_add_nc_u32 v104, -11, v0
	s_movk_i32 s5, 0x1c8
	s_mov_b32 s1, 0
	s_delay_alu instid0(VALU_DEP_1)
	v_add_nc_u32_e32 v103, 0x58, v103
.LBB109_345:                            ; =>This Inner Loop Header: Depth=1
	scratch_load_b64 v[105:106], v103, off
	v_dual_mov_b32 v107, s5 :: v_dual_add_nc_u32 v104, -1, v104
	v_add_nc_u32_e32 v103, 8, v103
	s_add_i32 s5, s5, 8
	ds_load_b64 v[107:108], v107
	v_cmp_eq_u32_e32 vcc_lo, 0, v104
	s_or_b32 s1, vcc_lo, s1
	s_waitcnt vmcnt(0) lgkmcnt(0)
	v_fma_f64 v[93:94], v[105:106], v[107:108], v[93:94]
	s_and_not1_b32 exec_lo, exec_lo, s1
	s_cbranch_execnz .LBB109_345
; %bb.346:
	s_or_b32 exec_lo, exec_lo, s1
.LBB109_347:
	s_delay_alu instid0(SALU_CYCLE_1)
	s_or_b32 exec_lo, exec_lo, s4
	v_mov_b32_e32 v103, 0
	ds_load_b64 v[103:104], v103 offset:80
	s_waitcnt lgkmcnt(0)
	v_mul_f64 v[93:94], v[93:94], v[103:104]
	scratch_store_b64 off, v[93:94], off offset:80
.LBB109_348:
	s_or_b32 exec_lo, exec_lo, s3
	scratch_load_b64 v[93:94], off, off offset:72
	v_cmp_lt_u32_e64 s1, 9, v0
	s_waitcnt vmcnt(0)
	ds_store_b64 v96, v[93:94]
	s_waitcnt lgkmcnt(0)
	s_waitcnt_vscnt null, 0x0
	s_barrier
	buffer_gl0_inv
	s_and_saveexec_b32 s3, s1
	s_cbranch_execz .LBB109_358
; %bb.349:
	s_and_not1_b32 vcc_lo, exec_lo, s2
	s_cbranch_vccnz .LBB109_351
; %bb.350:
	scratch_load_b64 v[93:94], v97, off
	ds_load_b64 v[103:104], v96
	s_waitcnt vmcnt(0) lgkmcnt(0)
	v_mul_f64 v[93:94], v[93:94], v[103:104]
	s_cbranch_execz .LBB109_352
	s_branch .LBB109_353
.LBB109_351:
                                        ; implicit-def: $vgpr93_vgpr94
.LBB109_352:
	ds_load_b64 v[93:94], v96
.LBB109_353:
	s_and_saveexec_b32 s4, s0
	s_cbranch_execz .LBB109_357
; %bb.354:
	v_add_nc_u32_e32 v103, -10, v0
	s_movk_i32 s5, 0x1c0
	s_mov_b32 s0, 0
.LBB109_355:                            ; =>This Inner Loop Header: Depth=1
	scratch_load_b64 v[104:105], v102, off
	v_dual_mov_b32 v106, s5 :: v_dual_add_nc_u32 v103, -1, v103
	v_add_nc_u32_e32 v102, 8, v102
	s_add_i32 s5, s5, 8
	ds_load_b64 v[106:107], v106
	v_cmp_eq_u32_e32 vcc_lo, 0, v103
	s_or_b32 s0, vcc_lo, s0
	s_waitcnt vmcnt(0) lgkmcnt(0)
	v_fma_f64 v[93:94], v[104:105], v[106:107], v[93:94]
	s_and_not1_b32 exec_lo, exec_lo, s0
	s_cbranch_execnz .LBB109_355
; %bb.356:
	s_or_b32 exec_lo, exec_lo, s0
.LBB109_357:
	s_delay_alu instid0(SALU_CYCLE_1)
	s_or_b32 exec_lo, exec_lo, s4
	v_mov_b32_e32 v102, 0
	ds_load_b64 v[102:103], v102 offset:72
	s_waitcnt lgkmcnt(0)
	v_mul_f64 v[93:94], v[93:94], v[102:103]
	scratch_store_b64 off, v[93:94], off offset:72
.LBB109_358:
	s_or_b32 exec_lo, exec_lo, s3
	scratch_load_b64 v[93:94], off, off offset:64
	v_cmp_lt_u32_e64 s0, 8, v0
	s_waitcnt vmcnt(0)
	ds_store_b64 v96, v[93:94]
	s_waitcnt lgkmcnt(0)
	s_waitcnt_vscnt null, 0x0
	s_barrier
	buffer_gl0_inv
	s_and_saveexec_b32 s3, s0
	s_cbranch_execz .LBB109_368
; %bb.359:
	s_and_not1_b32 vcc_lo, exec_lo, s2
	s_cbranch_vccnz .LBB109_361
; %bb.360:
	scratch_load_b64 v[93:94], v97, off
	ds_load_b64 v[102:103], v96
	s_waitcnt vmcnt(0) lgkmcnt(0)
	v_mul_f64 v[93:94], v[93:94], v[102:103]
	s_cbranch_execz .LBB109_362
	s_branch .LBB109_363
.LBB109_361:
                                        ; implicit-def: $vgpr93_vgpr94
.LBB109_362:
	ds_load_b64 v[93:94], v96
.LBB109_363:
	s_and_saveexec_b32 s4, s1
	s_cbranch_execz .LBB109_367
; %bb.364:
	v_dual_mov_b32 v102, 0 :: v_dual_add_nc_u32 v103, -9, v0
	s_movk_i32 s5, 0x1b8
	s_mov_b32 s1, 0
	s_delay_alu instid0(VALU_DEP_1)
	v_add_nc_u32_e32 v102, 0x48, v102
.LBB109_365:                            ; =>This Inner Loop Header: Depth=1
	scratch_load_b64 v[104:105], v102, off
	v_dual_mov_b32 v106, s5 :: v_dual_add_nc_u32 v103, -1, v103
	v_add_nc_u32_e32 v102, 8, v102
	s_add_i32 s5, s5, 8
	ds_load_b64 v[106:107], v106
	v_cmp_eq_u32_e32 vcc_lo, 0, v103
	s_or_b32 s1, vcc_lo, s1
	s_waitcnt vmcnt(0) lgkmcnt(0)
	v_fma_f64 v[93:94], v[104:105], v[106:107], v[93:94]
	s_and_not1_b32 exec_lo, exec_lo, s1
	s_cbranch_execnz .LBB109_365
; %bb.366:
	s_or_b32 exec_lo, exec_lo, s1
.LBB109_367:
	s_delay_alu instid0(SALU_CYCLE_1)
	s_or_b32 exec_lo, exec_lo, s4
	v_mov_b32_e32 v102, 0
	ds_load_b64 v[102:103], v102 offset:64
	s_waitcnt lgkmcnt(0)
	v_mul_f64 v[93:94], v[93:94], v[102:103]
	scratch_store_b64 off, v[93:94], off offset:64
.LBB109_368:
	s_or_b32 exec_lo, exec_lo, s3
	scratch_load_b64 v[93:94], off, off offset:56
	v_cmp_lt_u32_e64 s1, 7, v0
	s_waitcnt vmcnt(0)
	ds_store_b64 v96, v[93:94]
	s_waitcnt lgkmcnt(0)
	s_waitcnt_vscnt null, 0x0
	s_barrier
	buffer_gl0_inv
	s_and_saveexec_b32 s3, s1
	s_cbranch_execz .LBB109_378
; %bb.369:
	s_and_not1_b32 vcc_lo, exec_lo, s2
	s_cbranch_vccnz .LBB109_371
; %bb.370:
	scratch_load_b64 v[93:94], v97, off
	ds_load_b64 v[102:103], v96
	s_waitcnt vmcnt(0) lgkmcnt(0)
	v_mul_f64 v[93:94], v[93:94], v[102:103]
	s_cbranch_execz .LBB109_372
	s_branch .LBB109_373
.LBB109_371:
                                        ; implicit-def: $vgpr93_vgpr94
.LBB109_372:
	ds_load_b64 v[93:94], v96
.LBB109_373:
	s_and_saveexec_b32 s4, s0
	s_cbranch_execz .LBB109_377
; %bb.374:
	v_add_nc_u32_e32 v102, -8, v0
	s_movk_i32 s5, 0x1b0
	s_mov_b32 s0, 0
.LBB109_375:                            ; =>This Inner Loop Header: Depth=1
	scratch_load_b64 v[103:104], v101, off
	v_dual_mov_b32 v105, s5 :: v_dual_add_nc_u32 v102, -1, v102
	v_add_nc_u32_e32 v101, 8, v101
	s_add_i32 s5, s5, 8
	ds_load_b64 v[105:106], v105
	v_cmp_eq_u32_e32 vcc_lo, 0, v102
	s_or_b32 s0, vcc_lo, s0
	s_waitcnt vmcnt(0) lgkmcnt(0)
	v_fma_f64 v[93:94], v[103:104], v[105:106], v[93:94]
	s_and_not1_b32 exec_lo, exec_lo, s0
	s_cbranch_execnz .LBB109_375
; %bb.376:
	s_or_b32 exec_lo, exec_lo, s0
.LBB109_377:
	s_delay_alu instid0(SALU_CYCLE_1)
	s_or_b32 exec_lo, exec_lo, s4
	v_mov_b32_e32 v101, 0
	ds_load_b64 v[101:102], v101 offset:56
	s_waitcnt lgkmcnt(0)
	v_mul_f64 v[93:94], v[93:94], v[101:102]
	scratch_store_b64 off, v[93:94], off offset:56
.LBB109_378:
	s_or_b32 exec_lo, exec_lo, s3
	scratch_load_b64 v[93:94], off, off offset:48
	v_cmp_lt_u32_e64 s0, 6, v0
	s_waitcnt vmcnt(0)
	ds_store_b64 v96, v[93:94]
	s_waitcnt lgkmcnt(0)
	s_waitcnt_vscnt null, 0x0
	s_barrier
	buffer_gl0_inv
	s_and_saveexec_b32 s3, s0
	s_cbranch_execz .LBB109_388
; %bb.379:
	s_and_not1_b32 vcc_lo, exec_lo, s2
	s_cbranch_vccnz .LBB109_381
; %bb.380:
	scratch_load_b64 v[93:94], v97, off
	ds_load_b64 v[101:102], v96
	s_waitcnt vmcnt(0) lgkmcnt(0)
	v_mul_f64 v[93:94], v[93:94], v[101:102]
	s_cbranch_execz .LBB109_382
	s_branch .LBB109_383
.LBB109_381:
                                        ; implicit-def: $vgpr93_vgpr94
.LBB109_382:
	ds_load_b64 v[93:94], v96
.LBB109_383:
	s_and_saveexec_b32 s4, s1
	s_cbranch_execz .LBB109_387
; %bb.384:
	v_add_nc_u32_e64 v101, 0, 56
	v_add_nc_u32_e32 v102, -7, v0
	s_movk_i32 s5, 0x1a8
	s_mov_b32 s1, 0
.LBB109_385:                            ; =>This Inner Loop Header: Depth=1
	scratch_load_b64 v[103:104], v101, off
	v_dual_mov_b32 v105, s5 :: v_dual_add_nc_u32 v102, -1, v102
	v_add_nc_u32_e32 v101, 8, v101
	s_add_i32 s5, s5, 8
	ds_load_b64 v[105:106], v105
	v_cmp_eq_u32_e32 vcc_lo, 0, v102
	s_or_b32 s1, vcc_lo, s1
	s_waitcnt vmcnt(0) lgkmcnt(0)
	v_fma_f64 v[93:94], v[103:104], v[105:106], v[93:94]
	s_and_not1_b32 exec_lo, exec_lo, s1
	s_cbranch_execnz .LBB109_385
; %bb.386:
	s_or_b32 exec_lo, exec_lo, s1
.LBB109_387:
	s_delay_alu instid0(SALU_CYCLE_1)
	s_or_b32 exec_lo, exec_lo, s4
	v_mov_b32_e32 v101, 0
	ds_load_b64 v[101:102], v101 offset:48
	s_waitcnt lgkmcnt(0)
	v_mul_f64 v[93:94], v[93:94], v[101:102]
	scratch_store_b64 off, v[93:94], off offset:48
.LBB109_388:
	s_or_b32 exec_lo, exec_lo, s3
	scratch_load_b64 v[93:94], off, off offset:40
	v_cmp_lt_u32_e64 s1, 5, v0
	s_waitcnt vmcnt(0)
	ds_store_b64 v96, v[93:94]
	s_waitcnt lgkmcnt(0)
	s_waitcnt_vscnt null, 0x0
	s_barrier
	buffer_gl0_inv
	s_and_saveexec_b32 s3, s1
	s_cbranch_execz .LBB109_398
; %bb.389:
	s_and_not1_b32 vcc_lo, exec_lo, s2
	s_cbranch_vccnz .LBB109_391
; %bb.390:
	scratch_load_b64 v[93:94], v97, off
	ds_load_b64 v[101:102], v96
	s_waitcnt vmcnt(0) lgkmcnt(0)
	v_mul_f64 v[93:94], v[93:94], v[101:102]
	s_cbranch_execz .LBB109_392
	s_branch .LBB109_393
.LBB109_391:
                                        ; implicit-def: $vgpr93_vgpr94
.LBB109_392:
	ds_load_b64 v[93:94], v96
.LBB109_393:
	s_and_saveexec_b32 s4, s0
	s_cbranch_execz .LBB109_397
; %bb.394:
	v_add_nc_u32_e32 v101, -6, v0
	s_movk_i32 s5, 0x1a0
	s_mov_b32 s0, 0
.LBB109_395:                            ; =>This Inner Loop Header: Depth=1
	scratch_load_b64 v[102:103], v100, off
	v_dual_mov_b32 v104, s5 :: v_dual_add_nc_u32 v101, -1, v101
	v_add_nc_u32_e32 v100, 8, v100
	s_add_i32 s5, s5, 8
	ds_load_b64 v[104:105], v104
	v_cmp_eq_u32_e32 vcc_lo, 0, v101
	s_or_b32 s0, vcc_lo, s0
	s_waitcnt vmcnt(0) lgkmcnt(0)
	v_fma_f64 v[93:94], v[102:103], v[104:105], v[93:94]
	s_and_not1_b32 exec_lo, exec_lo, s0
	s_cbranch_execnz .LBB109_395
; %bb.396:
	s_or_b32 exec_lo, exec_lo, s0
.LBB109_397:
	s_delay_alu instid0(SALU_CYCLE_1)
	s_or_b32 exec_lo, exec_lo, s4
	v_mov_b32_e32 v100, 0
	ds_load_b64 v[100:101], v100 offset:40
	s_waitcnt lgkmcnt(0)
	v_mul_f64 v[93:94], v[93:94], v[100:101]
	scratch_store_b64 off, v[93:94], off offset:40
.LBB109_398:
	s_or_b32 exec_lo, exec_lo, s3
	scratch_load_b64 v[93:94], off, off offset:32
	v_cmp_lt_u32_e64 s0, 4, v0
	s_waitcnt vmcnt(0)
	ds_store_b64 v96, v[93:94]
	s_waitcnt lgkmcnt(0)
	s_waitcnt_vscnt null, 0x0
	s_barrier
	buffer_gl0_inv
	s_and_saveexec_b32 s3, s0
	s_cbranch_execz .LBB109_408
; %bb.399:
	s_and_not1_b32 vcc_lo, exec_lo, s2
	s_cbranch_vccnz .LBB109_401
; %bb.400:
	scratch_load_b64 v[93:94], v97, off
	ds_load_b64 v[100:101], v96
	s_waitcnt vmcnt(0) lgkmcnt(0)
	v_mul_f64 v[93:94], v[93:94], v[100:101]
	s_cbranch_execz .LBB109_402
	s_branch .LBB109_403
.LBB109_401:
                                        ; implicit-def: $vgpr93_vgpr94
.LBB109_402:
	ds_load_b64 v[93:94], v96
.LBB109_403:
	s_and_saveexec_b32 s4, s1
	s_cbranch_execz .LBB109_407
; %bb.404:
	v_add_nc_u32_e64 v100, 0, 40
	v_add_nc_u32_e32 v101, -5, v0
	s_movk_i32 s5, 0x198
	s_mov_b32 s1, 0
.LBB109_405:                            ; =>This Inner Loop Header: Depth=1
	scratch_load_b64 v[102:103], v100, off
	v_dual_mov_b32 v104, s5 :: v_dual_add_nc_u32 v101, -1, v101
	v_add_nc_u32_e32 v100, 8, v100
	s_add_i32 s5, s5, 8
	ds_load_b64 v[104:105], v104
	v_cmp_eq_u32_e32 vcc_lo, 0, v101
	s_or_b32 s1, vcc_lo, s1
	s_waitcnt vmcnt(0) lgkmcnt(0)
	v_fma_f64 v[93:94], v[102:103], v[104:105], v[93:94]
	s_and_not1_b32 exec_lo, exec_lo, s1
	s_cbranch_execnz .LBB109_405
; %bb.406:
	s_or_b32 exec_lo, exec_lo, s1
.LBB109_407:
	s_delay_alu instid0(SALU_CYCLE_1)
	s_or_b32 exec_lo, exec_lo, s4
	v_mov_b32_e32 v100, 0
	ds_load_b64 v[100:101], v100 offset:32
	s_waitcnt lgkmcnt(0)
	v_mul_f64 v[93:94], v[93:94], v[100:101]
	scratch_store_b64 off, v[93:94], off offset:32
.LBB109_408:
	s_or_b32 exec_lo, exec_lo, s3
	scratch_load_b64 v[93:94], off, off offset:24
	v_cmp_lt_u32_e64 s1, 3, v0
	s_waitcnt vmcnt(0)
	ds_store_b64 v96, v[93:94]
	s_waitcnt lgkmcnt(0)
	s_waitcnt_vscnt null, 0x0
	s_barrier
	buffer_gl0_inv
	s_and_saveexec_b32 s3, s1
	s_cbranch_execz .LBB109_418
; %bb.409:
	s_and_not1_b32 vcc_lo, exec_lo, s2
	s_cbranch_vccnz .LBB109_411
; %bb.410:
	scratch_load_b64 v[93:94], v97, off
	ds_load_b64 v[100:101], v96
	s_waitcnt vmcnt(0) lgkmcnt(0)
	v_mul_f64 v[93:94], v[93:94], v[100:101]
	s_cbranch_execz .LBB109_412
	s_branch .LBB109_413
.LBB109_411:
                                        ; implicit-def: $vgpr93_vgpr94
.LBB109_412:
	ds_load_b64 v[93:94], v96
.LBB109_413:
	s_and_saveexec_b32 s4, s0
	s_cbranch_execz .LBB109_417
; %bb.414:
	v_add_nc_u32_e32 v100, -4, v0
	s_movk_i32 s5, 0x190
	s_mov_b32 s0, 0
.LBB109_415:                            ; =>This Inner Loop Header: Depth=1
	scratch_load_b64 v[101:102], v99, off
	v_dual_mov_b32 v103, s5 :: v_dual_add_nc_u32 v100, -1, v100
	v_add_nc_u32_e32 v99, 8, v99
	s_add_i32 s5, s5, 8
	ds_load_b64 v[103:104], v103
	v_cmp_eq_u32_e32 vcc_lo, 0, v100
	s_or_b32 s0, vcc_lo, s0
	s_waitcnt vmcnt(0) lgkmcnt(0)
	v_fma_f64 v[93:94], v[101:102], v[103:104], v[93:94]
	s_and_not1_b32 exec_lo, exec_lo, s0
	s_cbranch_execnz .LBB109_415
; %bb.416:
	s_or_b32 exec_lo, exec_lo, s0
.LBB109_417:
	s_delay_alu instid0(SALU_CYCLE_1)
	s_or_b32 exec_lo, exec_lo, s4
	v_mov_b32_e32 v99, 0
	ds_load_b64 v[99:100], v99 offset:24
	s_waitcnt lgkmcnt(0)
	v_mul_f64 v[93:94], v[93:94], v[99:100]
	scratch_store_b64 off, v[93:94], off offset:24
.LBB109_418:
	s_or_b32 exec_lo, exec_lo, s3
	scratch_load_b64 v[93:94], off, off offset:16
	v_cmp_lt_u32_e64 s0, 2, v0
	s_waitcnt vmcnt(0)
	ds_store_b64 v96, v[93:94]
	s_waitcnt lgkmcnt(0)
	s_waitcnt_vscnt null, 0x0
	s_barrier
	buffer_gl0_inv
	s_and_saveexec_b32 s3, s0
	s_cbranch_execz .LBB109_428
; %bb.419:
	s_and_not1_b32 vcc_lo, exec_lo, s2
	s_cbranch_vccnz .LBB109_421
; %bb.420:
	scratch_load_b64 v[93:94], v97, off
	ds_load_b64 v[99:100], v96
	s_waitcnt vmcnt(0) lgkmcnt(0)
	v_mul_f64 v[93:94], v[93:94], v[99:100]
	s_cbranch_execz .LBB109_422
	s_branch .LBB109_423
.LBB109_421:
                                        ; implicit-def: $vgpr93_vgpr94
.LBB109_422:
	ds_load_b64 v[93:94], v96
.LBB109_423:
	s_and_saveexec_b32 s4, s1
	s_cbranch_execz .LBB109_427
; %bb.424:
	v_add_nc_u32_e64 v99, 0, 24
	v_add_nc_u32_e32 v100, -3, v0
	s_movk_i32 s5, 0x188
	s_mov_b32 s1, 0
.LBB109_425:                            ; =>This Inner Loop Header: Depth=1
	scratch_load_b64 v[101:102], v99, off
	v_dual_mov_b32 v103, s5 :: v_dual_add_nc_u32 v100, -1, v100
	v_add_nc_u32_e32 v99, 8, v99
	s_add_i32 s5, s5, 8
	ds_load_b64 v[103:104], v103
	v_cmp_eq_u32_e32 vcc_lo, 0, v100
	s_or_b32 s1, vcc_lo, s1
	s_waitcnt vmcnt(0) lgkmcnt(0)
	v_fma_f64 v[93:94], v[101:102], v[103:104], v[93:94]
	s_and_not1_b32 exec_lo, exec_lo, s1
	s_cbranch_execnz .LBB109_425
; %bb.426:
	s_or_b32 exec_lo, exec_lo, s1
.LBB109_427:
	s_delay_alu instid0(SALU_CYCLE_1)
	s_or_b32 exec_lo, exec_lo, s4
	v_mov_b32_e32 v99, 0
	ds_load_b64 v[99:100], v99 offset:16
	s_waitcnt lgkmcnt(0)
	v_mul_f64 v[93:94], v[93:94], v[99:100]
	scratch_store_b64 off, v[93:94], off offset:16
.LBB109_428:
	s_or_b32 exec_lo, exec_lo, s3
	scratch_load_b64 v[93:94], off, off offset:8
	v_cmp_lt_u32_e64 s1, 1, v0
	s_waitcnt vmcnt(0)
	ds_store_b64 v96, v[93:94]
	s_waitcnt lgkmcnt(0)
	s_waitcnt_vscnt null, 0x0
	s_barrier
	buffer_gl0_inv
	s_and_saveexec_b32 s3, s1
	s_cbranch_execz .LBB109_438
; %bb.429:
	s_and_not1_b32 vcc_lo, exec_lo, s2
	s_cbranch_vccnz .LBB109_431
; %bb.430:
	scratch_load_b64 v[93:94], v97, off
	ds_load_b64 v[99:100], v96
	s_waitcnt vmcnt(0) lgkmcnt(0)
	v_mul_f64 v[93:94], v[93:94], v[99:100]
	s_cbranch_execz .LBB109_432
	s_branch .LBB109_433
.LBB109_431:
                                        ; implicit-def: $vgpr93_vgpr94
.LBB109_432:
	ds_load_b64 v[93:94], v96
.LBB109_433:
	s_and_saveexec_b32 s4, s0
	s_cbranch_execz .LBB109_437
; %bb.434:
	v_add_nc_u32_e32 v99, -2, v0
	s_movk_i32 s5, 0x180
	s_mov_b32 s0, 0
.LBB109_435:                            ; =>This Inner Loop Header: Depth=1
	scratch_load_b64 v[100:101], v98, off
	v_dual_mov_b32 v102, s5 :: v_dual_add_nc_u32 v99, -1, v99
	v_add_nc_u32_e32 v98, 8, v98
	s_add_i32 s5, s5, 8
	ds_load_b64 v[102:103], v102
	v_cmp_eq_u32_e32 vcc_lo, 0, v99
	s_or_b32 s0, vcc_lo, s0
	s_waitcnt vmcnt(0) lgkmcnt(0)
	v_fma_f64 v[93:94], v[100:101], v[102:103], v[93:94]
	s_and_not1_b32 exec_lo, exec_lo, s0
	s_cbranch_execnz .LBB109_435
; %bb.436:
	s_or_b32 exec_lo, exec_lo, s0
.LBB109_437:
	s_delay_alu instid0(SALU_CYCLE_1)
	s_or_b32 exec_lo, exec_lo, s4
	v_mov_b32_e32 v98, 0
	ds_load_b64 v[98:99], v98 offset:8
	s_waitcnt lgkmcnt(0)
	v_mul_f64 v[93:94], v[93:94], v[98:99]
	scratch_store_b64 off, v[93:94], off offset:8
.LBB109_438:
	s_or_b32 exec_lo, exec_lo, s3
	scratch_load_b64 v[93:94], off, off
	s_mov_b32 s0, 0
	s_mov_b32 s3, exec_lo
	s_waitcnt vmcnt(0)
	ds_store_b64 v96, v[93:94]
	s_waitcnt lgkmcnt(0)
	s_waitcnt_vscnt null, 0x0
	s_barrier
	buffer_gl0_inv
	v_cmpx_ne_u32_e32 0, v0
	s_cbranch_execz .LBB109_448
; %bb.439:
	s_and_not1_b32 vcc_lo, exec_lo, s2
	s_cbranch_vccnz .LBB109_441
; %bb.440:
	scratch_load_b64 v[93:94], v97, off
	ds_load_b64 v[98:99], v96
	s_waitcnt vmcnt(0) lgkmcnt(0)
	v_mul_f64 v[93:94], v[93:94], v[98:99]
	s_cbranch_execz .LBB109_442
	s_branch .LBB109_443
.LBB109_441:
                                        ; implicit-def: $vgpr93_vgpr94
.LBB109_442:
	ds_load_b64 v[93:94], v96
.LBB109_443:
	s_and_saveexec_b32 s4, s1
	s_cbranch_execz .LBB109_447
; %bb.444:
	v_or_b32_e64 v98, 0, 8
	v_add_nc_u32_e32 v99, -1, v0
	s_movk_i32 s5, 0x178
	s_mov_b32 s1, 0
.LBB109_445:                            ; =>This Inner Loop Header: Depth=1
	scratch_load_b64 v[100:101], v98, off
	v_dual_mov_b32 v102, s5 :: v_dual_add_nc_u32 v99, -1, v99
	v_add_nc_u32_e32 v98, 8, v98
	s_add_i32 s5, s5, 8
	ds_load_b64 v[102:103], v102
	v_cmp_eq_u32_e32 vcc_lo, 0, v99
	s_or_b32 s1, vcc_lo, s1
	s_waitcnt vmcnt(0) lgkmcnt(0)
	v_fma_f64 v[93:94], v[100:101], v[102:103], v[93:94]
	s_and_not1_b32 exec_lo, exec_lo, s1
	s_cbranch_execnz .LBB109_445
; %bb.446:
	s_or_b32 exec_lo, exec_lo, s1
.LBB109_447:
	s_delay_alu instid0(SALU_CYCLE_1)
	s_or_b32 exec_lo, exec_lo, s4
	v_mov_b32_e32 v98, 0
	ds_load_b64 v[98:99], v98
	s_waitcnt lgkmcnt(0)
	v_mul_f64 v[93:94], v[93:94], v[98:99]
	scratch_store_b64 off, v[93:94], off
.LBB109_448:
	s_or_b32 exec_lo, exec_lo, s3
.LBB109_449:
	s_delay_alu instid0(SALU_CYCLE_1)
	s_and_b32 vcc_lo, exec_lo, s0
	s_cbranch_vccz .LBB109_895
; %bb.450:
	scratch_load_b64 v[93:94], off, off offset:8
	v_cmp_eq_u32_e64 s0, 0, v0
	s_waitcnt vmcnt(0)
	ds_store_b64 v96, v[93:94]
	s_waitcnt lgkmcnt(0)
	s_waitcnt_vscnt null, 0x0
	s_barrier
	buffer_gl0_inv
	s_and_saveexec_b32 s1, s0
	s_cbranch_execz .LBB109_456
; %bb.451:
	s_and_b32 vcc_lo, exec_lo, s2
	s_cbranch_vccz .LBB109_453
; %bb.452:
	scratch_load_b64 v[93:94], v97, off
	ds_load_b64 v[98:99], v96
	s_waitcnt vmcnt(0) lgkmcnt(0)
	v_mul_f64 v[93:94], v[93:94], v[98:99]
	s_cbranch_execz .LBB109_454
	s_branch .LBB109_455
.LBB109_453:
                                        ; implicit-def: $vgpr93_vgpr94
.LBB109_454:
	ds_load_b64 v[93:94], v96
.LBB109_455:
	v_mov_b32_e32 v98, 0
	ds_load_b64 v[98:99], v98 offset:8
	s_waitcnt lgkmcnt(0)
	v_mul_f64 v[93:94], v[93:94], v[98:99]
	scratch_store_b64 off, v[93:94], off offset:8
.LBB109_456:
	s_or_b32 exec_lo, exec_lo, s1
	scratch_load_b64 v[93:94], off, off offset:16
	v_cndmask_b32_e64 v98, 0, 1, s2
	s_mov_b32 s1, exec_lo
	s_waitcnt vmcnt(0)
	ds_store_b64 v96, v[93:94]
	s_waitcnt lgkmcnt(0)
	s_waitcnt_vscnt null, 0x0
	s_barrier
	buffer_gl0_inv
	v_cmpx_gt_u32_e32 2, v0
	s_cbranch_execz .LBB109_464
; %bb.457:
	s_and_not1_b32 vcc_lo, exec_lo, s2
	s_cbranch_vccnz .LBB109_459
; %bb.458:
	scratch_load_b64 v[93:94], v97, off
	ds_load_b64 v[99:100], v96
	s_waitcnt vmcnt(0) lgkmcnt(0)
	v_mul_f64 v[93:94], v[93:94], v[99:100]
	s_cbranch_execz .LBB109_460
	s_branch .LBB109_461
.LBB109_459:
                                        ; implicit-def: $vgpr93_vgpr94
.LBB109_460:
	ds_load_b64 v[93:94], v96
.LBB109_461:
	s_and_saveexec_b32 s2, s0
	s_cbranch_execz .LBB109_463
; %bb.462:
	scratch_load_b64 v[99:100], v97, off offset:8
	ds_load_b64 v[101:102], v96 offset:8
	s_waitcnt vmcnt(0) lgkmcnt(0)
	v_fma_f64 v[93:94], v[99:100], v[101:102], v[93:94]
.LBB109_463:
	s_or_b32 exec_lo, exec_lo, s2
	v_mov_b32_e32 v99, 0
	ds_load_b64 v[99:100], v99 offset:16
	s_waitcnt lgkmcnt(0)
	v_mul_f64 v[93:94], v[93:94], v[99:100]
	scratch_store_b64 off, v[93:94], off offset:16
.LBB109_464:
	s_or_b32 exec_lo, exec_lo, s1
	scratch_load_b64 v[93:94], off, off offset:24
	s_mov_b32 s1, exec_lo
	s_waitcnt vmcnt(0)
	ds_store_b64 v96, v[93:94]
	s_waitcnt lgkmcnt(0)
	s_waitcnt_vscnt null, 0x0
	s_barrier
	buffer_gl0_inv
	v_cmpx_gt_u32_e32 3, v0
	s_cbranch_execz .LBB109_474
; %bb.465:
	v_cmp_ne_u32_e32 vcc_lo, 1, v98
	s_cbranch_vccnz .LBB109_467
; %bb.466:
	scratch_load_b64 v[93:94], v97, off
	ds_load_b64 v[99:100], v96
	s_waitcnt vmcnt(0) lgkmcnt(0)
	v_mul_f64 v[93:94], v[93:94], v[99:100]
	s_cbranch_execz .LBB109_468
	s_branch .LBB109_469
.LBB109_467:
                                        ; implicit-def: $vgpr93_vgpr94
.LBB109_468:
	ds_load_b64 v[93:94], v96
.LBB109_469:
	s_mov_b32 s2, exec_lo
	v_cmpx_ne_u32_e32 2, v0
	s_cbranch_execz .LBB109_473
; %bb.470:
	scratch_load_b64 v[99:100], v97, off offset:8
	ds_load_b64 v[101:102], v96 offset:8
	s_waitcnt vmcnt(0) lgkmcnt(0)
	v_fma_f64 v[93:94], v[99:100], v[101:102], v[93:94]
	s_and_saveexec_b32 s3, s0
	s_cbranch_execz .LBB109_472
; %bb.471:
	scratch_load_b64 v[99:100], off, off offset:16
	v_mov_b32_e32 v101, 0
	ds_load_b64 v[101:102], v101 offset:384
	s_waitcnt vmcnt(0) lgkmcnt(0)
	v_fma_f64 v[93:94], v[99:100], v[101:102], v[93:94]
.LBB109_472:
	s_or_b32 exec_lo, exec_lo, s3
.LBB109_473:
	s_delay_alu instid0(SALU_CYCLE_1)
	s_or_b32 exec_lo, exec_lo, s2
	v_mov_b32_e32 v99, 0
	ds_load_b64 v[99:100], v99 offset:24
	s_waitcnt lgkmcnt(0)
	v_mul_f64 v[93:94], v[93:94], v[99:100]
	scratch_store_b64 off, v[93:94], off offset:24
.LBB109_474:
	s_or_b32 exec_lo, exec_lo, s1
	scratch_load_b64 v[93:94], off, off offset:32
	s_mov_b32 s0, exec_lo
	s_waitcnt vmcnt(0)
	ds_store_b64 v96, v[93:94]
	s_waitcnt lgkmcnt(0)
	s_waitcnt_vscnt null, 0x0
	s_barrier
	buffer_gl0_inv
	v_cmpx_gt_u32_e32 4, v0
	s_cbranch_execz .LBB109_484
; %bb.475:
	v_cmp_ne_u32_e32 vcc_lo, 1, v98
	s_cbranch_vccnz .LBB109_477
; %bb.476:
	scratch_load_b64 v[93:94], v97, off
	ds_load_b64 v[99:100], v96
	s_waitcnt vmcnt(0) lgkmcnt(0)
	v_mul_f64 v[93:94], v[93:94], v[99:100]
	s_cbranch_execz .LBB109_478
	s_branch .LBB109_479
.LBB109_477:
                                        ; implicit-def: $vgpr93_vgpr94
.LBB109_478:
	ds_load_b64 v[93:94], v96
.LBB109_479:
	s_mov_b32 s1, exec_lo
	v_cmpx_ne_u32_e32 3, v0
	s_cbranch_execz .LBB109_483
; %bb.480:
	v_add_nc_u32_e32 v99, 0x178, v95
	v_add3_u32 v100, 0, v95, 8
	v_mov_b32_e32 v101, v0
	s_mov_b32 s2, 0
.LBB109_481:                            ; =>This Inner Loop Header: Depth=1
	scratch_load_b64 v[102:103], v100, off
	ds_load_b64 v[104:105], v99
	v_add_nc_u32_e32 v101, 1, v101
	v_add_nc_u32_e32 v99, 8, v99
	v_add_nc_u32_e32 v100, 8, v100
	s_delay_alu instid0(VALU_DEP_3)
	v_cmp_lt_u32_e32 vcc_lo, 2, v101
	s_or_b32 s2, vcc_lo, s2
	s_waitcnt vmcnt(0) lgkmcnt(0)
	v_fma_f64 v[93:94], v[102:103], v[104:105], v[93:94]
	s_and_not1_b32 exec_lo, exec_lo, s2
	s_cbranch_execnz .LBB109_481
; %bb.482:
	s_or_b32 exec_lo, exec_lo, s2
.LBB109_483:
	s_delay_alu instid0(SALU_CYCLE_1)
	s_or_b32 exec_lo, exec_lo, s1
	v_mov_b32_e32 v99, 0
	ds_load_b64 v[99:100], v99 offset:32
	s_waitcnt lgkmcnt(0)
	v_mul_f64 v[93:94], v[93:94], v[99:100]
	scratch_store_b64 off, v[93:94], off offset:32
.LBB109_484:
	s_or_b32 exec_lo, exec_lo, s0
	scratch_load_b64 v[93:94], off, off offset:40
	s_mov_b32 s0, exec_lo
	s_waitcnt vmcnt(0)
	ds_store_b64 v96, v[93:94]
	s_waitcnt lgkmcnt(0)
	s_waitcnt_vscnt null, 0x0
	s_barrier
	buffer_gl0_inv
	v_cmpx_gt_u32_e32 5, v0
	s_cbranch_execz .LBB109_494
; %bb.485:
	v_cmp_ne_u32_e32 vcc_lo, 1, v98
	s_cbranch_vccnz .LBB109_487
; %bb.486:
	scratch_load_b64 v[93:94], v97, off
	ds_load_b64 v[99:100], v96
	s_waitcnt vmcnt(0) lgkmcnt(0)
	v_mul_f64 v[93:94], v[93:94], v[99:100]
	s_cbranch_execz .LBB109_488
	s_branch .LBB109_489
.LBB109_487:
                                        ; implicit-def: $vgpr93_vgpr94
.LBB109_488:
	ds_load_b64 v[93:94], v96
.LBB109_489:
	s_mov_b32 s1, exec_lo
	v_cmpx_ne_u32_e32 4, v0
	s_cbranch_execz .LBB109_493
; %bb.490:
	v_add_nc_u32_e32 v99, 0x178, v95
	v_add3_u32 v100, 0, v95, 8
	v_mov_b32_e32 v101, v0
	s_mov_b32 s2, 0
.LBB109_491:                            ; =>This Inner Loop Header: Depth=1
	scratch_load_b64 v[102:103], v100, off
	ds_load_b64 v[104:105], v99
	v_add_nc_u32_e32 v101, 1, v101
	v_add_nc_u32_e32 v99, 8, v99
	v_add_nc_u32_e32 v100, 8, v100
	s_delay_alu instid0(VALU_DEP_3)
	v_cmp_lt_u32_e32 vcc_lo, 3, v101
	s_or_b32 s2, vcc_lo, s2
	s_waitcnt vmcnt(0) lgkmcnt(0)
	v_fma_f64 v[93:94], v[102:103], v[104:105], v[93:94]
	s_and_not1_b32 exec_lo, exec_lo, s2
	s_cbranch_execnz .LBB109_491
; %bb.492:
	s_or_b32 exec_lo, exec_lo, s2
.LBB109_493:
	s_delay_alu instid0(SALU_CYCLE_1)
	s_or_b32 exec_lo, exec_lo, s1
	v_mov_b32_e32 v99, 0
	ds_load_b64 v[99:100], v99 offset:40
	s_waitcnt lgkmcnt(0)
	v_mul_f64 v[93:94], v[93:94], v[99:100]
	scratch_store_b64 off, v[93:94], off offset:40
.LBB109_494:
	;; [unrolled: 58-line block ×40, first 2 shown]
	s_or_b32 exec_lo, exec_lo, s0
	scratch_load_b64 v[93:94], off, off offset:352
	v_cmp_gt_u32_e64 s0, 44, v0
	s_waitcnt vmcnt(0)
	ds_store_b64 v96, v[93:94]
	s_waitcnt lgkmcnt(0)
	s_waitcnt_vscnt null, 0x0
	s_barrier
	buffer_gl0_inv
	s_and_saveexec_b32 s1, s0
	s_cbranch_execz .LBB109_884
; %bb.875:
	v_cmp_ne_u32_e32 vcc_lo, 1, v98
	s_cbranch_vccnz .LBB109_877
; %bb.876:
	scratch_load_b64 v[93:94], v97, off
	ds_load_b64 v[99:100], v96
	s_waitcnt vmcnt(0) lgkmcnt(0)
	v_mul_f64 v[93:94], v[93:94], v[99:100]
	s_cbranch_execz .LBB109_878
	s_branch .LBB109_879
.LBB109_877:
                                        ; implicit-def: $vgpr93_vgpr94
.LBB109_878:
	ds_load_b64 v[93:94], v96
.LBB109_879:
	s_mov_b32 s2, exec_lo
	v_cmpx_ne_u32_e32 43, v0
	s_cbranch_execz .LBB109_883
; %bb.880:
	v_add_nc_u32_e32 v99, 0x178, v95
	v_add3_u32 v100, 0, v95, 8
	v_mov_b32_e32 v101, v0
	s_mov_b32 s3, 0
.LBB109_881:                            ; =>This Inner Loop Header: Depth=1
	scratch_load_b64 v[102:103], v100, off
	ds_load_b64 v[104:105], v99
	v_add_nc_u32_e32 v101, 1, v101
	v_add_nc_u32_e32 v99, 8, v99
	;; [unrolled: 1-line block ×3, first 2 shown]
	s_delay_alu instid0(VALU_DEP_3)
	v_cmp_lt_u32_e32 vcc_lo, 42, v101
	s_or_b32 s3, vcc_lo, s3
	s_waitcnt vmcnt(0) lgkmcnt(0)
	v_fma_f64 v[93:94], v[102:103], v[104:105], v[93:94]
	s_and_not1_b32 exec_lo, exec_lo, s3
	s_cbranch_execnz .LBB109_881
; %bb.882:
	s_or_b32 exec_lo, exec_lo, s3
.LBB109_883:
	s_delay_alu instid0(SALU_CYCLE_1)
	s_or_b32 exec_lo, exec_lo, s2
	v_mov_b32_e32 v99, 0
	ds_load_b64 v[99:100], v99 offset:352
	s_waitcnt lgkmcnt(0)
	v_mul_f64 v[93:94], v[93:94], v[99:100]
	scratch_store_b64 off, v[93:94], off offset:352
.LBB109_884:
	s_or_b32 exec_lo, exec_lo, s1
	scratch_load_b64 v[93:94], off, off offset:360
	s_mov_b32 s1, exec_lo
	s_waitcnt vmcnt(0)
	ds_store_b64 v96, v[93:94]
	s_waitcnt lgkmcnt(0)
	s_waitcnt_vscnt null, 0x0
	s_barrier
	buffer_gl0_inv
	v_cmpx_ne_u32_e32 45, v0
	s_cbranch_execz .LBB109_894
; %bb.885:
	v_cmp_ne_u32_e32 vcc_lo, 1, v98
	s_cbranch_vccnz .LBB109_887
; %bb.886:
	scratch_load_b64 v[93:94], v97, off
	ds_load_b64 v[97:98], v96
	s_waitcnt vmcnt(0) lgkmcnt(0)
	v_mul_f64 v[93:94], v[93:94], v[97:98]
	s_cbranch_execz .LBB109_888
	s_branch .LBB109_889
.LBB109_887:
                                        ; implicit-def: $vgpr93_vgpr94
.LBB109_888:
	ds_load_b64 v[93:94], v96
.LBB109_889:
	s_and_saveexec_b32 s2, s0
	s_cbranch_execz .LBB109_893
; %bb.890:
	v_add_nc_u32_e32 v96, 0x178, v95
	v_add3_u32 v95, 0, v95, 8
	s_mov_b32 s0, 0
.LBB109_891:                            ; =>This Inner Loop Header: Depth=1
	scratch_load_b64 v[97:98], v95, off
	ds_load_b64 v[99:100], v96
	v_add_nc_u32_e32 v0, 1, v0
	v_add_nc_u32_e32 v96, 8, v96
	;; [unrolled: 1-line block ×3, first 2 shown]
	s_delay_alu instid0(VALU_DEP_3)
	v_cmp_lt_u32_e32 vcc_lo, 43, v0
	s_or_b32 s0, vcc_lo, s0
	s_waitcnt vmcnt(0) lgkmcnt(0)
	v_fma_f64 v[93:94], v[97:98], v[99:100], v[93:94]
	s_and_not1_b32 exec_lo, exec_lo, s0
	s_cbranch_execnz .LBB109_891
; %bb.892:
	s_or_b32 exec_lo, exec_lo, s0
.LBB109_893:
	s_delay_alu instid0(SALU_CYCLE_1)
	s_or_b32 exec_lo, exec_lo, s2
	v_mov_b32_e32 v0, 0
	ds_load_b64 v[95:96], v0 offset:360
	s_waitcnt lgkmcnt(0)
	v_mul_f64 v[93:94], v[93:94], v[95:96]
	scratch_store_b64 off, v[93:94], off offset:360
.LBB109_894:
	s_or_b32 exec_lo, exec_lo, s1
.LBB109_895:
	s_clause 0xb
	scratch_load_b128 v[93:96], off, off
	scratch_load_b128 v[97:100], off, off offset:16
	scratch_load_b128 v[101:104], off, off offset:32
	;; [unrolled: 1-line block ×11, first 2 shown]
	s_waitcnt vmcnt(11)
	s_clause 0x1
	global_store_b64 v[13:14], v[93:94], off
	global_store_b64 v[15:16], v[95:96], off
	s_clause 0x1
	scratch_load_b128 v[13:16], off, off offset:192
	scratch_load_b128 v[93:96], off, off offset:208
	s_waitcnt vmcnt(12)
	s_clause 0x1
	global_store_b64 v[1:2], v[97:98], off
	global_store_b64 v[3:4], v[99:100], off
	s_clause 0x1
	scratch_load_b128 v[0:3], off, off offset:224
	scratch_load_b128 v[97:100], off, off offset:240
	;; [unrolled: 7-line block ×5, first 2 shown]
	s_waitcnt vmcnt(16)
	s_clause 0x1
	global_store_b64 v[5:6], v[113:114], off
	global_store_b64 v[17:18], v[115:116], off
	scratch_load_b128 v[109:112], off, off offset:352
	s_waitcnt vmcnt(16)
	s_clause 0x1
	global_store_b64 v[11:12], v[117:118], off
	global_store_b64 v[23:24], v[119:120], off
	s_waitcnt vmcnt(15)
	s_clause 0x1
	global_store_b64 v[29:30], v[121:122], off
	global_store_b64 v[31:32], v[123:124], off
	;; [unrolled: 4-line block ×17, first 2 shown]
.LBB109_896:
	s_endpgm
	.section	.rodata,"a",@progbits
	.p2align	6, 0x0
	.amdhsa_kernel _ZN9rocsolver6v33100L18trti2_kernel_smallILi46EdPKPdEEv13rocblas_fill_17rocblas_diagonal_T1_iil
		.amdhsa_group_segment_fixed_size 736
		.amdhsa_private_segment_fixed_size 384
		.amdhsa_kernarg_size 32
		.amdhsa_user_sgpr_count 15
		.amdhsa_user_sgpr_dispatch_ptr 0
		.amdhsa_user_sgpr_queue_ptr 0
		.amdhsa_user_sgpr_kernarg_segment_ptr 1
		.amdhsa_user_sgpr_dispatch_id 0
		.amdhsa_user_sgpr_private_segment_size 0
		.amdhsa_wavefront_size32 1
		.amdhsa_uses_dynamic_stack 0
		.amdhsa_enable_private_segment 1
		.amdhsa_system_sgpr_workgroup_id_x 1
		.amdhsa_system_sgpr_workgroup_id_y 0
		.amdhsa_system_sgpr_workgroup_id_z 0
		.amdhsa_system_sgpr_workgroup_info 0
		.amdhsa_system_vgpr_workitem_id 0
		.amdhsa_next_free_vgpr 146
		.amdhsa_next_free_sgpr 20
		.amdhsa_reserve_vcc 1
		.amdhsa_float_round_mode_32 0
		.amdhsa_float_round_mode_16_64 0
		.amdhsa_float_denorm_mode_32 3
		.amdhsa_float_denorm_mode_16_64 3
		.amdhsa_dx10_clamp 1
		.amdhsa_ieee_mode 1
		.amdhsa_fp16_overflow 0
		.amdhsa_workgroup_processor_mode 1
		.amdhsa_memory_ordered 1
		.amdhsa_forward_progress 0
		.amdhsa_shared_vgpr_count 0
		.amdhsa_exception_fp_ieee_invalid_op 0
		.amdhsa_exception_fp_denorm_src 0
		.amdhsa_exception_fp_ieee_div_zero 0
		.amdhsa_exception_fp_ieee_overflow 0
		.amdhsa_exception_fp_ieee_underflow 0
		.amdhsa_exception_fp_ieee_inexact 0
		.amdhsa_exception_int_div_zero 0
	.end_amdhsa_kernel
	.section	.text._ZN9rocsolver6v33100L18trti2_kernel_smallILi46EdPKPdEEv13rocblas_fill_17rocblas_diagonal_T1_iil,"axG",@progbits,_ZN9rocsolver6v33100L18trti2_kernel_smallILi46EdPKPdEEv13rocblas_fill_17rocblas_diagonal_T1_iil,comdat
.Lfunc_end109:
	.size	_ZN9rocsolver6v33100L18trti2_kernel_smallILi46EdPKPdEEv13rocblas_fill_17rocblas_diagonal_T1_iil, .Lfunc_end109-_ZN9rocsolver6v33100L18trti2_kernel_smallILi46EdPKPdEEv13rocblas_fill_17rocblas_diagonal_T1_iil
                                        ; -- End function
	.section	.AMDGPU.csdata,"",@progbits
; Kernel info:
; codeLenInByte = 25148
; NumSgprs: 22
; NumVgprs: 146
; ScratchSize: 384
; MemoryBound: 0
; FloatMode: 240
; IeeeMode: 1
; LDSByteSize: 736 bytes/workgroup (compile time only)
; SGPRBlocks: 2
; VGPRBlocks: 18
; NumSGPRsForWavesPerEU: 22
; NumVGPRsForWavesPerEU: 146
; Occupancy: 9
; WaveLimiterHint : 1
; COMPUTE_PGM_RSRC2:SCRATCH_EN: 1
; COMPUTE_PGM_RSRC2:USER_SGPR: 15
; COMPUTE_PGM_RSRC2:TRAP_HANDLER: 0
; COMPUTE_PGM_RSRC2:TGID_X_EN: 1
; COMPUTE_PGM_RSRC2:TGID_Y_EN: 0
; COMPUTE_PGM_RSRC2:TGID_Z_EN: 0
; COMPUTE_PGM_RSRC2:TIDIG_COMP_CNT: 0
	.section	.text._ZN9rocsolver6v33100L18trti2_kernel_smallILi47EdPKPdEEv13rocblas_fill_17rocblas_diagonal_T1_iil,"axG",@progbits,_ZN9rocsolver6v33100L18trti2_kernel_smallILi47EdPKPdEEv13rocblas_fill_17rocblas_diagonal_T1_iil,comdat
	.globl	_ZN9rocsolver6v33100L18trti2_kernel_smallILi47EdPKPdEEv13rocblas_fill_17rocblas_diagonal_T1_iil ; -- Begin function _ZN9rocsolver6v33100L18trti2_kernel_smallILi47EdPKPdEEv13rocblas_fill_17rocblas_diagonal_T1_iil
	.p2align	8
	.type	_ZN9rocsolver6v33100L18trti2_kernel_smallILi47EdPKPdEEv13rocblas_fill_17rocblas_diagonal_T1_iil,@function
_ZN9rocsolver6v33100L18trti2_kernel_smallILi47EdPKPdEEv13rocblas_fill_17rocblas_diagonal_T1_iil: ; @_ZN9rocsolver6v33100L18trti2_kernel_smallILi47EdPKPdEEv13rocblas_fill_17rocblas_diagonal_T1_iil
; %bb.0:
	s_mov_b32 s2, exec_lo
	v_cmpx_gt_u32_e32 47, v0
	s_cbranch_execz .LBB110_916
; %bb.1:
	s_clause 0x1
	s_load_b64 s[4:5], s[0:1], 0x10
	s_load_b128 s[0:3], s[0:1], 0x0
	s_mov_b32 s6, s15
	s_ashr_i32 s7, s15, 31
	v_lshlrev_b32_e32 v97, 3, v0
	s_lshl_b64 s[8:9], s[6:7], 3
	s_waitcnt lgkmcnt(0)
	s_ashr_i32 s7, s4, 31
	s_add_u32 s2, s2, s8
	s_addc_u32 s3, s3, s9
	v_add3_u32 v1, s5, s5, v0
	s_load_b64 s[2:3], s[2:3], 0x0
	s_mov_b32 s6, s4
	s_mov_b32 s8, s5
	s_lshl_b64 s[6:7], s[6:7], 3
	v_add_nc_u32_e32 v3, s5, v1
	v_ashrrev_i32_e32 v2, 31, v1
	s_delay_alu instid0(VALU_DEP_2) | instskip(SKIP_1) | instid1(VALU_DEP_3)
	v_add_nc_u32_e32 v5, s5, v3
	v_ashrrev_i32_e32 v4, 31, v3
	v_lshlrev_b64 v[1:2], 3, v[1:2]
	s_delay_alu instid0(VALU_DEP_3) | instskip(NEXT) | instid1(VALU_DEP_3)
	v_add_nc_u32_e32 v9, s5, v5
	v_lshlrev_b64 v[3:4], 3, v[3:4]
	v_ashrrev_i32_e32 v6, 31, v5
	s_delay_alu instid0(VALU_DEP_3)
	v_ashrrev_i32_e32 v10, 31, v9
	s_waitcnt lgkmcnt(0)
	s_add_u32 s2, s2, s6
	s_addc_u32 s3, s3, s7
	v_add_co_u32 v21, s4, s2, v97
	s_ashr_i32 s9, s5, 31
	v_add_co_ci_u32_e64 v22, null, s3, 0, s4
	s_lshl_b64 s[6:7], s[8:9], 3
	v_lshlrev_b64 v[13:14], 3, v[9:10]
	v_add_co_u32 v11, vcc_lo, v21, s6
	s_delay_alu instid0(VALU_DEP_3)
	v_add_co_ci_u32_e32 v12, vcc_lo, s7, v22, vcc_lo
	s_clause 0x1
	global_load_b64 v[47:48], v97, s[2:3]
	global_load_b64 v[49:50], v[11:12], off
	v_add_co_u32 v23, vcc_lo, s2, v1
	v_add_co_ci_u32_e32 v24, vcc_lo, s3, v2, vcc_lo
	v_lshlrev_b64 v[5:6], 3, v[5:6]
	v_add_co_u32 v7, vcc_lo, s2, v3
	v_add_co_ci_u32_e32 v8, vcc_lo, s3, v4, vcc_lo
	v_add_co_u32 v1, vcc_lo, s2, v13
	v_add_co_ci_u32_e32 v2, vcc_lo, s3, v14, vcc_lo
	;; [unrolled: 2-line block ×3, first 2 shown]
	s_clause 0x3
	global_load_b64 v[57:58], v[1:2], off
	global_load_b64 v[59:60], v[23:24], off
	;; [unrolled: 1-line block ×4, first 2 shown]
	v_add_nc_u32_e32 v3, s5, v9
	s_cmpk_lg_i32 s1, 0x84
	s_delay_alu instid0(VALU_DEP_1) | instskip(SKIP_1) | instid1(VALU_DEP_2)
	v_add_nc_u32_e32 v9, s5, v3
	v_ashrrev_i32_e32 v4, 31, v3
	v_add_nc_u32_e32 v13, s5, v9
	v_ashrrev_i32_e32 v10, 31, v9
	s_delay_alu instid0(VALU_DEP_3) | instskip(NEXT) | instid1(VALU_DEP_3)
	v_lshlrev_b64 v[3:4], 3, v[3:4]
	v_add_nc_u32_e32 v15, s5, v13
	s_delay_alu instid0(VALU_DEP_3) | instskip(SKIP_1) | instid1(VALU_DEP_4)
	v_lshlrev_b64 v[9:10], 3, v[9:10]
	v_ashrrev_i32_e32 v14, 31, v13
	v_add_co_u32 v29, vcc_lo, s2, v3
	s_delay_alu instid0(VALU_DEP_4) | instskip(SKIP_3) | instid1(VALU_DEP_4)
	v_add_nc_u32_e32 v17, s5, v15
	v_ashrrev_i32_e32 v16, 31, v15
	v_add_co_ci_u32_e32 v30, vcc_lo, s3, v4, vcc_lo
	v_lshlrev_b64 v[3:4], 3, v[13:14]
	v_add_nc_u32_e32 v31, s5, v17
	v_add_co_u32 v27, vcc_lo, s2, v9
	v_add_co_ci_u32_e32 v28, vcc_lo, s3, v10, vcc_lo
	s_delay_alu instid0(VALU_DEP_3) | instskip(SKIP_3) | instid1(VALU_DEP_4)
	v_add_nc_u32_e32 v33, s5, v31
	v_lshlrev_b64 v[9:10], 3, v[15:16]
	v_ashrrev_i32_e32 v18, 31, v17
	v_add_co_u32 v25, vcc_lo, s2, v3
	v_add_nc_u32_e32 v35, s5, v33
	v_ashrrev_i32_e32 v32, 31, v31
	v_add_co_ci_u32_e32 v26, vcc_lo, s3, v4, vcc_lo
	v_lshlrev_b64 v[3:4], 3, v[17:18]
	s_delay_alu instid0(VALU_DEP_4) | instskip(SKIP_2) | instid1(VALU_DEP_3)
	v_add_nc_u32_e32 v37, s5, v35
	v_add_co_u32 v19, vcc_lo, s2, v9
	v_add_co_ci_u32_e32 v20, vcc_lo, s3, v10, vcc_lo
	v_add_nc_u32_e32 v39, s5, v37
	v_lshlrev_b64 v[9:10], 3, v[31:32]
	v_ashrrev_i32_e32 v34, 31, v33
	v_add_co_u32 v13, vcc_lo, s2, v3
	s_delay_alu instid0(VALU_DEP_4) | instskip(SKIP_3) | instid1(VALU_DEP_4)
	v_add_nc_u32_e32 v41, s5, v39
	v_ashrrev_i32_e32 v36, 31, v35
	v_add_co_ci_u32_e32 v14, vcc_lo, s3, v4, vcc_lo
	v_lshlrev_b64 v[3:4], 3, v[33:34]
	v_add_nc_u32_e32 v43, s5, v41
	v_add_co_u32 v15, vcc_lo, s2, v9
	v_ashrrev_i32_e32 v38, 31, v37
	v_add_co_ci_u32_e32 v16, vcc_lo, s3, v10, vcc_lo
	s_delay_alu instid0(VALU_DEP_4)
	v_add_nc_u32_e32 v45, s5, v43
	v_lshlrev_b64 v[9:10], 3, v[35:36]
	v_ashrrev_i32_e32 v40, 31, v39
	s_clause 0x2
	global_load_b64 v[63:64], v[29:30], off
	global_load_b64 v[65:66], v[27:28], off
	;; [unrolled: 1-line block ×3, first 2 shown]
	v_add_co_u32 v3, vcc_lo, s2, v3
	v_add_nc_u32_e32 v51, s5, v45
	v_lshlrev_b64 v[17:18], 3, v[37:38]
	global_load_b64 v[69:70], v[19:20], off
	v_ashrrev_i32_e32 v42, 31, v41
	v_add_co_ci_u32_e32 v4, vcc_lo, s3, v4, vcc_lo
	v_add_nc_u32_e32 v53, s5, v51
	v_add_co_u32 v9, vcc_lo, s2, v9
	v_lshlrev_b64 v[31:32], 3, v[39:40]
	v_ashrrev_i32_e32 v44, 31, v43
	s_delay_alu instid0(VALU_DEP_4) | instskip(SKIP_2) | instid1(VALU_DEP_3)
	v_add_nc_u32_e32 v87, s5, v53
	v_add_co_ci_u32_e32 v10, vcc_lo, s3, v10, vcc_lo
	v_add_co_u32 v17, vcc_lo, s2, v17
	v_add_nc_u32_e32 v95, s5, v87
	v_lshlrev_b64 v[33:34], 3, v[41:42]
	v_ashrrev_i32_e32 v46, 31, v45
	v_add_co_ci_u32_e32 v18, vcc_lo, s3, v18, vcc_lo
	s_delay_alu instid0(VALU_DEP_4) | instskip(SKIP_3) | instid1(VALU_DEP_4)
	v_add_nc_u32_e32 v98, s5, v95
	v_add_co_u32 v31, vcc_lo, s2, v31
	v_lshlrev_b64 v[35:36], 3, v[43:44]
	v_add_co_ci_u32_e32 v32, vcc_lo, s3, v32, vcc_lo
	v_add_nc_u32_e32 v100, s5, v98
	s_clause 0x2
	global_load_b64 v[71:72], v[13:14], off
	global_load_b64 v[73:74], v[15:16], off
	global_load_b64 v[75:76], v[3:4], off
	v_add_co_u32 v33, vcc_lo, s2, v33
	v_lshlrev_b64 v[37:38], 3, v[45:46]
	v_add_nc_u32_e32 v102, s5, v100
	v_ashrrev_i32_e32 v52, 31, v51
	global_load_b64 v[77:78], v[9:10], off
	v_add_co_ci_u32_e32 v34, vcc_lo, s3, v34, vcc_lo
	v_add_nc_u32_e32 v106, s5, v102
	v_add_co_u32 v35, vcc_lo, s2, v35
	v_ashrrev_i32_e32 v54, 31, v53
	v_add_co_ci_u32_e32 v36, vcc_lo, s3, v36, vcc_lo
	s_delay_alu instid0(VALU_DEP_4) | instskip(SKIP_3) | instid1(VALU_DEP_4)
	v_add_nc_u32_e32 v108, s5, v106
	v_lshlrev_b64 v[41:42], 3, v[51:52]
	v_add_co_u32 v39, vcc_lo, s2, v37
	v_add_co_ci_u32_e32 v40, vcc_lo, s3, v38, vcc_lo
	v_add_nc_u32_e32 v110, s5, v108
	v_lshlrev_b64 v[37:38], 3, v[53:54]
	v_ashrrev_i32_e32 v88, 31, v87
	v_add_co_u32 v41, vcc_lo, s2, v41
	s_delay_alu instid0(VALU_DEP_4)
	v_add_nc_u32_e32 v112, s5, v110
	s_clause 0x3
	global_load_b64 v[79:80], v[17:18], off
	global_load_b64 v[81:82], v[31:32], off
	;; [unrolled: 1-line block ×4, first 2 shown]
	v_add_co_ci_u32_e32 v42, vcc_lo, s3, v42, vcc_lo
	v_add_nc_u32_e32 v114, s5, v112
	v_lshlrev_b64 v[45:46], 3, v[87:88]
	v_ashrrev_i32_e32 v96, 31, v95
	v_ashrrev_i32_e32 v99, 31, v98
	;; [unrolled: 1-line block ×3, first 2 shown]
	v_add_nc_u32_e32 v116, s5, v114
	v_ashrrev_i32_e32 v103, 31, v102
	v_ashrrev_i32_e32 v107, 31, v106
	;; [unrolled: 1-line block ×4, first 2 shown]
	v_add_nc_u32_e32 v118, s5, v116
	v_lshlrev_b64 v[53:54], 3, v[102:103]
	v_ashrrev_i32_e32 v113, 31, v112
	v_ashrrev_i32_e32 v115, 31, v114
	;; [unrolled: 1-line block ×3, first 2 shown]
	v_add_nc_u32_e32 v120, s5, v118
	v_ashrrev_i32_e32 v119, 31, v118
	s_delay_alu instid0(VALU_DEP_2) | instskip(SKIP_1) | instid1(VALU_DEP_2)
	v_add_nc_u32_e32 v122, s5, v120
	v_ashrrev_i32_e32 v121, 31, v120
	v_add_nc_u32_e32 v124, s5, v122
	v_ashrrev_i32_e32 v123, 31, v122
	s_delay_alu instid0(VALU_DEP_2) | instskip(SKIP_1) | instid1(VALU_DEP_2)
	v_add_nc_u32_e32 v126, s5, v124
	v_ashrrev_i32_e32 v125, 31, v124
	;; [unrolled: 5-line block ×7, first 2 shown]
	v_ashrrev_i32_e32 v44, 31, v43
	s_delay_alu instid0(VALU_DEP_1) | instskip(SKIP_2) | instid1(VALU_DEP_3)
	v_lshlrev_b64 v[51:52], 3, v[43:44]
	v_add_co_u32 v43, vcc_lo, s2, v37
	v_add_co_ci_u32_e32 v44, vcc_lo, s3, v38, vcc_lo
	v_add_co_u32 v37, vcc_lo, s2, v51
	s_delay_alu instid0(VALU_DEP_4)
	v_add_co_ci_u32_e32 v38, vcc_lo, s3, v52, vcc_lo
	v_add_co_u32 v45, vcc_lo, s2, v45
	v_add_co_ci_u32_e32 v46, vcc_lo, s3, v46, vcc_lo
	global_load_b64 v[146:147], v[37:38], off
	v_lshlrev_b64 v[51:52], 3, v[100:101]
	s_waitcnt vmcnt(17)
	scratch_store_b128 off, v[47:50], off
	v_lshlrev_b64 v[47:48], 3, v[95:96]
	v_lshlrev_b64 v[49:50], 3, v[98:99]
	s_clause 0x3
	global_load_b64 v[87:88], v[39:40], off
	global_load_b64 v[89:90], v[41:42], off
	;; [unrolled: 1-line block ×4, first 2 shown]
	v_lshlrev_b64 v[95:96], 3, v[114:115]
	s_waitcnt vmcnt(18)
	scratch_store_b128 off, v[59:62], off offset:16
	s_waitcnt vmcnt(17)
	scratch_store_b128 off, v[55:58], off offset:32
	v_add_co_u32 v47, vcc_lo, s2, v47
	v_add_co_ci_u32_e32 v48, vcc_lo, s3, v48, vcc_lo
	v_add_co_u32 v49, vcc_lo, s2, v49
	v_add_co_ci_u32_e32 v50, vcc_lo, s3, v50, vcc_lo
	;; [unrolled: 2-line block ×4, first 2 shown]
	s_clause 0x3
	global_load_b64 v[98:99], v[47:48], off
	global_load_b64 v[100:101], v[49:50], off
	;; [unrolled: 1-line block ×4, first 2 shown]
	v_lshlrev_b64 v[55:56], 3, v[106:107]
	v_lshlrev_b64 v[57:58], 3, v[108:109]
	;; [unrolled: 1-line block ×4, first 2 shown]
	s_waitcnt vmcnt(19)
	scratch_store_b128 off, v[63:66], off offset:48
	s_waitcnt vmcnt(17)
	scratch_store_b128 off, v[67:70], off offset:64
	v_add_co_u32 v55, vcc_lo, s2, v55
	v_add_co_ci_u32_e32 v56, vcc_lo, s3, v56, vcc_lo
	v_add_co_u32 v57, vcc_lo, s2, v57
	v_add_co_ci_u32_e32 v58, vcc_lo, s3, v58, vcc_lo
	;; [unrolled: 2-line block ×3, first 2 shown]
	v_add_co_u32 v61, vcc_lo, s2, v61
	v_lshlrev_b64 v[65:66], 3, v[116:117]
	v_add_co_ci_u32_e32 v62, vcc_lo, s3, v62, vcc_lo
	v_add_co_u32 v63, vcc_lo, s2, v95
	v_lshlrev_b64 v[67:68], 3, v[118:119]
	v_add_co_ci_u32_e32 v64, vcc_lo, s3, v96, vcc_lo
	;; [unrolled: 3-line block ×4, first 2 shown]
	s_clause 0x2
	global_load_b64 v[106:107], v[55:56], off
	global_load_b64 v[108:109], v[57:58], off
	;; [unrolled: 1-line block ×3, first 2 shown]
	s_waitcnt vmcnt(18)
	scratch_store_b128 off, v[71:74], off offset:80
	s_waitcnt vmcnt(16)
	scratch_store_b128 off, v[75:78], off offset:96
	v_add_co_u32 v69, vcc_lo, s2, v69
	v_lshlrev_b64 v[73:74], 3, v[124:125]
	v_add_co_ci_u32_e32 v70, vcc_lo, s3, v70, vcc_lo
	v_add_co_u32 v71, vcc_lo, s2, v95
	v_lshlrev_b64 v[75:76], 3, v[126:127]
	v_add_co_ci_u32_e32 v72, vcc_lo, s3, v96, vcc_lo
	;; [unrolled: 3-line block ×4, first 2 shown]
	s_clause 0x3
	global_load_b64 v[112:113], v[61:62], off
	global_load_b64 v[114:115], v[63:64], off
	global_load_b64 v[116:117], v[65:66], off
	global_load_b64 v[118:119], v[67:68], off
	s_waitcnt vmcnt(18)
	scratch_store_b128 off, v[79:82], off offset:112
	s_waitcnt vmcnt(16)
	scratch_store_b128 off, v[83:86], off offset:128
	v_add_co_u32 v77, vcc_lo, s2, v77
	v_lshlrev_b64 v[81:82], 3, v[132:133]
	v_add_co_ci_u32_e32 v78, vcc_lo, s3, v78, vcc_lo
	v_add_co_u32 v79, vcc_lo, s2, v95
	v_lshlrev_b64 v[83:84], 3, v[134:135]
	v_add_co_ci_u32_e32 v80, vcc_lo, s3, v96, vcc_lo
	;; [unrolled: 3-line block ×4, first 2 shown]
	s_clause 0x3
	global_load_b64 v[120:121], v[69:70], off
	global_load_b64 v[122:123], v[71:72], off
	;; [unrolled: 1-line block ×4, first 2 shown]
	v_add_co_u32 v85, vcc_lo, s2, v85
	v_add_co_ci_u32_e32 v86, vcc_lo, s3, v86, vcc_lo
	s_waitcnt vmcnt(17)
	scratch_store_b128 off, v[87:90], off offset:144
	s_waitcnt vmcnt(15)
	scratch_store_b128 off, v[91:94], off offset:160
	v_lshlrev_b64 v[89:90], 3, v[140:141]
	v_add_co_u32 v87, vcc_lo, s2, v95
	v_lshlrev_b64 v[91:92], 3, v[142:143]
	v_add_co_ci_u32_e32 v88, vcc_lo, s3, v96, vcc_lo
	s_delay_alu instid0(VALU_DEP_4) | instskip(SKIP_4) | instid1(VALU_DEP_4)
	v_add_co_u32 v89, vcc_lo, s2, v89
	v_lshlrev_b64 v[93:94], 3, v[144:145]
	v_add_co_ci_u32_e32 v90, vcc_lo, s3, v90, vcc_lo
	v_add_co_u32 v91, vcc_lo, s2, v91
	v_add_co_ci_u32_e32 v92, vcc_lo, s3, v92, vcc_lo
	v_add_co_u32 v93, vcc_lo, s2, v93
	s_clause 0x3
	global_load_b64 v[128:129], v[77:78], off
	global_load_b64 v[130:131], v[79:80], off
	global_load_b64 v[132:133], v[81:82], off
	global_load_b64 v[134:135], v[83:84], off
	v_add_co_ci_u32_e32 v94, vcc_lo, s3, v94, vcc_lo
	s_waitcnt vmcnt(17)
	scratch_store_b128 off, v[98:101], off offset:176
	s_waitcnt vmcnt(15)
	scratch_store_b128 off, v[102:105], off offset:192
	s_clause 0x4
	global_load_b64 v[136:137], v[85:86], off
	global_load_b64 v[98:99], v[87:88], off
	global_load_b64 v[100:101], v[89:90], off
	global_load_b64 v[102:103], v[91:92], off
	global_load_b64 v[104:105], v[93:94], off
	v_mov_b32_e32 v95, 0
	v_mov_b32_e32 v96, 0xbff00000
	s_cselect_b32 s3, -1, 0
	s_cmpk_eq_i32 s1, 0x84
	s_waitcnt vmcnt(18)
	scratch_store_b128 off, v[106:109], off offset:208
	s_waitcnt vmcnt(16)
	scratch_store_b128 off, v[110:113], off offset:224
	;; [unrolled: 2-line block ×9, first 2 shown]
	s_waitcnt vmcnt(0)
	s_clause 0x1
	scratch_store_b128 off, v[102:105], off offset:352
	scratch_store_b64 off, v[146:147], off offset:368
	s_cbranch_scc1 .LBB110_3
; %bb.2:
	scratch_load_b64 v[95:96], v97, off
	s_waitcnt vmcnt(0)
	v_div_scale_f64 v[98:99], null, v[95:96], v[95:96], 1.0
	v_div_scale_f64 v[104:105], vcc_lo, 1.0, v[95:96], 1.0
	s_delay_alu instid0(VALU_DEP_2) | instskip(SKIP_2) | instid1(VALU_DEP_1)
	v_rcp_f64_e32 v[100:101], v[98:99]
	s_waitcnt_depctr 0xfff
	v_fma_f64 v[102:103], -v[98:99], v[100:101], 1.0
	v_fma_f64 v[100:101], v[100:101], v[102:103], v[100:101]
	s_delay_alu instid0(VALU_DEP_1) | instskip(NEXT) | instid1(VALU_DEP_1)
	v_fma_f64 v[102:103], -v[98:99], v[100:101], 1.0
	v_fma_f64 v[100:101], v[100:101], v[102:103], v[100:101]
	s_delay_alu instid0(VALU_DEP_1) | instskip(NEXT) | instid1(VALU_DEP_1)
	v_mul_f64 v[102:103], v[104:105], v[100:101]
	v_fma_f64 v[98:99], -v[98:99], v[102:103], v[104:105]
	s_delay_alu instid0(VALU_DEP_1) | instskip(NEXT) | instid1(VALU_DEP_1)
	v_div_fmas_f64 v[98:99], v[98:99], v[100:101], v[102:103]
	v_div_fixup_f64 v[95:96], v[98:99], v[95:96], 1.0
	scratch_store_b64 v97, v[95:96], off
	v_xor_b32_e32 v96, 0x80000000, v96
.LBB110_3:
	v_add_nc_u32_e32 v98, 0x180, v97
	v_add_nc_u32_e32 v99, 0, v97
	s_cmpk_eq_i32 s0, 0x79
	s_mov_b32 s0, -1
	ds_store_b64 v97, v[95:96]
	s_cbranch_scc1 .LBB110_459
; %bb.4:
	scratch_load_b64 v[95:96], off, off offset:360
	v_cmp_eq_u32_e64 s0, 46, v0
	s_movk_i32 s1, 0x50
	s_movk_i32 s2, 0x60
	;; [unrolled: 1-line block ×18, first 2 shown]
	s_waitcnt vmcnt(0)
	ds_store_b64 v98, v[95:96]
	s_waitcnt lgkmcnt(0)
	s_waitcnt_vscnt null, 0x0
	s_barrier
	buffer_gl0_inv
	s_and_saveexec_b32 s20, s0
	s_cbranch_execz .LBB110_10
; %bb.5:
	s_and_b32 vcc_lo, exec_lo, s3
	s_cbranch_vccz .LBB110_7
; %bb.6:
	scratch_load_b64 v[95:96], v99, off
	ds_load_b64 v[100:101], v98
	s_waitcnt vmcnt(0) lgkmcnt(0)
	v_mul_f64 v[95:96], v[95:96], v[100:101]
	s_cbranch_execz .LBB110_8
	s_branch .LBB110_9
.LBB110_7:
                                        ; implicit-def: $vgpr95_vgpr96
.LBB110_8:
	ds_load_b64 v[95:96], v98
.LBB110_9:
	v_mov_b32_e32 v100, 0
	ds_load_b64 v[100:101], v100 offset:360
	s_waitcnt lgkmcnt(0)
	v_mul_f64 v[95:96], v[95:96], v[100:101]
	scratch_store_b64 off, v[95:96], off offset:360
.LBB110_10:
	s_or_b32 exec_lo, exec_lo, s20
	scratch_load_b64 v[95:96], off, off offset:352
	v_add_nc_u32_e64 v100, 0, 16
	v_add_nc_u32_e64 v101, 0, 32
	;; [unrolled: 1-line block ×22, first 2 shown]
	v_cmp_lt_u32_e64 s2, 44, v0
	s_waitcnt vmcnt(0)
	ds_store_b64 v98, v[95:96]
	s_waitcnt lgkmcnt(0)
	s_waitcnt_vscnt null, 0x0
	s_barrier
	buffer_gl0_inv
	s_and_saveexec_b32 s1, s2
	s_cbranch_execz .LBB110_18
; %bb.11:
	s_and_not1_b32 vcc_lo, exec_lo, s3
	s_cbranch_vccnz .LBB110_13
; %bb.12:
	scratch_load_b64 v[95:96], v99, off
	ds_load_b64 v[122:123], v98
	s_waitcnt vmcnt(0) lgkmcnt(0)
	v_mul_f64 v[95:96], v[95:96], v[122:123]
	s_cbranch_execz .LBB110_14
	s_branch .LBB110_15
.LBB110_13:
                                        ; implicit-def: $vgpr95_vgpr96
.LBB110_14:
	ds_load_b64 v[95:96], v98
.LBB110_15:
	s_and_saveexec_b32 s4, s0
	s_cbranch_execz .LBB110_17
; %bb.16:
	scratch_load_b64 v[122:123], off, off offset:360
	v_mov_b32_e32 v124, 0
	ds_load_b64 v[124:125], v124 offset:744
	s_waitcnt vmcnt(0) lgkmcnt(0)
	v_fma_f64 v[95:96], v[122:123], v[124:125], v[95:96]
.LBB110_17:
	s_or_b32 exec_lo, exec_lo, s4
	v_mov_b32_e32 v122, 0
	ds_load_b64 v[122:123], v122 offset:352
	s_waitcnt lgkmcnt(0)
	v_mul_f64 v[95:96], v[95:96], v[122:123]
	scratch_store_b64 off, v[95:96], off offset:352
.LBB110_18:
	s_or_b32 exec_lo, exec_lo, s1
	scratch_load_b64 v[95:96], off, off offset:344
	v_cmp_lt_u32_e64 s1, 43, v0
	s_waitcnt vmcnt(0)
	ds_store_b64 v98, v[95:96]
	s_waitcnt lgkmcnt(0)
	s_waitcnt_vscnt null, 0x0
	s_barrier
	buffer_gl0_inv
	s_and_saveexec_b32 s0, s1
	s_cbranch_execz .LBB110_28
; %bb.19:
	s_and_not1_b32 vcc_lo, exec_lo, s3
	s_cbranch_vccnz .LBB110_21
; %bb.20:
	scratch_load_b64 v[95:96], v99, off
	ds_load_b64 v[122:123], v98
	s_waitcnt vmcnt(0) lgkmcnt(0)
	v_mul_f64 v[95:96], v[95:96], v[122:123]
	s_cbranch_execz .LBB110_22
	s_branch .LBB110_23
.LBB110_21:
                                        ; implicit-def: $vgpr95_vgpr96
.LBB110_22:
	ds_load_b64 v[95:96], v98
.LBB110_23:
	s_and_saveexec_b32 s4, s2
	s_cbranch_execz .LBB110_27
; %bb.24:
	v_subrev_nc_u32_e32 v122, 44, v0
	s_movk_i32 s5, 0x2e0
	s_mov_b32 s2, 0
.LBB110_25:                             ; =>This Inner Loop Header: Depth=1
	scratch_load_b64 v[123:124], v121, off
	v_dual_mov_b32 v125, s5 :: v_dual_add_nc_u32 v122, -1, v122
	v_add_nc_u32_e32 v121, 8, v121
	s_add_i32 s5, s5, 8
	ds_load_b64 v[125:126], v125
	v_cmp_eq_u32_e32 vcc_lo, 0, v122
	s_or_b32 s2, vcc_lo, s2
	s_waitcnt vmcnt(0) lgkmcnt(0)
	v_fma_f64 v[95:96], v[123:124], v[125:126], v[95:96]
	s_and_not1_b32 exec_lo, exec_lo, s2
	s_cbranch_execnz .LBB110_25
; %bb.26:
	s_or_b32 exec_lo, exec_lo, s2
.LBB110_27:
	s_delay_alu instid0(SALU_CYCLE_1)
	s_or_b32 exec_lo, exec_lo, s4
	v_mov_b32_e32 v121, 0
	ds_load_b64 v[121:122], v121 offset:344
	s_waitcnt lgkmcnt(0)
	v_mul_f64 v[95:96], v[95:96], v[121:122]
	scratch_store_b64 off, v[95:96], off offset:344
.LBB110_28:
	s_or_b32 exec_lo, exec_lo, s0
	scratch_load_b64 v[95:96], off, off offset:336
	v_cmp_lt_u32_e64 s0, 42, v0
	s_waitcnt vmcnt(0)
	ds_store_b64 v98, v[95:96]
	s_waitcnt lgkmcnt(0)
	s_waitcnt_vscnt null, 0x0
	s_barrier
	buffer_gl0_inv
	s_and_saveexec_b32 s2, s0
	s_cbranch_execz .LBB110_38
; %bb.29:
	s_and_not1_b32 vcc_lo, exec_lo, s3
	s_cbranch_vccnz .LBB110_31
; %bb.30:
	scratch_load_b64 v[95:96], v99, off
	ds_load_b64 v[121:122], v98
	s_waitcnt vmcnt(0) lgkmcnt(0)
	v_mul_f64 v[95:96], v[95:96], v[121:122]
	s_cbranch_execz .LBB110_32
	s_branch .LBB110_33
.LBB110_31:
                                        ; implicit-def: $vgpr95_vgpr96
.LBB110_32:
	ds_load_b64 v[95:96], v98
.LBB110_33:
	s_and_saveexec_b32 s4, s1
	s_cbranch_execz .LBB110_37
; %bb.34:
	v_mov_b32_e32 v121, 0
	v_subrev_nc_u32_e32 v122, 43, v0
	s_movk_i32 s5, 0x2d8
	s_mov_b32 s1, 0
	s_delay_alu instid0(VALU_DEP_2)
	v_add_nc_u32_e32 v121, 0x158, v121
.LBB110_35:                             ; =>This Inner Loop Header: Depth=1
	scratch_load_b64 v[123:124], v121, off
	v_dual_mov_b32 v125, s5 :: v_dual_add_nc_u32 v122, -1, v122
	v_add_nc_u32_e32 v121, 8, v121
	s_add_i32 s5, s5, 8
	ds_load_b64 v[125:126], v125
	v_cmp_eq_u32_e32 vcc_lo, 0, v122
	s_or_b32 s1, vcc_lo, s1
	s_waitcnt vmcnt(0) lgkmcnt(0)
	v_fma_f64 v[95:96], v[123:124], v[125:126], v[95:96]
	s_and_not1_b32 exec_lo, exec_lo, s1
	s_cbranch_execnz .LBB110_35
; %bb.36:
	s_or_b32 exec_lo, exec_lo, s1
.LBB110_37:
	s_delay_alu instid0(SALU_CYCLE_1)
	s_or_b32 exec_lo, exec_lo, s4
	v_mov_b32_e32 v121, 0
	ds_load_b64 v[121:122], v121 offset:336
	s_waitcnt lgkmcnt(0)
	v_mul_f64 v[95:96], v[95:96], v[121:122]
	scratch_store_b64 off, v[95:96], off offset:336
.LBB110_38:
	s_or_b32 exec_lo, exec_lo, s2
	scratch_load_b64 v[95:96], off, off offset:328
	v_cmp_lt_u32_e64 s1, 41, v0
	s_waitcnt vmcnt(0)
	ds_store_b64 v98, v[95:96]
	s_waitcnt lgkmcnt(0)
	s_waitcnt_vscnt null, 0x0
	s_barrier
	buffer_gl0_inv
	s_and_saveexec_b32 s2, s1
	s_cbranch_execz .LBB110_48
; %bb.39:
	s_and_not1_b32 vcc_lo, exec_lo, s3
	s_cbranch_vccnz .LBB110_41
; %bb.40:
	scratch_load_b64 v[95:96], v99, off
	ds_load_b64 v[121:122], v98
	s_waitcnt vmcnt(0) lgkmcnt(0)
	v_mul_f64 v[95:96], v[95:96], v[121:122]
	s_cbranch_execz .LBB110_42
	s_branch .LBB110_43
.LBB110_41:
                                        ; implicit-def: $vgpr95_vgpr96
.LBB110_42:
	ds_load_b64 v[95:96], v98
.LBB110_43:
	s_and_saveexec_b32 s4, s0
	s_cbranch_execz .LBB110_47
; %bb.44:
	v_subrev_nc_u32_e32 v121, 42, v0
	s_movk_i32 s5, 0x2d0
	s_mov_b32 s0, 0
.LBB110_45:                             ; =>This Inner Loop Header: Depth=1
	scratch_load_b64 v[122:123], v120, off
	v_dual_mov_b32 v124, s5 :: v_dual_add_nc_u32 v121, -1, v121
	v_add_nc_u32_e32 v120, 8, v120
	s_add_i32 s5, s5, 8
	ds_load_b64 v[124:125], v124
	v_cmp_eq_u32_e32 vcc_lo, 0, v121
	s_or_b32 s0, vcc_lo, s0
	s_waitcnt vmcnt(0) lgkmcnt(0)
	v_fma_f64 v[95:96], v[122:123], v[124:125], v[95:96]
	s_and_not1_b32 exec_lo, exec_lo, s0
	s_cbranch_execnz .LBB110_45
; %bb.46:
	s_or_b32 exec_lo, exec_lo, s0
.LBB110_47:
	s_delay_alu instid0(SALU_CYCLE_1)
	s_or_b32 exec_lo, exec_lo, s4
	v_mov_b32_e32 v120, 0
	ds_load_b64 v[120:121], v120 offset:328
	s_waitcnt lgkmcnt(0)
	v_mul_f64 v[95:96], v[95:96], v[120:121]
	scratch_store_b64 off, v[95:96], off offset:328
.LBB110_48:
	s_or_b32 exec_lo, exec_lo, s2
	scratch_load_b64 v[95:96], off, off offset:320
	v_cmp_lt_u32_e64 s0, 40, v0
	s_waitcnt vmcnt(0)
	ds_store_b64 v98, v[95:96]
	s_waitcnt lgkmcnt(0)
	s_waitcnt_vscnt null, 0x0
	s_barrier
	buffer_gl0_inv
	s_and_saveexec_b32 s2, s0
	s_cbranch_execz .LBB110_58
; %bb.49:
	s_and_not1_b32 vcc_lo, exec_lo, s3
	s_cbranch_vccnz .LBB110_51
; %bb.50:
	scratch_load_b64 v[95:96], v99, off
	ds_load_b64 v[120:121], v98
	s_waitcnt vmcnt(0) lgkmcnt(0)
	v_mul_f64 v[95:96], v[95:96], v[120:121]
	s_cbranch_execz .LBB110_52
	s_branch .LBB110_53
.LBB110_51:
                                        ; implicit-def: $vgpr95_vgpr96
.LBB110_52:
	ds_load_b64 v[95:96], v98
.LBB110_53:
	s_and_saveexec_b32 s4, s1
	s_cbranch_execz .LBB110_57
; %bb.54:
	v_mov_b32_e32 v120, 0
	v_subrev_nc_u32_e32 v121, 41, v0
	s_movk_i32 s5, 0x2c8
	s_mov_b32 s1, 0
	s_delay_alu instid0(VALU_DEP_2)
	v_add_nc_u32_e32 v120, 0x148, v120
.LBB110_55:                             ; =>This Inner Loop Header: Depth=1
	scratch_load_b64 v[122:123], v120, off
	v_dual_mov_b32 v124, s5 :: v_dual_add_nc_u32 v121, -1, v121
	v_add_nc_u32_e32 v120, 8, v120
	s_add_i32 s5, s5, 8
	ds_load_b64 v[124:125], v124
	v_cmp_eq_u32_e32 vcc_lo, 0, v121
	s_or_b32 s1, vcc_lo, s1
	s_waitcnt vmcnt(0) lgkmcnt(0)
	v_fma_f64 v[95:96], v[122:123], v[124:125], v[95:96]
	s_and_not1_b32 exec_lo, exec_lo, s1
	s_cbranch_execnz .LBB110_55
; %bb.56:
	s_or_b32 exec_lo, exec_lo, s1
.LBB110_57:
	s_delay_alu instid0(SALU_CYCLE_1)
	s_or_b32 exec_lo, exec_lo, s4
	v_mov_b32_e32 v120, 0
	ds_load_b64 v[120:121], v120 offset:320
	s_waitcnt lgkmcnt(0)
	v_mul_f64 v[95:96], v[95:96], v[120:121]
	scratch_store_b64 off, v[95:96], off offset:320
.LBB110_58:
	s_or_b32 exec_lo, exec_lo, s2
	scratch_load_b64 v[95:96], off, off offset:312
	v_cmp_lt_u32_e64 s1, 39, v0
	s_waitcnt vmcnt(0)
	ds_store_b64 v98, v[95:96]
	s_waitcnt lgkmcnt(0)
	s_waitcnt_vscnt null, 0x0
	s_barrier
	buffer_gl0_inv
	s_and_saveexec_b32 s2, s1
	s_cbranch_execz .LBB110_68
; %bb.59:
	s_and_not1_b32 vcc_lo, exec_lo, s3
	s_cbranch_vccnz .LBB110_61
; %bb.60:
	scratch_load_b64 v[95:96], v99, off
	ds_load_b64 v[120:121], v98
	s_waitcnt vmcnt(0) lgkmcnt(0)
	v_mul_f64 v[95:96], v[95:96], v[120:121]
	s_cbranch_execz .LBB110_62
	s_branch .LBB110_63
.LBB110_61:
                                        ; implicit-def: $vgpr95_vgpr96
.LBB110_62:
	ds_load_b64 v[95:96], v98
.LBB110_63:
	s_and_saveexec_b32 s4, s0
	s_cbranch_execz .LBB110_67
; %bb.64:
	v_subrev_nc_u32_e32 v120, 40, v0
	s_movk_i32 s5, 0x2c0
	s_mov_b32 s0, 0
.LBB110_65:                             ; =>This Inner Loop Header: Depth=1
	scratch_load_b64 v[121:122], v119, off
	v_dual_mov_b32 v123, s5 :: v_dual_add_nc_u32 v120, -1, v120
	v_add_nc_u32_e32 v119, 8, v119
	s_add_i32 s5, s5, 8
	ds_load_b64 v[123:124], v123
	v_cmp_eq_u32_e32 vcc_lo, 0, v120
	s_or_b32 s0, vcc_lo, s0
	s_waitcnt vmcnt(0) lgkmcnt(0)
	v_fma_f64 v[95:96], v[121:122], v[123:124], v[95:96]
	s_and_not1_b32 exec_lo, exec_lo, s0
	s_cbranch_execnz .LBB110_65
; %bb.66:
	s_or_b32 exec_lo, exec_lo, s0
.LBB110_67:
	s_delay_alu instid0(SALU_CYCLE_1)
	s_or_b32 exec_lo, exec_lo, s4
	v_mov_b32_e32 v119, 0
	ds_load_b64 v[119:120], v119 offset:312
	s_waitcnt lgkmcnt(0)
	v_mul_f64 v[95:96], v[95:96], v[119:120]
	scratch_store_b64 off, v[95:96], off offset:312
.LBB110_68:
	s_or_b32 exec_lo, exec_lo, s2
	scratch_load_b64 v[95:96], off, off offset:304
	v_cmp_lt_u32_e64 s0, 38, v0
	s_waitcnt vmcnt(0)
	ds_store_b64 v98, v[95:96]
	s_waitcnt lgkmcnt(0)
	s_waitcnt_vscnt null, 0x0
	s_barrier
	buffer_gl0_inv
	s_and_saveexec_b32 s2, s0
	s_cbranch_execz .LBB110_78
; %bb.69:
	s_and_not1_b32 vcc_lo, exec_lo, s3
	s_cbranch_vccnz .LBB110_71
; %bb.70:
	scratch_load_b64 v[95:96], v99, off
	ds_load_b64 v[119:120], v98
	s_waitcnt vmcnt(0) lgkmcnt(0)
	v_mul_f64 v[95:96], v[95:96], v[119:120]
	s_cbranch_execz .LBB110_72
	s_branch .LBB110_73
.LBB110_71:
                                        ; implicit-def: $vgpr95_vgpr96
.LBB110_72:
	ds_load_b64 v[95:96], v98
.LBB110_73:
	s_and_saveexec_b32 s4, s1
	s_cbranch_execz .LBB110_77
; %bb.74:
	v_mov_b32_e32 v119, 0
	v_subrev_nc_u32_e32 v120, 39, v0
	s_movk_i32 s5, 0x2b8
	s_mov_b32 s1, 0
	s_delay_alu instid0(VALU_DEP_2)
	v_add_nc_u32_e32 v119, 0x138, v119
.LBB110_75:                             ; =>This Inner Loop Header: Depth=1
	scratch_load_b64 v[121:122], v119, off
	v_dual_mov_b32 v123, s5 :: v_dual_add_nc_u32 v120, -1, v120
	v_add_nc_u32_e32 v119, 8, v119
	s_add_i32 s5, s5, 8
	ds_load_b64 v[123:124], v123
	v_cmp_eq_u32_e32 vcc_lo, 0, v120
	s_or_b32 s1, vcc_lo, s1
	s_waitcnt vmcnt(0) lgkmcnt(0)
	v_fma_f64 v[95:96], v[121:122], v[123:124], v[95:96]
	s_and_not1_b32 exec_lo, exec_lo, s1
	s_cbranch_execnz .LBB110_75
; %bb.76:
	s_or_b32 exec_lo, exec_lo, s1
.LBB110_77:
	s_delay_alu instid0(SALU_CYCLE_1)
	s_or_b32 exec_lo, exec_lo, s4
	v_mov_b32_e32 v119, 0
	ds_load_b64 v[119:120], v119 offset:304
	s_waitcnt lgkmcnt(0)
	v_mul_f64 v[95:96], v[95:96], v[119:120]
	scratch_store_b64 off, v[95:96], off offset:304
.LBB110_78:
	s_or_b32 exec_lo, exec_lo, s2
	scratch_load_b64 v[95:96], off, off offset:296
	v_cmp_lt_u32_e64 s1, 37, v0
	s_waitcnt vmcnt(0)
	ds_store_b64 v98, v[95:96]
	s_waitcnt lgkmcnt(0)
	s_waitcnt_vscnt null, 0x0
	s_barrier
	buffer_gl0_inv
	s_and_saveexec_b32 s2, s1
	s_cbranch_execz .LBB110_88
; %bb.79:
	s_and_not1_b32 vcc_lo, exec_lo, s3
	s_cbranch_vccnz .LBB110_81
; %bb.80:
	scratch_load_b64 v[95:96], v99, off
	ds_load_b64 v[119:120], v98
	s_waitcnt vmcnt(0) lgkmcnt(0)
	v_mul_f64 v[95:96], v[95:96], v[119:120]
	s_cbranch_execz .LBB110_82
	s_branch .LBB110_83
.LBB110_81:
                                        ; implicit-def: $vgpr95_vgpr96
.LBB110_82:
	ds_load_b64 v[95:96], v98
.LBB110_83:
	s_and_saveexec_b32 s4, s0
	s_cbranch_execz .LBB110_87
; %bb.84:
	v_subrev_nc_u32_e32 v119, 38, v0
	s_movk_i32 s5, 0x2b0
	s_mov_b32 s0, 0
.LBB110_85:                             ; =>This Inner Loop Header: Depth=1
	scratch_load_b64 v[120:121], v118, off
	v_dual_mov_b32 v122, s5 :: v_dual_add_nc_u32 v119, -1, v119
	v_add_nc_u32_e32 v118, 8, v118
	s_add_i32 s5, s5, 8
	ds_load_b64 v[122:123], v122
	v_cmp_eq_u32_e32 vcc_lo, 0, v119
	s_or_b32 s0, vcc_lo, s0
	s_waitcnt vmcnt(0) lgkmcnt(0)
	v_fma_f64 v[95:96], v[120:121], v[122:123], v[95:96]
	s_and_not1_b32 exec_lo, exec_lo, s0
	s_cbranch_execnz .LBB110_85
; %bb.86:
	s_or_b32 exec_lo, exec_lo, s0
.LBB110_87:
	s_delay_alu instid0(SALU_CYCLE_1)
	s_or_b32 exec_lo, exec_lo, s4
	v_mov_b32_e32 v118, 0
	ds_load_b64 v[118:119], v118 offset:296
	s_waitcnt lgkmcnt(0)
	v_mul_f64 v[95:96], v[95:96], v[118:119]
	scratch_store_b64 off, v[95:96], off offset:296
.LBB110_88:
	s_or_b32 exec_lo, exec_lo, s2
	scratch_load_b64 v[95:96], off, off offset:288
	v_cmp_lt_u32_e64 s0, 36, v0
	s_waitcnt vmcnt(0)
	ds_store_b64 v98, v[95:96]
	s_waitcnt lgkmcnt(0)
	s_waitcnt_vscnt null, 0x0
	s_barrier
	buffer_gl0_inv
	s_and_saveexec_b32 s2, s0
	s_cbranch_execz .LBB110_98
; %bb.89:
	s_and_not1_b32 vcc_lo, exec_lo, s3
	s_cbranch_vccnz .LBB110_91
; %bb.90:
	scratch_load_b64 v[95:96], v99, off
	ds_load_b64 v[118:119], v98
	s_waitcnt vmcnt(0) lgkmcnt(0)
	v_mul_f64 v[95:96], v[95:96], v[118:119]
	s_cbranch_execz .LBB110_92
	s_branch .LBB110_93
.LBB110_91:
                                        ; implicit-def: $vgpr95_vgpr96
.LBB110_92:
	ds_load_b64 v[95:96], v98
.LBB110_93:
	s_and_saveexec_b32 s4, s1
	s_cbranch_execz .LBB110_97
; %bb.94:
	v_mov_b32_e32 v118, 0
	v_subrev_nc_u32_e32 v119, 37, v0
	s_movk_i32 s5, 0x2a8
	s_mov_b32 s1, 0
	s_delay_alu instid0(VALU_DEP_2)
	v_add_nc_u32_e32 v118, 0x128, v118
.LBB110_95:                             ; =>This Inner Loop Header: Depth=1
	scratch_load_b64 v[120:121], v118, off
	v_dual_mov_b32 v122, s5 :: v_dual_add_nc_u32 v119, -1, v119
	v_add_nc_u32_e32 v118, 8, v118
	s_add_i32 s5, s5, 8
	ds_load_b64 v[122:123], v122
	v_cmp_eq_u32_e32 vcc_lo, 0, v119
	s_or_b32 s1, vcc_lo, s1
	s_waitcnt vmcnt(0) lgkmcnt(0)
	v_fma_f64 v[95:96], v[120:121], v[122:123], v[95:96]
	s_and_not1_b32 exec_lo, exec_lo, s1
	s_cbranch_execnz .LBB110_95
; %bb.96:
	s_or_b32 exec_lo, exec_lo, s1
.LBB110_97:
	s_delay_alu instid0(SALU_CYCLE_1)
	s_or_b32 exec_lo, exec_lo, s4
	v_mov_b32_e32 v118, 0
	ds_load_b64 v[118:119], v118 offset:288
	s_waitcnt lgkmcnt(0)
	v_mul_f64 v[95:96], v[95:96], v[118:119]
	scratch_store_b64 off, v[95:96], off offset:288
.LBB110_98:
	s_or_b32 exec_lo, exec_lo, s2
	scratch_load_b64 v[95:96], off, off offset:280
	v_cmp_lt_u32_e64 s1, 35, v0
	s_waitcnt vmcnt(0)
	ds_store_b64 v98, v[95:96]
	s_waitcnt lgkmcnt(0)
	s_waitcnt_vscnt null, 0x0
	s_barrier
	buffer_gl0_inv
	s_and_saveexec_b32 s2, s1
	s_cbranch_execz .LBB110_108
; %bb.99:
	s_and_not1_b32 vcc_lo, exec_lo, s3
	s_cbranch_vccnz .LBB110_101
; %bb.100:
	scratch_load_b64 v[95:96], v99, off
	ds_load_b64 v[118:119], v98
	s_waitcnt vmcnt(0) lgkmcnt(0)
	v_mul_f64 v[95:96], v[95:96], v[118:119]
	s_cbranch_execz .LBB110_102
	s_branch .LBB110_103
.LBB110_101:
                                        ; implicit-def: $vgpr95_vgpr96
.LBB110_102:
	ds_load_b64 v[95:96], v98
.LBB110_103:
	s_and_saveexec_b32 s4, s0
	s_cbranch_execz .LBB110_107
; %bb.104:
	v_subrev_nc_u32_e32 v118, 36, v0
	s_movk_i32 s5, 0x2a0
	s_mov_b32 s0, 0
.LBB110_105:                            ; =>This Inner Loop Header: Depth=1
	scratch_load_b64 v[119:120], v117, off
	v_dual_mov_b32 v121, s5 :: v_dual_add_nc_u32 v118, -1, v118
	v_add_nc_u32_e32 v117, 8, v117
	s_add_i32 s5, s5, 8
	ds_load_b64 v[121:122], v121
	v_cmp_eq_u32_e32 vcc_lo, 0, v118
	s_or_b32 s0, vcc_lo, s0
	s_waitcnt vmcnt(0) lgkmcnt(0)
	v_fma_f64 v[95:96], v[119:120], v[121:122], v[95:96]
	s_and_not1_b32 exec_lo, exec_lo, s0
	s_cbranch_execnz .LBB110_105
; %bb.106:
	s_or_b32 exec_lo, exec_lo, s0
.LBB110_107:
	s_delay_alu instid0(SALU_CYCLE_1)
	s_or_b32 exec_lo, exec_lo, s4
	v_mov_b32_e32 v117, 0
	ds_load_b64 v[117:118], v117 offset:280
	s_waitcnt lgkmcnt(0)
	v_mul_f64 v[95:96], v[95:96], v[117:118]
	scratch_store_b64 off, v[95:96], off offset:280
.LBB110_108:
	s_or_b32 exec_lo, exec_lo, s2
	scratch_load_b64 v[95:96], off, off offset:272
	v_cmp_lt_u32_e64 s0, 34, v0
	s_waitcnt vmcnt(0)
	ds_store_b64 v98, v[95:96]
	s_waitcnt lgkmcnt(0)
	s_waitcnt_vscnt null, 0x0
	s_barrier
	buffer_gl0_inv
	s_and_saveexec_b32 s2, s0
	s_cbranch_execz .LBB110_118
; %bb.109:
	s_and_not1_b32 vcc_lo, exec_lo, s3
	s_cbranch_vccnz .LBB110_111
; %bb.110:
	scratch_load_b64 v[95:96], v99, off
	ds_load_b64 v[117:118], v98
	s_waitcnt vmcnt(0) lgkmcnt(0)
	v_mul_f64 v[95:96], v[95:96], v[117:118]
	s_cbranch_execz .LBB110_112
	s_branch .LBB110_113
.LBB110_111:
                                        ; implicit-def: $vgpr95_vgpr96
.LBB110_112:
	ds_load_b64 v[95:96], v98
.LBB110_113:
	s_and_saveexec_b32 s4, s1
	s_cbranch_execz .LBB110_117
; %bb.114:
	v_mov_b32_e32 v117, 0
	v_subrev_nc_u32_e32 v118, 35, v0
	s_movk_i32 s5, 0x298
	s_mov_b32 s1, 0
	s_delay_alu instid0(VALU_DEP_2)
	v_add_nc_u32_e32 v117, 0x118, v117
.LBB110_115:                            ; =>This Inner Loop Header: Depth=1
	scratch_load_b64 v[119:120], v117, off
	v_dual_mov_b32 v121, s5 :: v_dual_add_nc_u32 v118, -1, v118
	v_add_nc_u32_e32 v117, 8, v117
	s_add_i32 s5, s5, 8
	ds_load_b64 v[121:122], v121
	v_cmp_eq_u32_e32 vcc_lo, 0, v118
	s_or_b32 s1, vcc_lo, s1
	s_waitcnt vmcnt(0) lgkmcnt(0)
	v_fma_f64 v[95:96], v[119:120], v[121:122], v[95:96]
	s_and_not1_b32 exec_lo, exec_lo, s1
	s_cbranch_execnz .LBB110_115
; %bb.116:
	s_or_b32 exec_lo, exec_lo, s1
.LBB110_117:
	s_delay_alu instid0(SALU_CYCLE_1)
	s_or_b32 exec_lo, exec_lo, s4
	v_mov_b32_e32 v117, 0
	ds_load_b64 v[117:118], v117 offset:272
	s_waitcnt lgkmcnt(0)
	v_mul_f64 v[95:96], v[95:96], v[117:118]
	scratch_store_b64 off, v[95:96], off offset:272
.LBB110_118:
	s_or_b32 exec_lo, exec_lo, s2
	scratch_load_b64 v[95:96], off, off offset:264
	v_cmp_lt_u32_e64 s1, 33, v0
	s_waitcnt vmcnt(0)
	ds_store_b64 v98, v[95:96]
	s_waitcnt lgkmcnt(0)
	s_waitcnt_vscnt null, 0x0
	s_barrier
	buffer_gl0_inv
	s_and_saveexec_b32 s2, s1
	s_cbranch_execz .LBB110_128
; %bb.119:
	s_and_not1_b32 vcc_lo, exec_lo, s3
	s_cbranch_vccnz .LBB110_121
; %bb.120:
	scratch_load_b64 v[95:96], v99, off
	ds_load_b64 v[117:118], v98
	s_waitcnt vmcnt(0) lgkmcnt(0)
	v_mul_f64 v[95:96], v[95:96], v[117:118]
	s_cbranch_execz .LBB110_122
	s_branch .LBB110_123
.LBB110_121:
                                        ; implicit-def: $vgpr95_vgpr96
.LBB110_122:
	ds_load_b64 v[95:96], v98
.LBB110_123:
	s_and_saveexec_b32 s4, s0
	s_cbranch_execz .LBB110_127
; %bb.124:
	v_subrev_nc_u32_e32 v117, 34, v0
	s_movk_i32 s5, 0x290
	s_mov_b32 s0, 0
.LBB110_125:                            ; =>This Inner Loop Header: Depth=1
	scratch_load_b64 v[118:119], v116, off
	v_dual_mov_b32 v120, s5 :: v_dual_add_nc_u32 v117, -1, v117
	v_add_nc_u32_e32 v116, 8, v116
	s_add_i32 s5, s5, 8
	ds_load_b64 v[120:121], v120
	v_cmp_eq_u32_e32 vcc_lo, 0, v117
	s_or_b32 s0, vcc_lo, s0
	s_waitcnt vmcnt(0) lgkmcnt(0)
	v_fma_f64 v[95:96], v[118:119], v[120:121], v[95:96]
	s_and_not1_b32 exec_lo, exec_lo, s0
	s_cbranch_execnz .LBB110_125
; %bb.126:
	s_or_b32 exec_lo, exec_lo, s0
.LBB110_127:
	s_delay_alu instid0(SALU_CYCLE_1)
	s_or_b32 exec_lo, exec_lo, s4
	v_mov_b32_e32 v116, 0
	ds_load_b64 v[116:117], v116 offset:264
	s_waitcnt lgkmcnt(0)
	v_mul_f64 v[95:96], v[95:96], v[116:117]
	scratch_store_b64 off, v[95:96], off offset:264
.LBB110_128:
	s_or_b32 exec_lo, exec_lo, s2
	scratch_load_b64 v[95:96], off, off offset:256
	v_cmp_lt_u32_e64 s0, 32, v0
	s_waitcnt vmcnt(0)
	ds_store_b64 v98, v[95:96]
	s_waitcnt lgkmcnt(0)
	s_waitcnt_vscnt null, 0x0
	s_barrier
	buffer_gl0_inv
	s_and_saveexec_b32 s2, s0
	s_cbranch_execz .LBB110_138
; %bb.129:
	s_and_not1_b32 vcc_lo, exec_lo, s3
	s_cbranch_vccnz .LBB110_131
; %bb.130:
	scratch_load_b64 v[95:96], v99, off
	ds_load_b64 v[116:117], v98
	s_waitcnt vmcnt(0) lgkmcnt(0)
	v_mul_f64 v[95:96], v[95:96], v[116:117]
	s_cbranch_execz .LBB110_132
	s_branch .LBB110_133
.LBB110_131:
                                        ; implicit-def: $vgpr95_vgpr96
.LBB110_132:
	ds_load_b64 v[95:96], v98
.LBB110_133:
	s_and_saveexec_b32 s4, s1
	s_cbranch_execz .LBB110_137
; %bb.134:
	v_mov_b32_e32 v116, 0
	v_subrev_nc_u32_e32 v117, 33, v0
	s_movk_i32 s5, 0x288
	s_mov_b32 s1, 0
	s_delay_alu instid0(VALU_DEP_2)
	v_add_nc_u32_e32 v116, 0x108, v116
.LBB110_135:                            ; =>This Inner Loop Header: Depth=1
	scratch_load_b64 v[118:119], v116, off
	v_dual_mov_b32 v120, s5 :: v_dual_add_nc_u32 v117, -1, v117
	v_add_nc_u32_e32 v116, 8, v116
	s_add_i32 s5, s5, 8
	ds_load_b64 v[120:121], v120
	v_cmp_eq_u32_e32 vcc_lo, 0, v117
	s_or_b32 s1, vcc_lo, s1
	s_waitcnt vmcnt(0) lgkmcnt(0)
	v_fma_f64 v[95:96], v[118:119], v[120:121], v[95:96]
	s_and_not1_b32 exec_lo, exec_lo, s1
	s_cbranch_execnz .LBB110_135
; %bb.136:
	s_or_b32 exec_lo, exec_lo, s1
.LBB110_137:
	s_delay_alu instid0(SALU_CYCLE_1)
	s_or_b32 exec_lo, exec_lo, s4
	v_mov_b32_e32 v116, 0
	ds_load_b64 v[116:117], v116 offset:256
	s_waitcnt lgkmcnt(0)
	v_mul_f64 v[95:96], v[95:96], v[116:117]
	scratch_store_b64 off, v[95:96], off offset:256
.LBB110_138:
	s_or_b32 exec_lo, exec_lo, s2
	scratch_load_b64 v[95:96], off, off offset:248
	v_cmp_lt_u32_e64 s1, 31, v0
	s_waitcnt vmcnt(0)
	ds_store_b64 v98, v[95:96]
	s_waitcnt lgkmcnt(0)
	s_waitcnt_vscnt null, 0x0
	s_barrier
	buffer_gl0_inv
	s_and_saveexec_b32 s2, s1
	s_cbranch_execz .LBB110_148
; %bb.139:
	s_and_not1_b32 vcc_lo, exec_lo, s3
	s_cbranch_vccnz .LBB110_141
; %bb.140:
	scratch_load_b64 v[95:96], v99, off
	ds_load_b64 v[116:117], v98
	s_waitcnt vmcnt(0) lgkmcnt(0)
	v_mul_f64 v[95:96], v[95:96], v[116:117]
	s_cbranch_execz .LBB110_142
	s_branch .LBB110_143
.LBB110_141:
                                        ; implicit-def: $vgpr95_vgpr96
.LBB110_142:
	ds_load_b64 v[95:96], v98
.LBB110_143:
	s_and_saveexec_b32 s4, s0
	s_cbranch_execz .LBB110_147
; %bb.144:
	v_subrev_nc_u32_e32 v116, 32, v0
	s_movk_i32 s5, 0x280
	s_mov_b32 s0, 0
.LBB110_145:                            ; =>This Inner Loop Header: Depth=1
	scratch_load_b64 v[117:118], v115, off
	v_dual_mov_b32 v119, s5 :: v_dual_add_nc_u32 v116, -1, v116
	v_add_nc_u32_e32 v115, 8, v115
	s_add_i32 s5, s5, 8
	ds_load_b64 v[119:120], v119
	v_cmp_eq_u32_e32 vcc_lo, 0, v116
	s_or_b32 s0, vcc_lo, s0
	s_waitcnt vmcnt(0) lgkmcnt(0)
	v_fma_f64 v[95:96], v[117:118], v[119:120], v[95:96]
	s_and_not1_b32 exec_lo, exec_lo, s0
	s_cbranch_execnz .LBB110_145
; %bb.146:
	s_or_b32 exec_lo, exec_lo, s0
.LBB110_147:
	s_delay_alu instid0(SALU_CYCLE_1)
	s_or_b32 exec_lo, exec_lo, s4
	v_mov_b32_e32 v115, 0
	ds_load_b64 v[115:116], v115 offset:248
	s_waitcnt lgkmcnt(0)
	v_mul_f64 v[95:96], v[95:96], v[115:116]
	scratch_store_b64 off, v[95:96], off offset:248
.LBB110_148:
	s_or_b32 exec_lo, exec_lo, s2
	scratch_load_b64 v[95:96], off, off offset:240
	v_cmp_lt_u32_e64 s0, 30, v0
	s_waitcnt vmcnt(0)
	ds_store_b64 v98, v[95:96]
	s_waitcnt lgkmcnt(0)
	s_waitcnt_vscnt null, 0x0
	s_barrier
	buffer_gl0_inv
	s_and_saveexec_b32 s2, s0
	s_cbranch_execz .LBB110_158
; %bb.149:
	s_and_not1_b32 vcc_lo, exec_lo, s3
	s_cbranch_vccnz .LBB110_151
; %bb.150:
	scratch_load_b64 v[95:96], v99, off
	ds_load_b64 v[115:116], v98
	s_waitcnt vmcnt(0) lgkmcnt(0)
	v_mul_f64 v[95:96], v[95:96], v[115:116]
	s_cbranch_execz .LBB110_152
	s_branch .LBB110_153
.LBB110_151:
                                        ; implicit-def: $vgpr95_vgpr96
.LBB110_152:
	ds_load_b64 v[95:96], v98
.LBB110_153:
	s_and_saveexec_b32 s4, s1
	s_cbranch_execz .LBB110_157
; %bb.154:
	v_mov_b32_e32 v115, 0
	v_subrev_nc_u32_e32 v116, 31, v0
	s_movk_i32 s5, 0x278
	s_mov_b32 s1, 0
	s_delay_alu instid0(VALU_DEP_2)
	v_add_nc_u32_e32 v115, 0xf8, v115
.LBB110_155:                            ; =>This Inner Loop Header: Depth=1
	scratch_load_b64 v[117:118], v115, off
	v_dual_mov_b32 v119, s5 :: v_dual_add_nc_u32 v116, -1, v116
	v_add_nc_u32_e32 v115, 8, v115
	s_add_i32 s5, s5, 8
	ds_load_b64 v[119:120], v119
	v_cmp_eq_u32_e32 vcc_lo, 0, v116
	s_or_b32 s1, vcc_lo, s1
	s_waitcnt vmcnt(0) lgkmcnt(0)
	v_fma_f64 v[95:96], v[117:118], v[119:120], v[95:96]
	s_and_not1_b32 exec_lo, exec_lo, s1
	s_cbranch_execnz .LBB110_155
; %bb.156:
	s_or_b32 exec_lo, exec_lo, s1
.LBB110_157:
	s_delay_alu instid0(SALU_CYCLE_1)
	s_or_b32 exec_lo, exec_lo, s4
	v_mov_b32_e32 v115, 0
	ds_load_b64 v[115:116], v115 offset:240
	s_waitcnt lgkmcnt(0)
	v_mul_f64 v[95:96], v[95:96], v[115:116]
	scratch_store_b64 off, v[95:96], off offset:240
.LBB110_158:
	s_or_b32 exec_lo, exec_lo, s2
	scratch_load_b64 v[95:96], off, off offset:232
	v_cmp_lt_u32_e64 s1, 29, v0
	s_waitcnt vmcnt(0)
	ds_store_b64 v98, v[95:96]
	s_waitcnt lgkmcnt(0)
	s_waitcnt_vscnt null, 0x0
	s_barrier
	buffer_gl0_inv
	s_and_saveexec_b32 s2, s1
	s_cbranch_execz .LBB110_168
; %bb.159:
	s_and_not1_b32 vcc_lo, exec_lo, s3
	s_cbranch_vccnz .LBB110_161
; %bb.160:
	scratch_load_b64 v[95:96], v99, off
	ds_load_b64 v[115:116], v98
	s_waitcnt vmcnt(0) lgkmcnt(0)
	v_mul_f64 v[95:96], v[95:96], v[115:116]
	s_cbranch_execz .LBB110_162
	s_branch .LBB110_163
.LBB110_161:
                                        ; implicit-def: $vgpr95_vgpr96
.LBB110_162:
	ds_load_b64 v[95:96], v98
.LBB110_163:
	s_and_saveexec_b32 s4, s0
	s_cbranch_execz .LBB110_167
; %bb.164:
	v_subrev_nc_u32_e32 v115, 30, v0
	s_movk_i32 s5, 0x270
	s_mov_b32 s0, 0
.LBB110_165:                            ; =>This Inner Loop Header: Depth=1
	scratch_load_b64 v[116:117], v114, off
	v_dual_mov_b32 v118, s5 :: v_dual_add_nc_u32 v115, -1, v115
	v_add_nc_u32_e32 v114, 8, v114
	s_add_i32 s5, s5, 8
	ds_load_b64 v[118:119], v118
	v_cmp_eq_u32_e32 vcc_lo, 0, v115
	s_or_b32 s0, vcc_lo, s0
	s_waitcnt vmcnt(0) lgkmcnt(0)
	v_fma_f64 v[95:96], v[116:117], v[118:119], v[95:96]
	s_and_not1_b32 exec_lo, exec_lo, s0
	s_cbranch_execnz .LBB110_165
; %bb.166:
	s_or_b32 exec_lo, exec_lo, s0
.LBB110_167:
	s_delay_alu instid0(SALU_CYCLE_1)
	s_or_b32 exec_lo, exec_lo, s4
	v_mov_b32_e32 v114, 0
	ds_load_b64 v[114:115], v114 offset:232
	s_waitcnt lgkmcnt(0)
	v_mul_f64 v[95:96], v[95:96], v[114:115]
	scratch_store_b64 off, v[95:96], off offset:232
.LBB110_168:
	s_or_b32 exec_lo, exec_lo, s2
	scratch_load_b64 v[95:96], off, off offset:224
	v_cmp_lt_u32_e64 s0, 28, v0
	s_waitcnt vmcnt(0)
	ds_store_b64 v98, v[95:96]
	s_waitcnt lgkmcnt(0)
	s_waitcnt_vscnt null, 0x0
	s_barrier
	buffer_gl0_inv
	s_and_saveexec_b32 s2, s0
	s_cbranch_execz .LBB110_178
; %bb.169:
	s_and_not1_b32 vcc_lo, exec_lo, s3
	s_cbranch_vccnz .LBB110_171
; %bb.170:
	scratch_load_b64 v[95:96], v99, off
	ds_load_b64 v[114:115], v98
	s_waitcnt vmcnt(0) lgkmcnt(0)
	v_mul_f64 v[95:96], v[95:96], v[114:115]
	s_cbranch_execz .LBB110_172
	s_branch .LBB110_173
.LBB110_171:
                                        ; implicit-def: $vgpr95_vgpr96
.LBB110_172:
	ds_load_b64 v[95:96], v98
.LBB110_173:
	s_and_saveexec_b32 s4, s1
	s_cbranch_execz .LBB110_177
; %bb.174:
	v_mov_b32_e32 v114, 0
	v_subrev_nc_u32_e32 v115, 29, v0
	s_movk_i32 s5, 0x268
	s_mov_b32 s1, 0
	s_delay_alu instid0(VALU_DEP_2)
	v_add_nc_u32_e32 v114, 0xe8, v114
.LBB110_175:                            ; =>This Inner Loop Header: Depth=1
	scratch_load_b64 v[116:117], v114, off
	v_dual_mov_b32 v118, s5 :: v_dual_add_nc_u32 v115, -1, v115
	v_add_nc_u32_e32 v114, 8, v114
	s_add_i32 s5, s5, 8
	ds_load_b64 v[118:119], v118
	v_cmp_eq_u32_e32 vcc_lo, 0, v115
	s_or_b32 s1, vcc_lo, s1
	s_waitcnt vmcnt(0) lgkmcnt(0)
	v_fma_f64 v[95:96], v[116:117], v[118:119], v[95:96]
	s_and_not1_b32 exec_lo, exec_lo, s1
	s_cbranch_execnz .LBB110_175
; %bb.176:
	s_or_b32 exec_lo, exec_lo, s1
.LBB110_177:
	s_delay_alu instid0(SALU_CYCLE_1)
	s_or_b32 exec_lo, exec_lo, s4
	v_mov_b32_e32 v114, 0
	ds_load_b64 v[114:115], v114 offset:224
	s_waitcnt lgkmcnt(0)
	v_mul_f64 v[95:96], v[95:96], v[114:115]
	scratch_store_b64 off, v[95:96], off offset:224
.LBB110_178:
	s_or_b32 exec_lo, exec_lo, s2
	scratch_load_b64 v[95:96], off, off offset:216
	v_cmp_lt_u32_e64 s1, 27, v0
	s_waitcnt vmcnt(0)
	ds_store_b64 v98, v[95:96]
	s_waitcnt lgkmcnt(0)
	s_waitcnt_vscnt null, 0x0
	s_barrier
	buffer_gl0_inv
	s_and_saveexec_b32 s2, s1
	s_cbranch_execz .LBB110_188
; %bb.179:
	s_and_not1_b32 vcc_lo, exec_lo, s3
	s_cbranch_vccnz .LBB110_181
; %bb.180:
	scratch_load_b64 v[95:96], v99, off
	ds_load_b64 v[114:115], v98
	s_waitcnt vmcnt(0) lgkmcnt(0)
	v_mul_f64 v[95:96], v[95:96], v[114:115]
	s_cbranch_execz .LBB110_182
	s_branch .LBB110_183
.LBB110_181:
                                        ; implicit-def: $vgpr95_vgpr96
.LBB110_182:
	ds_load_b64 v[95:96], v98
.LBB110_183:
	s_and_saveexec_b32 s4, s0
	s_cbranch_execz .LBB110_187
; %bb.184:
	v_subrev_nc_u32_e32 v114, 28, v0
	s_movk_i32 s5, 0x260
	s_mov_b32 s0, 0
.LBB110_185:                            ; =>This Inner Loop Header: Depth=1
	scratch_load_b64 v[115:116], v113, off
	v_dual_mov_b32 v117, s5 :: v_dual_add_nc_u32 v114, -1, v114
	v_add_nc_u32_e32 v113, 8, v113
	s_add_i32 s5, s5, 8
	ds_load_b64 v[117:118], v117
	v_cmp_eq_u32_e32 vcc_lo, 0, v114
	s_or_b32 s0, vcc_lo, s0
	s_waitcnt vmcnt(0) lgkmcnt(0)
	v_fma_f64 v[95:96], v[115:116], v[117:118], v[95:96]
	s_and_not1_b32 exec_lo, exec_lo, s0
	s_cbranch_execnz .LBB110_185
; %bb.186:
	s_or_b32 exec_lo, exec_lo, s0
.LBB110_187:
	s_delay_alu instid0(SALU_CYCLE_1)
	s_or_b32 exec_lo, exec_lo, s4
	v_mov_b32_e32 v113, 0
	ds_load_b64 v[113:114], v113 offset:216
	s_waitcnt lgkmcnt(0)
	v_mul_f64 v[95:96], v[95:96], v[113:114]
	scratch_store_b64 off, v[95:96], off offset:216
.LBB110_188:
	s_or_b32 exec_lo, exec_lo, s2
	scratch_load_b64 v[95:96], off, off offset:208
	v_cmp_lt_u32_e64 s0, 26, v0
	s_waitcnt vmcnt(0)
	ds_store_b64 v98, v[95:96]
	s_waitcnt lgkmcnt(0)
	s_waitcnt_vscnt null, 0x0
	s_barrier
	buffer_gl0_inv
	s_and_saveexec_b32 s2, s0
	s_cbranch_execz .LBB110_198
; %bb.189:
	s_and_not1_b32 vcc_lo, exec_lo, s3
	s_cbranch_vccnz .LBB110_191
; %bb.190:
	scratch_load_b64 v[95:96], v99, off
	ds_load_b64 v[113:114], v98
	s_waitcnt vmcnt(0) lgkmcnt(0)
	v_mul_f64 v[95:96], v[95:96], v[113:114]
	s_cbranch_execz .LBB110_192
	s_branch .LBB110_193
.LBB110_191:
                                        ; implicit-def: $vgpr95_vgpr96
.LBB110_192:
	ds_load_b64 v[95:96], v98
.LBB110_193:
	s_and_saveexec_b32 s4, s1
	s_cbranch_execz .LBB110_197
; %bb.194:
	v_mov_b32_e32 v113, 0
	v_subrev_nc_u32_e32 v114, 27, v0
	s_movk_i32 s5, 0x258
	s_mov_b32 s1, 0
	s_delay_alu instid0(VALU_DEP_2)
	v_add_nc_u32_e32 v113, 0xd8, v113
.LBB110_195:                            ; =>This Inner Loop Header: Depth=1
	scratch_load_b64 v[115:116], v113, off
	v_dual_mov_b32 v117, s5 :: v_dual_add_nc_u32 v114, -1, v114
	v_add_nc_u32_e32 v113, 8, v113
	s_add_i32 s5, s5, 8
	ds_load_b64 v[117:118], v117
	v_cmp_eq_u32_e32 vcc_lo, 0, v114
	s_or_b32 s1, vcc_lo, s1
	s_waitcnt vmcnt(0) lgkmcnt(0)
	v_fma_f64 v[95:96], v[115:116], v[117:118], v[95:96]
	s_and_not1_b32 exec_lo, exec_lo, s1
	s_cbranch_execnz .LBB110_195
; %bb.196:
	s_or_b32 exec_lo, exec_lo, s1
.LBB110_197:
	s_delay_alu instid0(SALU_CYCLE_1)
	s_or_b32 exec_lo, exec_lo, s4
	v_mov_b32_e32 v113, 0
	ds_load_b64 v[113:114], v113 offset:208
	s_waitcnt lgkmcnt(0)
	v_mul_f64 v[95:96], v[95:96], v[113:114]
	scratch_store_b64 off, v[95:96], off offset:208
.LBB110_198:
	s_or_b32 exec_lo, exec_lo, s2
	scratch_load_b64 v[95:96], off, off offset:200
	v_cmp_lt_u32_e64 s1, 25, v0
	s_waitcnt vmcnt(0)
	ds_store_b64 v98, v[95:96]
	s_waitcnt lgkmcnt(0)
	s_waitcnt_vscnt null, 0x0
	s_barrier
	buffer_gl0_inv
	s_and_saveexec_b32 s2, s1
	s_cbranch_execz .LBB110_208
; %bb.199:
	s_and_not1_b32 vcc_lo, exec_lo, s3
	s_cbranch_vccnz .LBB110_201
; %bb.200:
	scratch_load_b64 v[95:96], v99, off
	ds_load_b64 v[113:114], v98
	s_waitcnt vmcnt(0) lgkmcnt(0)
	v_mul_f64 v[95:96], v[95:96], v[113:114]
	s_cbranch_execz .LBB110_202
	s_branch .LBB110_203
.LBB110_201:
                                        ; implicit-def: $vgpr95_vgpr96
.LBB110_202:
	ds_load_b64 v[95:96], v98
.LBB110_203:
	s_and_saveexec_b32 s4, s0
	s_cbranch_execz .LBB110_207
; %bb.204:
	v_subrev_nc_u32_e32 v113, 26, v0
	s_movk_i32 s5, 0x250
	s_mov_b32 s0, 0
.LBB110_205:                            ; =>This Inner Loop Header: Depth=1
	scratch_load_b64 v[114:115], v112, off
	v_dual_mov_b32 v116, s5 :: v_dual_add_nc_u32 v113, -1, v113
	v_add_nc_u32_e32 v112, 8, v112
	s_add_i32 s5, s5, 8
	ds_load_b64 v[116:117], v116
	v_cmp_eq_u32_e32 vcc_lo, 0, v113
	s_or_b32 s0, vcc_lo, s0
	s_waitcnt vmcnt(0) lgkmcnt(0)
	v_fma_f64 v[95:96], v[114:115], v[116:117], v[95:96]
	s_and_not1_b32 exec_lo, exec_lo, s0
	s_cbranch_execnz .LBB110_205
; %bb.206:
	s_or_b32 exec_lo, exec_lo, s0
.LBB110_207:
	s_delay_alu instid0(SALU_CYCLE_1)
	s_or_b32 exec_lo, exec_lo, s4
	v_mov_b32_e32 v112, 0
	ds_load_b64 v[112:113], v112 offset:200
	s_waitcnt lgkmcnt(0)
	v_mul_f64 v[95:96], v[95:96], v[112:113]
	scratch_store_b64 off, v[95:96], off offset:200
.LBB110_208:
	s_or_b32 exec_lo, exec_lo, s2
	scratch_load_b64 v[95:96], off, off offset:192
	v_cmp_lt_u32_e64 s0, 24, v0
	s_waitcnt vmcnt(0)
	ds_store_b64 v98, v[95:96]
	s_waitcnt lgkmcnt(0)
	s_waitcnt_vscnt null, 0x0
	s_barrier
	buffer_gl0_inv
	s_and_saveexec_b32 s2, s0
	s_cbranch_execz .LBB110_218
; %bb.209:
	s_and_not1_b32 vcc_lo, exec_lo, s3
	s_cbranch_vccnz .LBB110_211
; %bb.210:
	scratch_load_b64 v[95:96], v99, off
	ds_load_b64 v[112:113], v98
	s_waitcnt vmcnt(0) lgkmcnt(0)
	v_mul_f64 v[95:96], v[95:96], v[112:113]
	s_cbranch_execz .LBB110_212
	s_branch .LBB110_213
.LBB110_211:
                                        ; implicit-def: $vgpr95_vgpr96
.LBB110_212:
	ds_load_b64 v[95:96], v98
.LBB110_213:
	s_and_saveexec_b32 s4, s1
	s_cbranch_execz .LBB110_217
; %bb.214:
	v_mov_b32_e32 v112, 0
	v_subrev_nc_u32_e32 v113, 25, v0
	s_movk_i32 s5, 0x248
	s_mov_b32 s1, 0
	s_delay_alu instid0(VALU_DEP_2)
	v_add_nc_u32_e32 v112, 0xc8, v112
.LBB110_215:                            ; =>This Inner Loop Header: Depth=1
	scratch_load_b64 v[114:115], v112, off
	v_dual_mov_b32 v116, s5 :: v_dual_add_nc_u32 v113, -1, v113
	v_add_nc_u32_e32 v112, 8, v112
	s_add_i32 s5, s5, 8
	ds_load_b64 v[116:117], v116
	v_cmp_eq_u32_e32 vcc_lo, 0, v113
	s_or_b32 s1, vcc_lo, s1
	s_waitcnt vmcnt(0) lgkmcnt(0)
	v_fma_f64 v[95:96], v[114:115], v[116:117], v[95:96]
	s_and_not1_b32 exec_lo, exec_lo, s1
	s_cbranch_execnz .LBB110_215
; %bb.216:
	s_or_b32 exec_lo, exec_lo, s1
.LBB110_217:
	s_delay_alu instid0(SALU_CYCLE_1)
	s_or_b32 exec_lo, exec_lo, s4
	v_mov_b32_e32 v112, 0
	ds_load_b64 v[112:113], v112 offset:192
	s_waitcnt lgkmcnt(0)
	v_mul_f64 v[95:96], v[95:96], v[112:113]
	scratch_store_b64 off, v[95:96], off offset:192
.LBB110_218:
	s_or_b32 exec_lo, exec_lo, s2
	scratch_load_b64 v[95:96], off, off offset:184
	v_cmp_lt_u32_e64 s1, 23, v0
	s_waitcnt vmcnt(0)
	ds_store_b64 v98, v[95:96]
	s_waitcnt lgkmcnt(0)
	s_waitcnt_vscnt null, 0x0
	s_barrier
	buffer_gl0_inv
	s_and_saveexec_b32 s2, s1
	s_cbranch_execz .LBB110_228
; %bb.219:
	s_and_not1_b32 vcc_lo, exec_lo, s3
	s_cbranch_vccnz .LBB110_221
; %bb.220:
	scratch_load_b64 v[95:96], v99, off
	ds_load_b64 v[112:113], v98
	s_waitcnt vmcnt(0) lgkmcnt(0)
	v_mul_f64 v[95:96], v[95:96], v[112:113]
	s_cbranch_execz .LBB110_222
	s_branch .LBB110_223
.LBB110_221:
                                        ; implicit-def: $vgpr95_vgpr96
.LBB110_222:
	ds_load_b64 v[95:96], v98
.LBB110_223:
	s_and_saveexec_b32 s4, s0
	s_cbranch_execz .LBB110_227
; %bb.224:
	v_subrev_nc_u32_e32 v112, 24, v0
	s_movk_i32 s5, 0x240
	s_mov_b32 s0, 0
.LBB110_225:                            ; =>This Inner Loop Header: Depth=1
	scratch_load_b64 v[113:114], v111, off
	v_dual_mov_b32 v115, s5 :: v_dual_add_nc_u32 v112, -1, v112
	v_add_nc_u32_e32 v111, 8, v111
	s_add_i32 s5, s5, 8
	ds_load_b64 v[115:116], v115
	v_cmp_eq_u32_e32 vcc_lo, 0, v112
	s_or_b32 s0, vcc_lo, s0
	s_waitcnt vmcnt(0) lgkmcnt(0)
	v_fma_f64 v[95:96], v[113:114], v[115:116], v[95:96]
	s_and_not1_b32 exec_lo, exec_lo, s0
	s_cbranch_execnz .LBB110_225
; %bb.226:
	s_or_b32 exec_lo, exec_lo, s0
.LBB110_227:
	s_delay_alu instid0(SALU_CYCLE_1)
	s_or_b32 exec_lo, exec_lo, s4
	v_mov_b32_e32 v111, 0
	ds_load_b64 v[111:112], v111 offset:184
	s_waitcnt lgkmcnt(0)
	v_mul_f64 v[95:96], v[95:96], v[111:112]
	scratch_store_b64 off, v[95:96], off offset:184
.LBB110_228:
	s_or_b32 exec_lo, exec_lo, s2
	scratch_load_b64 v[95:96], off, off offset:176
	v_cmp_lt_u32_e64 s0, 22, v0
	s_waitcnt vmcnt(0)
	ds_store_b64 v98, v[95:96]
	s_waitcnt lgkmcnt(0)
	s_waitcnt_vscnt null, 0x0
	s_barrier
	buffer_gl0_inv
	s_and_saveexec_b32 s2, s0
	s_cbranch_execz .LBB110_238
; %bb.229:
	s_and_not1_b32 vcc_lo, exec_lo, s3
	s_cbranch_vccnz .LBB110_231
; %bb.230:
	scratch_load_b64 v[95:96], v99, off
	ds_load_b64 v[111:112], v98
	s_waitcnt vmcnt(0) lgkmcnt(0)
	v_mul_f64 v[95:96], v[95:96], v[111:112]
	s_cbranch_execz .LBB110_232
	s_branch .LBB110_233
.LBB110_231:
                                        ; implicit-def: $vgpr95_vgpr96
.LBB110_232:
	ds_load_b64 v[95:96], v98
.LBB110_233:
	s_and_saveexec_b32 s4, s1
	s_cbranch_execz .LBB110_237
; %bb.234:
	v_mov_b32_e32 v111, 0
	v_subrev_nc_u32_e32 v112, 23, v0
	s_movk_i32 s5, 0x238
	s_mov_b32 s1, 0
	s_delay_alu instid0(VALU_DEP_2)
	v_add_nc_u32_e32 v111, 0xb8, v111
.LBB110_235:                            ; =>This Inner Loop Header: Depth=1
	scratch_load_b64 v[113:114], v111, off
	v_dual_mov_b32 v115, s5 :: v_dual_add_nc_u32 v112, -1, v112
	v_add_nc_u32_e32 v111, 8, v111
	s_add_i32 s5, s5, 8
	ds_load_b64 v[115:116], v115
	v_cmp_eq_u32_e32 vcc_lo, 0, v112
	s_or_b32 s1, vcc_lo, s1
	s_waitcnt vmcnt(0) lgkmcnt(0)
	v_fma_f64 v[95:96], v[113:114], v[115:116], v[95:96]
	s_and_not1_b32 exec_lo, exec_lo, s1
	s_cbranch_execnz .LBB110_235
; %bb.236:
	s_or_b32 exec_lo, exec_lo, s1
.LBB110_237:
	s_delay_alu instid0(SALU_CYCLE_1)
	s_or_b32 exec_lo, exec_lo, s4
	v_mov_b32_e32 v111, 0
	ds_load_b64 v[111:112], v111 offset:176
	s_waitcnt lgkmcnt(0)
	v_mul_f64 v[95:96], v[95:96], v[111:112]
	scratch_store_b64 off, v[95:96], off offset:176
.LBB110_238:
	s_or_b32 exec_lo, exec_lo, s2
	scratch_load_b64 v[95:96], off, off offset:168
	v_cmp_lt_u32_e64 s1, 21, v0
	s_waitcnt vmcnt(0)
	ds_store_b64 v98, v[95:96]
	s_waitcnt lgkmcnt(0)
	s_waitcnt_vscnt null, 0x0
	s_barrier
	buffer_gl0_inv
	s_and_saveexec_b32 s2, s1
	s_cbranch_execz .LBB110_248
; %bb.239:
	s_and_not1_b32 vcc_lo, exec_lo, s3
	s_cbranch_vccnz .LBB110_241
; %bb.240:
	scratch_load_b64 v[95:96], v99, off
	ds_load_b64 v[111:112], v98
	s_waitcnt vmcnt(0) lgkmcnt(0)
	v_mul_f64 v[95:96], v[95:96], v[111:112]
	s_cbranch_execz .LBB110_242
	s_branch .LBB110_243
.LBB110_241:
                                        ; implicit-def: $vgpr95_vgpr96
.LBB110_242:
	ds_load_b64 v[95:96], v98
.LBB110_243:
	s_and_saveexec_b32 s4, s0
	s_cbranch_execz .LBB110_247
; %bb.244:
	v_subrev_nc_u32_e32 v111, 22, v0
	s_movk_i32 s5, 0x230
	s_mov_b32 s0, 0
.LBB110_245:                            ; =>This Inner Loop Header: Depth=1
	scratch_load_b64 v[112:113], v110, off
	v_dual_mov_b32 v114, s5 :: v_dual_add_nc_u32 v111, -1, v111
	v_add_nc_u32_e32 v110, 8, v110
	s_add_i32 s5, s5, 8
	ds_load_b64 v[114:115], v114
	v_cmp_eq_u32_e32 vcc_lo, 0, v111
	s_or_b32 s0, vcc_lo, s0
	s_waitcnt vmcnt(0) lgkmcnt(0)
	v_fma_f64 v[95:96], v[112:113], v[114:115], v[95:96]
	s_and_not1_b32 exec_lo, exec_lo, s0
	s_cbranch_execnz .LBB110_245
; %bb.246:
	s_or_b32 exec_lo, exec_lo, s0
.LBB110_247:
	s_delay_alu instid0(SALU_CYCLE_1)
	s_or_b32 exec_lo, exec_lo, s4
	v_mov_b32_e32 v110, 0
	ds_load_b64 v[110:111], v110 offset:168
	s_waitcnt lgkmcnt(0)
	v_mul_f64 v[95:96], v[95:96], v[110:111]
	scratch_store_b64 off, v[95:96], off offset:168
.LBB110_248:
	s_or_b32 exec_lo, exec_lo, s2
	scratch_load_b64 v[95:96], off, off offset:160
	v_cmp_lt_u32_e64 s0, 20, v0
	s_waitcnt vmcnt(0)
	ds_store_b64 v98, v[95:96]
	s_waitcnt lgkmcnt(0)
	s_waitcnt_vscnt null, 0x0
	s_barrier
	buffer_gl0_inv
	s_and_saveexec_b32 s2, s0
	s_cbranch_execz .LBB110_258
; %bb.249:
	s_and_not1_b32 vcc_lo, exec_lo, s3
	s_cbranch_vccnz .LBB110_251
; %bb.250:
	scratch_load_b64 v[95:96], v99, off
	ds_load_b64 v[110:111], v98
	s_waitcnt vmcnt(0) lgkmcnt(0)
	v_mul_f64 v[95:96], v[95:96], v[110:111]
	s_cbranch_execz .LBB110_252
	s_branch .LBB110_253
.LBB110_251:
                                        ; implicit-def: $vgpr95_vgpr96
.LBB110_252:
	ds_load_b64 v[95:96], v98
.LBB110_253:
	s_and_saveexec_b32 s4, s1
	s_cbranch_execz .LBB110_257
; %bb.254:
	v_mov_b32_e32 v110, 0
	v_subrev_nc_u32_e32 v111, 21, v0
	s_movk_i32 s5, 0x228
	s_mov_b32 s1, 0
	s_delay_alu instid0(VALU_DEP_2)
	v_add_nc_u32_e32 v110, 0xa8, v110
.LBB110_255:                            ; =>This Inner Loop Header: Depth=1
	scratch_load_b64 v[112:113], v110, off
	v_dual_mov_b32 v114, s5 :: v_dual_add_nc_u32 v111, -1, v111
	v_add_nc_u32_e32 v110, 8, v110
	s_add_i32 s5, s5, 8
	ds_load_b64 v[114:115], v114
	v_cmp_eq_u32_e32 vcc_lo, 0, v111
	s_or_b32 s1, vcc_lo, s1
	s_waitcnt vmcnt(0) lgkmcnt(0)
	v_fma_f64 v[95:96], v[112:113], v[114:115], v[95:96]
	s_and_not1_b32 exec_lo, exec_lo, s1
	s_cbranch_execnz .LBB110_255
; %bb.256:
	s_or_b32 exec_lo, exec_lo, s1
.LBB110_257:
	s_delay_alu instid0(SALU_CYCLE_1)
	s_or_b32 exec_lo, exec_lo, s4
	v_mov_b32_e32 v110, 0
	ds_load_b64 v[110:111], v110 offset:160
	s_waitcnt lgkmcnt(0)
	v_mul_f64 v[95:96], v[95:96], v[110:111]
	scratch_store_b64 off, v[95:96], off offset:160
.LBB110_258:
	s_or_b32 exec_lo, exec_lo, s2
	scratch_load_b64 v[95:96], off, off offset:152
	v_cmp_lt_u32_e64 s1, 19, v0
	s_waitcnt vmcnt(0)
	ds_store_b64 v98, v[95:96]
	s_waitcnt lgkmcnt(0)
	s_waitcnt_vscnt null, 0x0
	s_barrier
	buffer_gl0_inv
	s_and_saveexec_b32 s2, s1
	s_cbranch_execz .LBB110_268
; %bb.259:
	s_and_not1_b32 vcc_lo, exec_lo, s3
	s_cbranch_vccnz .LBB110_261
; %bb.260:
	scratch_load_b64 v[95:96], v99, off
	ds_load_b64 v[110:111], v98
	s_waitcnt vmcnt(0) lgkmcnt(0)
	v_mul_f64 v[95:96], v[95:96], v[110:111]
	s_cbranch_execz .LBB110_262
	s_branch .LBB110_263
.LBB110_261:
                                        ; implicit-def: $vgpr95_vgpr96
.LBB110_262:
	ds_load_b64 v[95:96], v98
.LBB110_263:
	s_and_saveexec_b32 s4, s0
	s_cbranch_execz .LBB110_267
; %bb.264:
	v_subrev_nc_u32_e32 v110, 20, v0
	s_movk_i32 s5, 0x220
	s_mov_b32 s0, 0
.LBB110_265:                            ; =>This Inner Loop Header: Depth=1
	scratch_load_b64 v[111:112], v109, off
	v_dual_mov_b32 v113, s5 :: v_dual_add_nc_u32 v110, -1, v110
	v_add_nc_u32_e32 v109, 8, v109
	s_add_i32 s5, s5, 8
	ds_load_b64 v[113:114], v113
	v_cmp_eq_u32_e32 vcc_lo, 0, v110
	s_or_b32 s0, vcc_lo, s0
	s_waitcnt vmcnt(0) lgkmcnt(0)
	v_fma_f64 v[95:96], v[111:112], v[113:114], v[95:96]
	s_and_not1_b32 exec_lo, exec_lo, s0
	s_cbranch_execnz .LBB110_265
; %bb.266:
	s_or_b32 exec_lo, exec_lo, s0
.LBB110_267:
	s_delay_alu instid0(SALU_CYCLE_1)
	s_or_b32 exec_lo, exec_lo, s4
	v_mov_b32_e32 v109, 0
	ds_load_b64 v[109:110], v109 offset:152
	s_waitcnt lgkmcnt(0)
	v_mul_f64 v[95:96], v[95:96], v[109:110]
	scratch_store_b64 off, v[95:96], off offset:152
.LBB110_268:
	s_or_b32 exec_lo, exec_lo, s2
	scratch_load_b64 v[95:96], off, off offset:144
	v_cmp_lt_u32_e64 s0, 18, v0
	s_waitcnt vmcnt(0)
	ds_store_b64 v98, v[95:96]
	s_waitcnt lgkmcnt(0)
	s_waitcnt_vscnt null, 0x0
	s_barrier
	buffer_gl0_inv
	s_and_saveexec_b32 s2, s0
	s_cbranch_execz .LBB110_278
; %bb.269:
	s_and_not1_b32 vcc_lo, exec_lo, s3
	s_cbranch_vccnz .LBB110_271
; %bb.270:
	scratch_load_b64 v[95:96], v99, off
	ds_load_b64 v[109:110], v98
	s_waitcnt vmcnt(0) lgkmcnt(0)
	v_mul_f64 v[95:96], v[95:96], v[109:110]
	s_cbranch_execz .LBB110_272
	s_branch .LBB110_273
.LBB110_271:
                                        ; implicit-def: $vgpr95_vgpr96
.LBB110_272:
	ds_load_b64 v[95:96], v98
.LBB110_273:
	s_and_saveexec_b32 s4, s1
	s_cbranch_execz .LBB110_277
; %bb.274:
	v_mov_b32_e32 v109, 0
	v_subrev_nc_u32_e32 v110, 19, v0
	s_movk_i32 s5, 0x218
	s_mov_b32 s1, 0
	s_delay_alu instid0(VALU_DEP_2)
	v_add_nc_u32_e32 v109, 0x98, v109
.LBB110_275:                            ; =>This Inner Loop Header: Depth=1
	scratch_load_b64 v[111:112], v109, off
	v_dual_mov_b32 v113, s5 :: v_dual_add_nc_u32 v110, -1, v110
	v_add_nc_u32_e32 v109, 8, v109
	s_add_i32 s5, s5, 8
	ds_load_b64 v[113:114], v113
	v_cmp_eq_u32_e32 vcc_lo, 0, v110
	s_or_b32 s1, vcc_lo, s1
	s_waitcnt vmcnt(0) lgkmcnt(0)
	v_fma_f64 v[95:96], v[111:112], v[113:114], v[95:96]
	s_and_not1_b32 exec_lo, exec_lo, s1
	s_cbranch_execnz .LBB110_275
; %bb.276:
	s_or_b32 exec_lo, exec_lo, s1
.LBB110_277:
	s_delay_alu instid0(SALU_CYCLE_1)
	s_or_b32 exec_lo, exec_lo, s4
	v_mov_b32_e32 v109, 0
	ds_load_b64 v[109:110], v109 offset:144
	s_waitcnt lgkmcnt(0)
	v_mul_f64 v[95:96], v[95:96], v[109:110]
	scratch_store_b64 off, v[95:96], off offset:144
.LBB110_278:
	s_or_b32 exec_lo, exec_lo, s2
	scratch_load_b64 v[95:96], off, off offset:136
	v_cmp_lt_u32_e64 s1, 17, v0
	s_waitcnt vmcnt(0)
	ds_store_b64 v98, v[95:96]
	s_waitcnt lgkmcnt(0)
	s_waitcnt_vscnt null, 0x0
	s_barrier
	buffer_gl0_inv
	s_and_saveexec_b32 s2, s1
	s_cbranch_execz .LBB110_288
; %bb.279:
	s_and_not1_b32 vcc_lo, exec_lo, s3
	s_cbranch_vccnz .LBB110_281
; %bb.280:
	scratch_load_b64 v[95:96], v99, off
	ds_load_b64 v[109:110], v98
	s_waitcnt vmcnt(0) lgkmcnt(0)
	v_mul_f64 v[95:96], v[95:96], v[109:110]
	s_cbranch_execz .LBB110_282
	s_branch .LBB110_283
.LBB110_281:
                                        ; implicit-def: $vgpr95_vgpr96
.LBB110_282:
	ds_load_b64 v[95:96], v98
.LBB110_283:
	s_and_saveexec_b32 s4, s0
	s_cbranch_execz .LBB110_287
; %bb.284:
	v_subrev_nc_u32_e32 v109, 18, v0
	s_movk_i32 s5, 0x210
	s_mov_b32 s0, 0
.LBB110_285:                            ; =>This Inner Loop Header: Depth=1
	scratch_load_b64 v[110:111], v108, off
	v_dual_mov_b32 v112, s5 :: v_dual_add_nc_u32 v109, -1, v109
	v_add_nc_u32_e32 v108, 8, v108
	s_add_i32 s5, s5, 8
	ds_load_b64 v[112:113], v112
	v_cmp_eq_u32_e32 vcc_lo, 0, v109
	s_or_b32 s0, vcc_lo, s0
	s_waitcnt vmcnt(0) lgkmcnt(0)
	v_fma_f64 v[95:96], v[110:111], v[112:113], v[95:96]
	s_and_not1_b32 exec_lo, exec_lo, s0
	s_cbranch_execnz .LBB110_285
; %bb.286:
	s_or_b32 exec_lo, exec_lo, s0
.LBB110_287:
	s_delay_alu instid0(SALU_CYCLE_1)
	s_or_b32 exec_lo, exec_lo, s4
	v_mov_b32_e32 v108, 0
	ds_load_b64 v[108:109], v108 offset:136
	s_waitcnt lgkmcnt(0)
	v_mul_f64 v[95:96], v[95:96], v[108:109]
	scratch_store_b64 off, v[95:96], off offset:136
.LBB110_288:
	s_or_b32 exec_lo, exec_lo, s2
	scratch_load_b64 v[95:96], off, off offset:128
	v_cmp_lt_u32_e64 s0, 16, v0
	s_waitcnt vmcnt(0)
	ds_store_b64 v98, v[95:96]
	s_waitcnt lgkmcnt(0)
	s_waitcnt_vscnt null, 0x0
	s_barrier
	buffer_gl0_inv
	s_and_saveexec_b32 s2, s0
	s_cbranch_execz .LBB110_298
; %bb.289:
	s_and_not1_b32 vcc_lo, exec_lo, s3
	s_cbranch_vccnz .LBB110_291
; %bb.290:
	scratch_load_b64 v[95:96], v99, off
	ds_load_b64 v[108:109], v98
	s_waitcnt vmcnt(0) lgkmcnt(0)
	v_mul_f64 v[95:96], v[95:96], v[108:109]
	s_cbranch_execz .LBB110_292
	s_branch .LBB110_293
.LBB110_291:
                                        ; implicit-def: $vgpr95_vgpr96
.LBB110_292:
	ds_load_b64 v[95:96], v98
.LBB110_293:
	s_and_saveexec_b32 s4, s1
	s_cbranch_execz .LBB110_297
; %bb.294:
	v_mov_b32_e32 v108, 0
	v_subrev_nc_u32_e32 v109, 17, v0
	s_movk_i32 s5, 0x208
	s_mov_b32 s1, 0
	s_delay_alu instid0(VALU_DEP_2)
	v_add_nc_u32_e32 v108, 0x88, v108
.LBB110_295:                            ; =>This Inner Loop Header: Depth=1
	scratch_load_b64 v[110:111], v108, off
	v_dual_mov_b32 v112, s5 :: v_dual_add_nc_u32 v109, -1, v109
	v_add_nc_u32_e32 v108, 8, v108
	s_add_i32 s5, s5, 8
	ds_load_b64 v[112:113], v112
	v_cmp_eq_u32_e32 vcc_lo, 0, v109
	s_or_b32 s1, vcc_lo, s1
	s_waitcnt vmcnt(0) lgkmcnt(0)
	v_fma_f64 v[95:96], v[110:111], v[112:113], v[95:96]
	s_and_not1_b32 exec_lo, exec_lo, s1
	s_cbranch_execnz .LBB110_295
; %bb.296:
	s_or_b32 exec_lo, exec_lo, s1
.LBB110_297:
	s_delay_alu instid0(SALU_CYCLE_1)
	s_or_b32 exec_lo, exec_lo, s4
	v_mov_b32_e32 v108, 0
	ds_load_b64 v[108:109], v108 offset:128
	s_waitcnt lgkmcnt(0)
	v_mul_f64 v[95:96], v[95:96], v[108:109]
	scratch_store_b64 off, v[95:96], off offset:128
.LBB110_298:
	s_or_b32 exec_lo, exec_lo, s2
	scratch_load_b64 v[95:96], off, off offset:120
	v_cmp_lt_u32_e64 s1, 15, v0
	s_waitcnt vmcnt(0)
	ds_store_b64 v98, v[95:96]
	s_waitcnt lgkmcnt(0)
	s_waitcnt_vscnt null, 0x0
	s_barrier
	buffer_gl0_inv
	s_and_saveexec_b32 s2, s1
	s_cbranch_execz .LBB110_308
; %bb.299:
	s_and_not1_b32 vcc_lo, exec_lo, s3
	s_cbranch_vccnz .LBB110_301
; %bb.300:
	scratch_load_b64 v[95:96], v99, off
	ds_load_b64 v[108:109], v98
	s_waitcnt vmcnt(0) lgkmcnt(0)
	v_mul_f64 v[95:96], v[95:96], v[108:109]
	s_cbranch_execz .LBB110_302
	s_branch .LBB110_303
.LBB110_301:
                                        ; implicit-def: $vgpr95_vgpr96
.LBB110_302:
	ds_load_b64 v[95:96], v98
.LBB110_303:
	s_and_saveexec_b32 s4, s0
	s_cbranch_execz .LBB110_307
; %bb.304:
	v_add_nc_u32_e32 v108, -16, v0
	s_movk_i32 s5, 0x200
	s_mov_b32 s0, 0
.LBB110_305:                            ; =>This Inner Loop Header: Depth=1
	scratch_load_b64 v[109:110], v107, off
	v_dual_mov_b32 v111, s5 :: v_dual_add_nc_u32 v108, -1, v108
	v_add_nc_u32_e32 v107, 8, v107
	s_add_i32 s5, s5, 8
	ds_load_b64 v[111:112], v111
	v_cmp_eq_u32_e32 vcc_lo, 0, v108
	s_or_b32 s0, vcc_lo, s0
	s_waitcnt vmcnt(0) lgkmcnt(0)
	v_fma_f64 v[95:96], v[109:110], v[111:112], v[95:96]
	s_and_not1_b32 exec_lo, exec_lo, s0
	s_cbranch_execnz .LBB110_305
; %bb.306:
	s_or_b32 exec_lo, exec_lo, s0
.LBB110_307:
	s_delay_alu instid0(SALU_CYCLE_1)
	s_or_b32 exec_lo, exec_lo, s4
	v_mov_b32_e32 v107, 0
	ds_load_b64 v[107:108], v107 offset:120
	s_waitcnt lgkmcnt(0)
	v_mul_f64 v[95:96], v[95:96], v[107:108]
	scratch_store_b64 off, v[95:96], off offset:120
.LBB110_308:
	s_or_b32 exec_lo, exec_lo, s2
	scratch_load_b64 v[95:96], off, off offset:112
	v_cmp_lt_u32_e64 s0, 14, v0
	s_waitcnt vmcnt(0)
	ds_store_b64 v98, v[95:96]
	s_waitcnt lgkmcnt(0)
	s_waitcnt_vscnt null, 0x0
	s_barrier
	buffer_gl0_inv
	s_and_saveexec_b32 s2, s0
	s_cbranch_execz .LBB110_318
; %bb.309:
	s_and_not1_b32 vcc_lo, exec_lo, s3
	s_cbranch_vccnz .LBB110_311
; %bb.310:
	scratch_load_b64 v[95:96], v99, off
	ds_load_b64 v[107:108], v98
	s_waitcnt vmcnt(0) lgkmcnt(0)
	v_mul_f64 v[95:96], v[95:96], v[107:108]
	s_cbranch_execz .LBB110_312
	s_branch .LBB110_313
.LBB110_311:
                                        ; implicit-def: $vgpr95_vgpr96
.LBB110_312:
	ds_load_b64 v[95:96], v98
.LBB110_313:
	s_and_saveexec_b32 s4, s1
	s_cbranch_execz .LBB110_317
; %bb.314:
	v_dual_mov_b32 v107, 0 :: v_dual_add_nc_u32 v108, -15, v0
	s_movk_i32 s5, 0x1f8
	s_mov_b32 s1, 0
	s_delay_alu instid0(VALU_DEP_1)
	v_add_nc_u32_e32 v107, 0x78, v107
.LBB110_315:                            ; =>This Inner Loop Header: Depth=1
	scratch_load_b64 v[109:110], v107, off
	v_dual_mov_b32 v111, s5 :: v_dual_add_nc_u32 v108, -1, v108
	v_add_nc_u32_e32 v107, 8, v107
	s_add_i32 s5, s5, 8
	ds_load_b64 v[111:112], v111
	v_cmp_eq_u32_e32 vcc_lo, 0, v108
	s_or_b32 s1, vcc_lo, s1
	s_waitcnt vmcnt(0) lgkmcnt(0)
	v_fma_f64 v[95:96], v[109:110], v[111:112], v[95:96]
	s_and_not1_b32 exec_lo, exec_lo, s1
	s_cbranch_execnz .LBB110_315
; %bb.316:
	s_or_b32 exec_lo, exec_lo, s1
.LBB110_317:
	s_delay_alu instid0(SALU_CYCLE_1)
	s_or_b32 exec_lo, exec_lo, s4
	v_mov_b32_e32 v107, 0
	ds_load_b64 v[107:108], v107 offset:112
	s_waitcnt lgkmcnt(0)
	v_mul_f64 v[95:96], v[95:96], v[107:108]
	scratch_store_b64 off, v[95:96], off offset:112
.LBB110_318:
	s_or_b32 exec_lo, exec_lo, s2
	scratch_load_b64 v[95:96], off, off offset:104
	v_cmp_lt_u32_e64 s1, 13, v0
	s_waitcnt vmcnt(0)
	ds_store_b64 v98, v[95:96]
	s_waitcnt lgkmcnt(0)
	s_waitcnt_vscnt null, 0x0
	s_barrier
	buffer_gl0_inv
	s_and_saveexec_b32 s2, s1
	s_cbranch_execz .LBB110_328
; %bb.319:
	s_and_not1_b32 vcc_lo, exec_lo, s3
	s_cbranch_vccnz .LBB110_321
; %bb.320:
	scratch_load_b64 v[95:96], v99, off
	ds_load_b64 v[107:108], v98
	s_waitcnt vmcnt(0) lgkmcnt(0)
	v_mul_f64 v[95:96], v[95:96], v[107:108]
	s_cbranch_execz .LBB110_322
	s_branch .LBB110_323
.LBB110_321:
                                        ; implicit-def: $vgpr95_vgpr96
.LBB110_322:
	ds_load_b64 v[95:96], v98
.LBB110_323:
	s_and_saveexec_b32 s4, s0
	s_cbranch_execz .LBB110_327
; %bb.324:
	v_add_nc_u32_e32 v107, -14, v0
	s_movk_i32 s5, 0x1f0
	s_mov_b32 s0, 0
.LBB110_325:                            ; =>This Inner Loop Header: Depth=1
	scratch_load_b64 v[108:109], v106, off
	v_dual_mov_b32 v110, s5 :: v_dual_add_nc_u32 v107, -1, v107
	v_add_nc_u32_e32 v106, 8, v106
	s_add_i32 s5, s5, 8
	ds_load_b64 v[110:111], v110
	v_cmp_eq_u32_e32 vcc_lo, 0, v107
	s_or_b32 s0, vcc_lo, s0
	s_waitcnt vmcnt(0) lgkmcnt(0)
	v_fma_f64 v[95:96], v[108:109], v[110:111], v[95:96]
	s_and_not1_b32 exec_lo, exec_lo, s0
	s_cbranch_execnz .LBB110_325
; %bb.326:
	s_or_b32 exec_lo, exec_lo, s0
.LBB110_327:
	s_delay_alu instid0(SALU_CYCLE_1)
	s_or_b32 exec_lo, exec_lo, s4
	v_mov_b32_e32 v106, 0
	ds_load_b64 v[106:107], v106 offset:104
	s_waitcnt lgkmcnt(0)
	v_mul_f64 v[95:96], v[95:96], v[106:107]
	scratch_store_b64 off, v[95:96], off offset:104
.LBB110_328:
	s_or_b32 exec_lo, exec_lo, s2
	scratch_load_b64 v[95:96], off, off offset:96
	v_cmp_lt_u32_e64 s0, 12, v0
	s_waitcnt vmcnt(0)
	ds_store_b64 v98, v[95:96]
	s_waitcnt lgkmcnt(0)
	s_waitcnt_vscnt null, 0x0
	s_barrier
	buffer_gl0_inv
	s_and_saveexec_b32 s2, s0
	s_cbranch_execz .LBB110_338
; %bb.329:
	s_and_not1_b32 vcc_lo, exec_lo, s3
	s_cbranch_vccnz .LBB110_331
; %bb.330:
	scratch_load_b64 v[95:96], v99, off
	ds_load_b64 v[106:107], v98
	s_waitcnt vmcnt(0) lgkmcnt(0)
	v_mul_f64 v[95:96], v[95:96], v[106:107]
	s_cbranch_execz .LBB110_332
	s_branch .LBB110_333
.LBB110_331:
                                        ; implicit-def: $vgpr95_vgpr96
.LBB110_332:
	ds_load_b64 v[95:96], v98
.LBB110_333:
	s_and_saveexec_b32 s4, s1
	s_cbranch_execz .LBB110_337
; %bb.334:
	v_dual_mov_b32 v106, 0 :: v_dual_add_nc_u32 v107, -13, v0
	s_movk_i32 s5, 0x1e8
	s_mov_b32 s1, 0
	s_delay_alu instid0(VALU_DEP_1)
	v_add_nc_u32_e32 v106, 0x68, v106
.LBB110_335:                            ; =>This Inner Loop Header: Depth=1
	scratch_load_b64 v[108:109], v106, off
	v_dual_mov_b32 v110, s5 :: v_dual_add_nc_u32 v107, -1, v107
	v_add_nc_u32_e32 v106, 8, v106
	s_add_i32 s5, s5, 8
	ds_load_b64 v[110:111], v110
	v_cmp_eq_u32_e32 vcc_lo, 0, v107
	s_or_b32 s1, vcc_lo, s1
	s_waitcnt vmcnt(0) lgkmcnt(0)
	v_fma_f64 v[95:96], v[108:109], v[110:111], v[95:96]
	s_and_not1_b32 exec_lo, exec_lo, s1
	s_cbranch_execnz .LBB110_335
; %bb.336:
	s_or_b32 exec_lo, exec_lo, s1
.LBB110_337:
	s_delay_alu instid0(SALU_CYCLE_1)
	s_or_b32 exec_lo, exec_lo, s4
	v_mov_b32_e32 v106, 0
	ds_load_b64 v[106:107], v106 offset:96
	s_waitcnt lgkmcnt(0)
	v_mul_f64 v[95:96], v[95:96], v[106:107]
	scratch_store_b64 off, v[95:96], off offset:96
.LBB110_338:
	s_or_b32 exec_lo, exec_lo, s2
	scratch_load_b64 v[95:96], off, off offset:88
	v_cmp_lt_u32_e64 s1, 11, v0
	s_waitcnt vmcnt(0)
	ds_store_b64 v98, v[95:96]
	s_waitcnt lgkmcnt(0)
	s_waitcnt_vscnt null, 0x0
	s_barrier
	buffer_gl0_inv
	s_and_saveexec_b32 s2, s1
	s_cbranch_execz .LBB110_348
; %bb.339:
	s_and_not1_b32 vcc_lo, exec_lo, s3
	s_cbranch_vccnz .LBB110_341
; %bb.340:
	scratch_load_b64 v[95:96], v99, off
	ds_load_b64 v[106:107], v98
	s_waitcnt vmcnt(0) lgkmcnt(0)
	v_mul_f64 v[95:96], v[95:96], v[106:107]
	s_cbranch_execz .LBB110_342
	s_branch .LBB110_343
.LBB110_341:
                                        ; implicit-def: $vgpr95_vgpr96
.LBB110_342:
	ds_load_b64 v[95:96], v98
.LBB110_343:
	s_and_saveexec_b32 s4, s0
	s_cbranch_execz .LBB110_347
; %bb.344:
	v_add_nc_u32_e32 v106, -12, v0
	s_movk_i32 s5, 0x1e0
	s_mov_b32 s0, 0
.LBB110_345:                            ; =>This Inner Loop Header: Depth=1
	scratch_load_b64 v[107:108], v105, off
	v_dual_mov_b32 v109, s5 :: v_dual_add_nc_u32 v106, -1, v106
	v_add_nc_u32_e32 v105, 8, v105
	s_add_i32 s5, s5, 8
	ds_load_b64 v[109:110], v109
	v_cmp_eq_u32_e32 vcc_lo, 0, v106
	s_or_b32 s0, vcc_lo, s0
	s_waitcnt vmcnt(0) lgkmcnt(0)
	v_fma_f64 v[95:96], v[107:108], v[109:110], v[95:96]
	s_and_not1_b32 exec_lo, exec_lo, s0
	s_cbranch_execnz .LBB110_345
; %bb.346:
	s_or_b32 exec_lo, exec_lo, s0
.LBB110_347:
	s_delay_alu instid0(SALU_CYCLE_1)
	s_or_b32 exec_lo, exec_lo, s4
	v_mov_b32_e32 v105, 0
	ds_load_b64 v[105:106], v105 offset:88
	s_waitcnt lgkmcnt(0)
	v_mul_f64 v[95:96], v[95:96], v[105:106]
	scratch_store_b64 off, v[95:96], off offset:88
.LBB110_348:
	s_or_b32 exec_lo, exec_lo, s2
	scratch_load_b64 v[95:96], off, off offset:80
	v_cmp_lt_u32_e64 s0, 10, v0
	s_waitcnt vmcnt(0)
	ds_store_b64 v98, v[95:96]
	s_waitcnt lgkmcnt(0)
	s_waitcnt_vscnt null, 0x0
	s_barrier
	buffer_gl0_inv
	s_and_saveexec_b32 s2, s0
	s_cbranch_execz .LBB110_358
; %bb.349:
	s_and_not1_b32 vcc_lo, exec_lo, s3
	s_cbranch_vccnz .LBB110_351
; %bb.350:
	scratch_load_b64 v[95:96], v99, off
	ds_load_b64 v[105:106], v98
	s_waitcnt vmcnt(0) lgkmcnt(0)
	v_mul_f64 v[95:96], v[95:96], v[105:106]
	s_cbranch_execz .LBB110_352
	s_branch .LBB110_353
.LBB110_351:
                                        ; implicit-def: $vgpr95_vgpr96
.LBB110_352:
	ds_load_b64 v[95:96], v98
.LBB110_353:
	s_and_saveexec_b32 s4, s1
	s_cbranch_execz .LBB110_357
; %bb.354:
	v_dual_mov_b32 v105, 0 :: v_dual_add_nc_u32 v106, -11, v0
	s_movk_i32 s5, 0x1d8
	s_mov_b32 s1, 0
	s_delay_alu instid0(VALU_DEP_1)
	v_add_nc_u32_e32 v105, 0x58, v105
.LBB110_355:                            ; =>This Inner Loop Header: Depth=1
	scratch_load_b64 v[107:108], v105, off
	v_dual_mov_b32 v109, s5 :: v_dual_add_nc_u32 v106, -1, v106
	v_add_nc_u32_e32 v105, 8, v105
	s_add_i32 s5, s5, 8
	ds_load_b64 v[109:110], v109
	v_cmp_eq_u32_e32 vcc_lo, 0, v106
	s_or_b32 s1, vcc_lo, s1
	s_waitcnt vmcnt(0) lgkmcnt(0)
	v_fma_f64 v[95:96], v[107:108], v[109:110], v[95:96]
	s_and_not1_b32 exec_lo, exec_lo, s1
	s_cbranch_execnz .LBB110_355
; %bb.356:
	s_or_b32 exec_lo, exec_lo, s1
.LBB110_357:
	s_delay_alu instid0(SALU_CYCLE_1)
	s_or_b32 exec_lo, exec_lo, s4
	v_mov_b32_e32 v105, 0
	ds_load_b64 v[105:106], v105 offset:80
	s_waitcnt lgkmcnt(0)
	v_mul_f64 v[95:96], v[95:96], v[105:106]
	scratch_store_b64 off, v[95:96], off offset:80
.LBB110_358:
	s_or_b32 exec_lo, exec_lo, s2
	scratch_load_b64 v[95:96], off, off offset:72
	v_cmp_lt_u32_e64 s1, 9, v0
	s_waitcnt vmcnt(0)
	ds_store_b64 v98, v[95:96]
	s_waitcnt lgkmcnt(0)
	s_waitcnt_vscnt null, 0x0
	s_barrier
	buffer_gl0_inv
	s_and_saveexec_b32 s2, s1
	s_cbranch_execz .LBB110_368
; %bb.359:
	s_and_not1_b32 vcc_lo, exec_lo, s3
	s_cbranch_vccnz .LBB110_361
; %bb.360:
	scratch_load_b64 v[95:96], v99, off
	ds_load_b64 v[105:106], v98
	s_waitcnt vmcnt(0) lgkmcnt(0)
	v_mul_f64 v[95:96], v[95:96], v[105:106]
	s_cbranch_execz .LBB110_362
	s_branch .LBB110_363
.LBB110_361:
                                        ; implicit-def: $vgpr95_vgpr96
.LBB110_362:
	ds_load_b64 v[95:96], v98
.LBB110_363:
	s_and_saveexec_b32 s4, s0
	s_cbranch_execz .LBB110_367
; %bb.364:
	v_add_nc_u32_e32 v105, -10, v0
	s_movk_i32 s5, 0x1d0
	s_mov_b32 s0, 0
.LBB110_365:                            ; =>This Inner Loop Header: Depth=1
	scratch_load_b64 v[106:107], v104, off
	v_dual_mov_b32 v108, s5 :: v_dual_add_nc_u32 v105, -1, v105
	v_add_nc_u32_e32 v104, 8, v104
	s_add_i32 s5, s5, 8
	ds_load_b64 v[108:109], v108
	v_cmp_eq_u32_e32 vcc_lo, 0, v105
	s_or_b32 s0, vcc_lo, s0
	s_waitcnt vmcnt(0) lgkmcnt(0)
	v_fma_f64 v[95:96], v[106:107], v[108:109], v[95:96]
	s_and_not1_b32 exec_lo, exec_lo, s0
	s_cbranch_execnz .LBB110_365
; %bb.366:
	s_or_b32 exec_lo, exec_lo, s0
.LBB110_367:
	s_delay_alu instid0(SALU_CYCLE_1)
	s_or_b32 exec_lo, exec_lo, s4
	v_mov_b32_e32 v104, 0
	ds_load_b64 v[104:105], v104 offset:72
	s_waitcnt lgkmcnt(0)
	v_mul_f64 v[95:96], v[95:96], v[104:105]
	scratch_store_b64 off, v[95:96], off offset:72
.LBB110_368:
	s_or_b32 exec_lo, exec_lo, s2
	scratch_load_b64 v[95:96], off, off offset:64
	v_cmp_lt_u32_e64 s0, 8, v0
	s_waitcnt vmcnt(0)
	ds_store_b64 v98, v[95:96]
	s_waitcnt lgkmcnt(0)
	s_waitcnt_vscnt null, 0x0
	s_barrier
	buffer_gl0_inv
	s_and_saveexec_b32 s2, s0
	s_cbranch_execz .LBB110_378
; %bb.369:
	s_and_not1_b32 vcc_lo, exec_lo, s3
	s_cbranch_vccnz .LBB110_371
; %bb.370:
	scratch_load_b64 v[95:96], v99, off
	ds_load_b64 v[104:105], v98
	s_waitcnt vmcnt(0) lgkmcnt(0)
	v_mul_f64 v[95:96], v[95:96], v[104:105]
	s_cbranch_execz .LBB110_372
	s_branch .LBB110_373
.LBB110_371:
                                        ; implicit-def: $vgpr95_vgpr96
.LBB110_372:
	ds_load_b64 v[95:96], v98
.LBB110_373:
	s_and_saveexec_b32 s4, s1
	s_cbranch_execz .LBB110_377
; %bb.374:
	v_dual_mov_b32 v104, 0 :: v_dual_add_nc_u32 v105, -9, v0
	s_movk_i32 s5, 0x1c8
	s_mov_b32 s1, 0
	s_delay_alu instid0(VALU_DEP_1)
	v_add_nc_u32_e32 v104, 0x48, v104
.LBB110_375:                            ; =>This Inner Loop Header: Depth=1
	scratch_load_b64 v[106:107], v104, off
	v_dual_mov_b32 v108, s5 :: v_dual_add_nc_u32 v105, -1, v105
	v_add_nc_u32_e32 v104, 8, v104
	s_add_i32 s5, s5, 8
	ds_load_b64 v[108:109], v108
	v_cmp_eq_u32_e32 vcc_lo, 0, v105
	s_or_b32 s1, vcc_lo, s1
	s_waitcnt vmcnt(0) lgkmcnt(0)
	v_fma_f64 v[95:96], v[106:107], v[108:109], v[95:96]
	s_and_not1_b32 exec_lo, exec_lo, s1
	s_cbranch_execnz .LBB110_375
; %bb.376:
	s_or_b32 exec_lo, exec_lo, s1
.LBB110_377:
	s_delay_alu instid0(SALU_CYCLE_1)
	s_or_b32 exec_lo, exec_lo, s4
	v_mov_b32_e32 v104, 0
	ds_load_b64 v[104:105], v104 offset:64
	s_waitcnt lgkmcnt(0)
	v_mul_f64 v[95:96], v[95:96], v[104:105]
	scratch_store_b64 off, v[95:96], off offset:64
.LBB110_378:
	s_or_b32 exec_lo, exec_lo, s2
	scratch_load_b64 v[95:96], off, off offset:56
	v_cmp_lt_u32_e64 s1, 7, v0
	s_waitcnt vmcnt(0)
	ds_store_b64 v98, v[95:96]
	s_waitcnt lgkmcnt(0)
	s_waitcnt_vscnt null, 0x0
	s_barrier
	buffer_gl0_inv
	s_and_saveexec_b32 s2, s1
	s_cbranch_execz .LBB110_388
; %bb.379:
	s_and_not1_b32 vcc_lo, exec_lo, s3
	s_cbranch_vccnz .LBB110_381
; %bb.380:
	scratch_load_b64 v[95:96], v99, off
	ds_load_b64 v[104:105], v98
	s_waitcnt vmcnt(0) lgkmcnt(0)
	v_mul_f64 v[95:96], v[95:96], v[104:105]
	s_cbranch_execz .LBB110_382
	s_branch .LBB110_383
.LBB110_381:
                                        ; implicit-def: $vgpr95_vgpr96
.LBB110_382:
	ds_load_b64 v[95:96], v98
.LBB110_383:
	s_and_saveexec_b32 s4, s0
	s_cbranch_execz .LBB110_387
; %bb.384:
	v_add_nc_u32_e32 v104, -8, v0
	s_movk_i32 s5, 0x1c0
	s_mov_b32 s0, 0
.LBB110_385:                            ; =>This Inner Loop Header: Depth=1
	scratch_load_b64 v[105:106], v103, off
	v_dual_mov_b32 v107, s5 :: v_dual_add_nc_u32 v104, -1, v104
	v_add_nc_u32_e32 v103, 8, v103
	s_add_i32 s5, s5, 8
	ds_load_b64 v[107:108], v107
	v_cmp_eq_u32_e32 vcc_lo, 0, v104
	s_or_b32 s0, vcc_lo, s0
	s_waitcnt vmcnt(0) lgkmcnt(0)
	v_fma_f64 v[95:96], v[105:106], v[107:108], v[95:96]
	s_and_not1_b32 exec_lo, exec_lo, s0
	s_cbranch_execnz .LBB110_385
; %bb.386:
	s_or_b32 exec_lo, exec_lo, s0
.LBB110_387:
	s_delay_alu instid0(SALU_CYCLE_1)
	s_or_b32 exec_lo, exec_lo, s4
	v_mov_b32_e32 v103, 0
	ds_load_b64 v[103:104], v103 offset:56
	s_waitcnt lgkmcnt(0)
	v_mul_f64 v[95:96], v[95:96], v[103:104]
	scratch_store_b64 off, v[95:96], off offset:56
.LBB110_388:
	s_or_b32 exec_lo, exec_lo, s2
	scratch_load_b64 v[95:96], off, off offset:48
	v_cmp_lt_u32_e64 s0, 6, v0
	s_waitcnt vmcnt(0)
	ds_store_b64 v98, v[95:96]
	s_waitcnt lgkmcnt(0)
	s_waitcnt_vscnt null, 0x0
	s_barrier
	buffer_gl0_inv
	s_and_saveexec_b32 s2, s0
	s_cbranch_execz .LBB110_398
; %bb.389:
	s_and_not1_b32 vcc_lo, exec_lo, s3
	s_cbranch_vccnz .LBB110_391
; %bb.390:
	scratch_load_b64 v[95:96], v99, off
	ds_load_b64 v[103:104], v98
	s_waitcnt vmcnt(0) lgkmcnt(0)
	v_mul_f64 v[95:96], v[95:96], v[103:104]
	s_cbranch_execz .LBB110_392
	s_branch .LBB110_393
.LBB110_391:
                                        ; implicit-def: $vgpr95_vgpr96
.LBB110_392:
	ds_load_b64 v[95:96], v98
.LBB110_393:
	s_and_saveexec_b32 s4, s1
	s_cbranch_execz .LBB110_397
; %bb.394:
	v_add_nc_u32_e64 v103, 0, 56
	v_add_nc_u32_e32 v104, -7, v0
	s_movk_i32 s5, 0x1b8
	s_mov_b32 s1, 0
.LBB110_395:                            ; =>This Inner Loop Header: Depth=1
	scratch_load_b64 v[105:106], v103, off
	v_dual_mov_b32 v107, s5 :: v_dual_add_nc_u32 v104, -1, v104
	v_add_nc_u32_e32 v103, 8, v103
	s_add_i32 s5, s5, 8
	ds_load_b64 v[107:108], v107
	v_cmp_eq_u32_e32 vcc_lo, 0, v104
	s_or_b32 s1, vcc_lo, s1
	s_waitcnt vmcnt(0) lgkmcnt(0)
	v_fma_f64 v[95:96], v[105:106], v[107:108], v[95:96]
	s_and_not1_b32 exec_lo, exec_lo, s1
	s_cbranch_execnz .LBB110_395
; %bb.396:
	s_or_b32 exec_lo, exec_lo, s1
.LBB110_397:
	s_delay_alu instid0(SALU_CYCLE_1)
	s_or_b32 exec_lo, exec_lo, s4
	v_mov_b32_e32 v103, 0
	ds_load_b64 v[103:104], v103 offset:48
	s_waitcnt lgkmcnt(0)
	v_mul_f64 v[95:96], v[95:96], v[103:104]
	scratch_store_b64 off, v[95:96], off offset:48
.LBB110_398:
	s_or_b32 exec_lo, exec_lo, s2
	scratch_load_b64 v[95:96], off, off offset:40
	v_cmp_lt_u32_e64 s1, 5, v0
	s_waitcnt vmcnt(0)
	ds_store_b64 v98, v[95:96]
	s_waitcnt lgkmcnt(0)
	s_waitcnt_vscnt null, 0x0
	s_barrier
	buffer_gl0_inv
	s_and_saveexec_b32 s2, s1
	s_cbranch_execz .LBB110_408
; %bb.399:
	s_and_not1_b32 vcc_lo, exec_lo, s3
	s_cbranch_vccnz .LBB110_401
; %bb.400:
	scratch_load_b64 v[95:96], v99, off
	ds_load_b64 v[103:104], v98
	s_waitcnt vmcnt(0) lgkmcnt(0)
	v_mul_f64 v[95:96], v[95:96], v[103:104]
	s_cbranch_execz .LBB110_402
	s_branch .LBB110_403
.LBB110_401:
                                        ; implicit-def: $vgpr95_vgpr96
.LBB110_402:
	ds_load_b64 v[95:96], v98
.LBB110_403:
	s_and_saveexec_b32 s4, s0
	s_cbranch_execz .LBB110_407
; %bb.404:
	v_add_nc_u32_e32 v103, -6, v0
	s_movk_i32 s5, 0x1b0
	s_mov_b32 s0, 0
.LBB110_405:                            ; =>This Inner Loop Header: Depth=1
	scratch_load_b64 v[104:105], v102, off
	v_dual_mov_b32 v106, s5 :: v_dual_add_nc_u32 v103, -1, v103
	v_add_nc_u32_e32 v102, 8, v102
	s_add_i32 s5, s5, 8
	ds_load_b64 v[106:107], v106
	v_cmp_eq_u32_e32 vcc_lo, 0, v103
	s_or_b32 s0, vcc_lo, s0
	s_waitcnt vmcnt(0) lgkmcnt(0)
	v_fma_f64 v[95:96], v[104:105], v[106:107], v[95:96]
	s_and_not1_b32 exec_lo, exec_lo, s0
	s_cbranch_execnz .LBB110_405
; %bb.406:
	s_or_b32 exec_lo, exec_lo, s0
.LBB110_407:
	s_delay_alu instid0(SALU_CYCLE_1)
	s_or_b32 exec_lo, exec_lo, s4
	v_mov_b32_e32 v102, 0
	ds_load_b64 v[102:103], v102 offset:40
	s_waitcnt lgkmcnt(0)
	v_mul_f64 v[95:96], v[95:96], v[102:103]
	scratch_store_b64 off, v[95:96], off offset:40
.LBB110_408:
	s_or_b32 exec_lo, exec_lo, s2
	scratch_load_b64 v[95:96], off, off offset:32
	v_cmp_lt_u32_e64 s0, 4, v0
	s_waitcnt vmcnt(0)
	ds_store_b64 v98, v[95:96]
	s_waitcnt lgkmcnt(0)
	s_waitcnt_vscnt null, 0x0
	s_barrier
	buffer_gl0_inv
	s_and_saveexec_b32 s2, s0
	s_cbranch_execz .LBB110_418
; %bb.409:
	s_and_not1_b32 vcc_lo, exec_lo, s3
	s_cbranch_vccnz .LBB110_411
; %bb.410:
	scratch_load_b64 v[95:96], v99, off
	ds_load_b64 v[102:103], v98
	s_waitcnt vmcnt(0) lgkmcnt(0)
	v_mul_f64 v[95:96], v[95:96], v[102:103]
	s_cbranch_execz .LBB110_412
	s_branch .LBB110_413
.LBB110_411:
                                        ; implicit-def: $vgpr95_vgpr96
.LBB110_412:
	ds_load_b64 v[95:96], v98
.LBB110_413:
	s_and_saveexec_b32 s4, s1
	s_cbranch_execz .LBB110_417
; %bb.414:
	v_add_nc_u32_e64 v102, 0, 40
	v_add_nc_u32_e32 v103, -5, v0
	s_movk_i32 s5, 0x1a8
	s_mov_b32 s1, 0
.LBB110_415:                            ; =>This Inner Loop Header: Depth=1
	scratch_load_b64 v[104:105], v102, off
	v_dual_mov_b32 v106, s5 :: v_dual_add_nc_u32 v103, -1, v103
	v_add_nc_u32_e32 v102, 8, v102
	s_add_i32 s5, s5, 8
	ds_load_b64 v[106:107], v106
	v_cmp_eq_u32_e32 vcc_lo, 0, v103
	s_or_b32 s1, vcc_lo, s1
	s_waitcnt vmcnt(0) lgkmcnt(0)
	v_fma_f64 v[95:96], v[104:105], v[106:107], v[95:96]
	s_and_not1_b32 exec_lo, exec_lo, s1
	s_cbranch_execnz .LBB110_415
; %bb.416:
	s_or_b32 exec_lo, exec_lo, s1
.LBB110_417:
	s_delay_alu instid0(SALU_CYCLE_1)
	s_or_b32 exec_lo, exec_lo, s4
	v_mov_b32_e32 v102, 0
	ds_load_b64 v[102:103], v102 offset:32
	s_waitcnt lgkmcnt(0)
	v_mul_f64 v[95:96], v[95:96], v[102:103]
	scratch_store_b64 off, v[95:96], off offset:32
.LBB110_418:
	s_or_b32 exec_lo, exec_lo, s2
	scratch_load_b64 v[95:96], off, off offset:24
	v_cmp_lt_u32_e64 s1, 3, v0
	s_waitcnt vmcnt(0)
	ds_store_b64 v98, v[95:96]
	s_waitcnt lgkmcnt(0)
	s_waitcnt_vscnt null, 0x0
	s_barrier
	buffer_gl0_inv
	s_and_saveexec_b32 s2, s1
	s_cbranch_execz .LBB110_428
; %bb.419:
	s_and_not1_b32 vcc_lo, exec_lo, s3
	s_cbranch_vccnz .LBB110_421
; %bb.420:
	scratch_load_b64 v[95:96], v99, off
	ds_load_b64 v[102:103], v98
	s_waitcnt vmcnt(0) lgkmcnt(0)
	v_mul_f64 v[95:96], v[95:96], v[102:103]
	s_cbranch_execz .LBB110_422
	s_branch .LBB110_423
.LBB110_421:
                                        ; implicit-def: $vgpr95_vgpr96
.LBB110_422:
	ds_load_b64 v[95:96], v98
.LBB110_423:
	s_and_saveexec_b32 s4, s0
	s_cbranch_execz .LBB110_427
; %bb.424:
	v_add_nc_u32_e32 v102, -4, v0
	s_movk_i32 s5, 0x1a0
	s_mov_b32 s0, 0
.LBB110_425:                            ; =>This Inner Loop Header: Depth=1
	scratch_load_b64 v[103:104], v101, off
	v_dual_mov_b32 v105, s5 :: v_dual_add_nc_u32 v102, -1, v102
	v_add_nc_u32_e32 v101, 8, v101
	s_add_i32 s5, s5, 8
	ds_load_b64 v[105:106], v105
	v_cmp_eq_u32_e32 vcc_lo, 0, v102
	s_or_b32 s0, vcc_lo, s0
	s_waitcnt vmcnt(0) lgkmcnt(0)
	v_fma_f64 v[95:96], v[103:104], v[105:106], v[95:96]
	s_and_not1_b32 exec_lo, exec_lo, s0
	s_cbranch_execnz .LBB110_425
; %bb.426:
	s_or_b32 exec_lo, exec_lo, s0
.LBB110_427:
	s_delay_alu instid0(SALU_CYCLE_1)
	s_or_b32 exec_lo, exec_lo, s4
	v_mov_b32_e32 v101, 0
	ds_load_b64 v[101:102], v101 offset:24
	s_waitcnt lgkmcnt(0)
	v_mul_f64 v[95:96], v[95:96], v[101:102]
	scratch_store_b64 off, v[95:96], off offset:24
.LBB110_428:
	s_or_b32 exec_lo, exec_lo, s2
	scratch_load_b64 v[95:96], off, off offset:16
	v_cmp_lt_u32_e64 s0, 2, v0
	s_waitcnt vmcnt(0)
	ds_store_b64 v98, v[95:96]
	s_waitcnt lgkmcnt(0)
	s_waitcnt_vscnt null, 0x0
	s_barrier
	buffer_gl0_inv
	s_and_saveexec_b32 s2, s0
	s_cbranch_execz .LBB110_438
; %bb.429:
	s_and_not1_b32 vcc_lo, exec_lo, s3
	s_cbranch_vccnz .LBB110_431
; %bb.430:
	scratch_load_b64 v[95:96], v99, off
	ds_load_b64 v[101:102], v98
	s_waitcnt vmcnt(0) lgkmcnt(0)
	v_mul_f64 v[95:96], v[95:96], v[101:102]
	s_cbranch_execz .LBB110_432
	s_branch .LBB110_433
.LBB110_431:
                                        ; implicit-def: $vgpr95_vgpr96
.LBB110_432:
	ds_load_b64 v[95:96], v98
.LBB110_433:
	s_and_saveexec_b32 s4, s1
	s_cbranch_execz .LBB110_437
; %bb.434:
	v_add_nc_u32_e64 v101, 0, 24
	v_add_nc_u32_e32 v102, -3, v0
	s_movk_i32 s5, 0x198
	s_mov_b32 s1, 0
.LBB110_435:                            ; =>This Inner Loop Header: Depth=1
	scratch_load_b64 v[103:104], v101, off
	v_dual_mov_b32 v105, s5 :: v_dual_add_nc_u32 v102, -1, v102
	v_add_nc_u32_e32 v101, 8, v101
	s_add_i32 s5, s5, 8
	ds_load_b64 v[105:106], v105
	v_cmp_eq_u32_e32 vcc_lo, 0, v102
	s_or_b32 s1, vcc_lo, s1
	s_waitcnt vmcnt(0) lgkmcnt(0)
	v_fma_f64 v[95:96], v[103:104], v[105:106], v[95:96]
	s_and_not1_b32 exec_lo, exec_lo, s1
	s_cbranch_execnz .LBB110_435
; %bb.436:
	s_or_b32 exec_lo, exec_lo, s1
.LBB110_437:
	s_delay_alu instid0(SALU_CYCLE_1)
	s_or_b32 exec_lo, exec_lo, s4
	v_mov_b32_e32 v101, 0
	ds_load_b64 v[101:102], v101 offset:16
	s_waitcnt lgkmcnt(0)
	v_mul_f64 v[95:96], v[95:96], v[101:102]
	scratch_store_b64 off, v[95:96], off offset:16
.LBB110_438:
	s_or_b32 exec_lo, exec_lo, s2
	scratch_load_b64 v[95:96], off, off offset:8
	v_cmp_lt_u32_e64 s1, 1, v0
	s_waitcnt vmcnt(0)
	ds_store_b64 v98, v[95:96]
	s_waitcnt lgkmcnt(0)
	s_waitcnt_vscnt null, 0x0
	s_barrier
	buffer_gl0_inv
	s_and_saveexec_b32 s2, s1
	s_cbranch_execz .LBB110_448
; %bb.439:
	s_and_not1_b32 vcc_lo, exec_lo, s3
	s_cbranch_vccnz .LBB110_441
; %bb.440:
	scratch_load_b64 v[95:96], v99, off
	ds_load_b64 v[101:102], v98
	s_waitcnt vmcnt(0) lgkmcnt(0)
	v_mul_f64 v[95:96], v[95:96], v[101:102]
	s_cbranch_execz .LBB110_442
	s_branch .LBB110_443
.LBB110_441:
                                        ; implicit-def: $vgpr95_vgpr96
.LBB110_442:
	ds_load_b64 v[95:96], v98
.LBB110_443:
	s_and_saveexec_b32 s4, s0
	s_cbranch_execz .LBB110_447
; %bb.444:
	v_add_nc_u32_e32 v101, -2, v0
	s_movk_i32 s5, 0x190
	s_mov_b32 s0, 0
.LBB110_445:                            ; =>This Inner Loop Header: Depth=1
	scratch_load_b64 v[102:103], v100, off
	v_dual_mov_b32 v104, s5 :: v_dual_add_nc_u32 v101, -1, v101
	v_add_nc_u32_e32 v100, 8, v100
	s_add_i32 s5, s5, 8
	ds_load_b64 v[104:105], v104
	v_cmp_eq_u32_e32 vcc_lo, 0, v101
	s_or_b32 s0, vcc_lo, s0
	s_waitcnt vmcnt(0) lgkmcnt(0)
	v_fma_f64 v[95:96], v[102:103], v[104:105], v[95:96]
	s_and_not1_b32 exec_lo, exec_lo, s0
	s_cbranch_execnz .LBB110_445
; %bb.446:
	s_or_b32 exec_lo, exec_lo, s0
.LBB110_447:
	s_delay_alu instid0(SALU_CYCLE_1)
	s_or_b32 exec_lo, exec_lo, s4
	v_mov_b32_e32 v100, 0
	ds_load_b64 v[100:101], v100 offset:8
	s_waitcnt lgkmcnt(0)
	v_mul_f64 v[95:96], v[95:96], v[100:101]
	scratch_store_b64 off, v[95:96], off offset:8
.LBB110_448:
	s_or_b32 exec_lo, exec_lo, s2
	scratch_load_b64 v[95:96], off, off
	s_mov_b32 s0, 0
	s_mov_b32 s2, exec_lo
	s_waitcnt vmcnt(0)
	ds_store_b64 v98, v[95:96]
	s_waitcnt lgkmcnt(0)
	s_waitcnt_vscnt null, 0x0
	s_barrier
	buffer_gl0_inv
	v_cmpx_ne_u32_e32 0, v0
	s_cbranch_execz .LBB110_458
; %bb.449:
	s_and_not1_b32 vcc_lo, exec_lo, s3
	s_cbranch_vccnz .LBB110_451
; %bb.450:
	scratch_load_b64 v[95:96], v99, off
	ds_load_b64 v[100:101], v98
	s_waitcnt vmcnt(0) lgkmcnt(0)
	v_mul_f64 v[95:96], v[95:96], v[100:101]
	s_cbranch_execz .LBB110_452
	s_branch .LBB110_453
.LBB110_451:
                                        ; implicit-def: $vgpr95_vgpr96
.LBB110_452:
	ds_load_b64 v[95:96], v98
.LBB110_453:
	s_and_saveexec_b32 s4, s1
	s_cbranch_execz .LBB110_457
; %bb.454:
	v_or_b32_e64 v100, 0, 8
	v_add_nc_u32_e32 v101, -1, v0
	s_movk_i32 s5, 0x188
	s_mov_b32 s1, 0
.LBB110_455:                            ; =>This Inner Loop Header: Depth=1
	scratch_load_b64 v[102:103], v100, off
	v_dual_mov_b32 v104, s5 :: v_dual_add_nc_u32 v101, -1, v101
	v_add_nc_u32_e32 v100, 8, v100
	s_add_i32 s5, s5, 8
	ds_load_b64 v[104:105], v104
	v_cmp_eq_u32_e32 vcc_lo, 0, v101
	s_or_b32 s1, vcc_lo, s1
	s_waitcnt vmcnt(0) lgkmcnt(0)
	v_fma_f64 v[95:96], v[102:103], v[104:105], v[95:96]
	s_and_not1_b32 exec_lo, exec_lo, s1
	s_cbranch_execnz .LBB110_455
; %bb.456:
	s_or_b32 exec_lo, exec_lo, s1
.LBB110_457:
	s_delay_alu instid0(SALU_CYCLE_1)
	s_or_b32 exec_lo, exec_lo, s4
	v_mov_b32_e32 v100, 0
	ds_load_b64 v[100:101], v100
	s_waitcnt lgkmcnt(0)
	v_mul_f64 v[95:96], v[95:96], v[100:101]
	scratch_store_b64 off, v[95:96], off
.LBB110_458:
	s_or_b32 exec_lo, exec_lo, s2
.LBB110_459:
	s_delay_alu instid0(SALU_CYCLE_1)
	s_and_b32 vcc_lo, exec_lo, s0
	s_cbranch_vccz .LBB110_915
; %bb.460:
	scratch_load_b64 v[95:96], off, off offset:8
	v_cmp_eq_u32_e64 s0, 0, v0
	s_waitcnt vmcnt(0)
	ds_store_b64 v98, v[95:96]
	s_waitcnt lgkmcnt(0)
	s_waitcnt_vscnt null, 0x0
	s_barrier
	buffer_gl0_inv
	s_and_saveexec_b32 s1, s0
	s_cbranch_execz .LBB110_466
; %bb.461:
	s_and_b32 vcc_lo, exec_lo, s3
	s_cbranch_vccz .LBB110_463
; %bb.462:
	scratch_load_b64 v[95:96], v99, off
	ds_load_b64 v[100:101], v98
	s_waitcnt vmcnt(0) lgkmcnt(0)
	v_mul_f64 v[95:96], v[95:96], v[100:101]
	s_cbranch_execz .LBB110_464
	s_branch .LBB110_465
.LBB110_463:
                                        ; implicit-def: $vgpr95_vgpr96
.LBB110_464:
	ds_load_b64 v[95:96], v98
.LBB110_465:
	v_mov_b32_e32 v100, 0
	ds_load_b64 v[100:101], v100 offset:8
	s_waitcnt lgkmcnt(0)
	v_mul_f64 v[95:96], v[95:96], v[100:101]
	scratch_store_b64 off, v[95:96], off offset:8
.LBB110_466:
	s_or_b32 exec_lo, exec_lo, s1
	scratch_load_b64 v[95:96], off, off offset:16
	v_cndmask_b32_e64 v100, 0, 1, s3
	s_mov_b32 s1, exec_lo
	s_waitcnt vmcnt(0)
	ds_store_b64 v98, v[95:96]
	s_waitcnt lgkmcnt(0)
	s_waitcnt_vscnt null, 0x0
	s_barrier
	buffer_gl0_inv
	v_cmpx_gt_u32_e32 2, v0
	s_cbranch_execz .LBB110_474
; %bb.467:
	s_and_not1_b32 vcc_lo, exec_lo, s3
	s_cbranch_vccnz .LBB110_469
; %bb.468:
	scratch_load_b64 v[95:96], v99, off
	ds_load_b64 v[101:102], v98
	s_waitcnt vmcnt(0) lgkmcnt(0)
	v_mul_f64 v[95:96], v[95:96], v[101:102]
	s_cbranch_execz .LBB110_470
	s_branch .LBB110_471
.LBB110_469:
                                        ; implicit-def: $vgpr95_vgpr96
.LBB110_470:
	ds_load_b64 v[95:96], v98
.LBB110_471:
	s_and_saveexec_b32 s2, s0
	s_cbranch_execz .LBB110_473
; %bb.472:
	scratch_load_b64 v[101:102], v99, off offset:8
	ds_load_b64 v[103:104], v98 offset:8
	s_waitcnt vmcnt(0) lgkmcnt(0)
	v_fma_f64 v[95:96], v[101:102], v[103:104], v[95:96]
.LBB110_473:
	s_or_b32 exec_lo, exec_lo, s2
	v_mov_b32_e32 v101, 0
	ds_load_b64 v[101:102], v101 offset:16
	s_waitcnt lgkmcnt(0)
	v_mul_f64 v[95:96], v[95:96], v[101:102]
	scratch_store_b64 off, v[95:96], off offset:16
.LBB110_474:
	s_or_b32 exec_lo, exec_lo, s1
	scratch_load_b64 v[95:96], off, off offset:24
	s_mov_b32 s1, exec_lo
	s_waitcnt vmcnt(0)
	ds_store_b64 v98, v[95:96]
	s_waitcnt lgkmcnt(0)
	s_waitcnt_vscnt null, 0x0
	s_barrier
	buffer_gl0_inv
	v_cmpx_gt_u32_e32 3, v0
	s_cbranch_execz .LBB110_484
; %bb.475:
	v_cmp_ne_u32_e32 vcc_lo, 1, v100
	s_cbranch_vccnz .LBB110_477
; %bb.476:
	scratch_load_b64 v[95:96], v99, off
	ds_load_b64 v[101:102], v98
	s_waitcnt vmcnt(0) lgkmcnt(0)
	v_mul_f64 v[95:96], v[95:96], v[101:102]
	s_cbranch_execz .LBB110_478
	s_branch .LBB110_479
.LBB110_477:
                                        ; implicit-def: $vgpr95_vgpr96
.LBB110_478:
	ds_load_b64 v[95:96], v98
.LBB110_479:
	s_mov_b32 s2, exec_lo
	v_cmpx_ne_u32_e32 2, v0
	s_cbranch_execz .LBB110_483
; %bb.480:
	scratch_load_b64 v[101:102], v99, off offset:8
	ds_load_b64 v[103:104], v98 offset:8
	s_waitcnt vmcnt(0) lgkmcnt(0)
	v_fma_f64 v[95:96], v[101:102], v[103:104], v[95:96]
	s_and_saveexec_b32 s3, s0
	s_cbranch_execz .LBB110_482
; %bb.481:
	scratch_load_b64 v[101:102], off, off offset:16
	v_mov_b32_e32 v103, 0
	ds_load_b64 v[103:104], v103 offset:400
	s_waitcnt vmcnt(0) lgkmcnt(0)
	v_fma_f64 v[95:96], v[101:102], v[103:104], v[95:96]
.LBB110_482:
	s_or_b32 exec_lo, exec_lo, s3
.LBB110_483:
	s_delay_alu instid0(SALU_CYCLE_1)
	s_or_b32 exec_lo, exec_lo, s2
	v_mov_b32_e32 v101, 0
	ds_load_b64 v[101:102], v101 offset:24
	s_waitcnt lgkmcnt(0)
	v_mul_f64 v[95:96], v[95:96], v[101:102]
	scratch_store_b64 off, v[95:96], off offset:24
.LBB110_484:
	s_or_b32 exec_lo, exec_lo, s1
	scratch_load_b64 v[95:96], off, off offset:32
	s_mov_b32 s0, exec_lo
	s_waitcnt vmcnt(0)
	ds_store_b64 v98, v[95:96]
	s_waitcnt lgkmcnt(0)
	s_waitcnt_vscnt null, 0x0
	s_barrier
	buffer_gl0_inv
	v_cmpx_gt_u32_e32 4, v0
	s_cbranch_execz .LBB110_494
; %bb.485:
	v_cmp_ne_u32_e32 vcc_lo, 1, v100
	s_cbranch_vccnz .LBB110_487
; %bb.486:
	scratch_load_b64 v[95:96], v99, off
	ds_load_b64 v[101:102], v98
	s_waitcnt vmcnt(0) lgkmcnt(0)
	v_mul_f64 v[95:96], v[95:96], v[101:102]
	s_cbranch_execz .LBB110_488
	s_branch .LBB110_489
.LBB110_487:
                                        ; implicit-def: $vgpr95_vgpr96
.LBB110_488:
	ds_load_b64 v[95:96], v98
.LBB110_489:
	s_mov_b32 s1, exec_lo
	v_cmpx_ne_u32_e32 3, v0
	s_cbranch_execz .LBB110_493
; %bb.490:
	v_add_nc_u32_e32 v101, 0x188, v97
	v_add3_u32 v102, 0, v97, 8
	v_mov_b32_e32 v103, v0
	s_mov_b32 s2, 0
.LBB110_491:                            ; =>This Inner Loop Header: Depth=1
	scratch_load_b64 v[104:105], v102, off
	ds_load_b64 v[106:107], v101
	v_add_nc_u32_e32 v103, 1, v103
	v_add_nc_u32_e32 v101, 8, v101
	v_add_nc_u32_e32 v102, 8, v102
	s_delay_alu instid0(VALU_DEP_3)
	v_cmp_lt_u32_e32 vcc_lo, 2, v103
	s_or_b32 s2, vcc_lo, s2
	s_waitcnt vmcnt(0) lgkmcnt(0)
	v_fma_f64 v[95:96], v[104:105], v[106:107], v[95:96]
	s_and_not1_b32 exec_lo, exec_lo, s2
	s_cbranch_execnz .LBB110_491
; %bb.492:
	s_or_b32 exec_lo, exec_lo, s2
.LBB110_493:
	s_delay_alu instid0(SALU_CYCLE_1)
	s_or_b32 exec_lo, exec_lo, s1
	v_mov_b32_e32 v101, 0
	ds_load_b64 v[101:102], v101 offset:32
	s_waitcnt lgkmcnt(0)
	v_mul_f64 v[95:96], v[95:96], v[101:102]
	scratch_store_b64 off, v[95:96], off offset:32
.LBB110_494:
	s_or_b32 exec_lo, exec_lo, s0
	scratch_load_b64 v[95:96], off, off offset:40
	s_mov_b32 s0, exec_lo
	s_waitcnt vmcnt(0)
	ds_store_b64 v98, v[95:96]
	s_waitcnt lgkmcnt(0)
	s_waitcnt_vscnt null, 0x0
	s_barrier
	buffer_gl0_inv
	v_cmpx_gt_u32_e32 5, v0
	s_cbranch_execz .LBB110_504
; %bb.495:
	v_cmp_ne_u32_e32 vcc_lo, 1, v100
	s_cbranch_vccnz .LBB110_497
; %bb.496:
	scratch_load_b64 v[95:96], v99, off
	ds_load_b64 v[101:102], v98
	s_waitcnt vmcnt(0) lgkmcnt(0)
	v_mul_f64 v[95:96], v[95:96], v[101:102]
	s_cbranch_execz .LBB110_498
	s_branch .LBB110_499
.LBB110_497:
                                        ; implicit-def: $vgpr95_vgpr96
.LBB110_498:
	ds_load_b64 v[95:96], v98
.LBB110_499:
	s_mov_b32 s1, exec_lo
	v_cmpx_ne_u32_e32 4, v0
	s_cbranch_execz .LBB110_503
; %bb.500:
	v_add_nc_u32_e32 v101, 0x188, v97
	v_add3_u32 v102, 0, v97, 8
	v_mov_b32_e32 v103, v0
	s_mov_b32 s2, 0
.LBB110_501:                            ; =>This Inner Loop Header: Depth=1
	scratch_load_b64 v[104:105], v102, off
	ds_load_b64 v[106:107], v101
	v_add_nc_u32_e32 v103, 1, v103
	v_add_nc_u32_e32 v101, 8, v101
	v_add_nc_u32_e32 v102, 8, v102
	s_delay_alu instid0(VALU_DEP_3)
	v_cmp_lt_u32_e32 vcc_lo, 3, v103
	s_or_b32 s2, vcc_lo, s2
	s_waitcnt vmcnt(0) lgkmcnt(0)
	v_fma_f64 v[95:96], v[104:105], v[106:107], v[95:96]
	s_and_not1_b32 exec_lo, exec_lo, s2
	s_cbranch_execnz .LBB110_501
; %bb.502:
	s_or_b32 exec_lo, exec_lo, s2
.LBB110_503:
	s_delay_alu instid0(SALU_CYCLE_1)
	s_or_b32 exec_lo, exec_lo, s1
	v_mov_b32_e32 v101, 0
	ds_load_b64 v[101:102], v101 offset:40
	s_waitcnt lgkmcnt(0)
	v_mul_f64 v[95:96], v[95:96], v[101:102]
	scratch_store_b64 off, v[95:96], off offset:40
.LBB110_504:
	;; [unrolled: 58-line block ×41, first 2 shown]
	s_or_b32 exec_lo, exec_lo, s0
	scratch_load_b64 v[95:96], off, off offset:360
	v_cmp_gt_u32_e64 s0, 45, v0
	s_waitcnt vmcnt(0)
	ds_store_b64 v98, v[95:96]
	s_waitcnt lgkmcnt(0)
	s_waitcnt_vscnt null, 0x0
	s_barrier
	buffer_gl0_inv
	s_and_saveexec_b32 s1, s0
	s_cbranch_execz .LBB110_904
; %bb.895:
	v_cmp_ne_u32_e32 vcc_lo, 1, v100
	s_cbranch_vccnz .LBB110_897
; %bb.896:
	scratch_load_b64 v[95:96], v99, off
	ds_load_b64 v[101:102], v98
	s_waitcnt vmcnt(0) lgkmcnt(0)
	v_mul_f64 v[95:96], v[95:96], v[101:102]
	s_cbranch_execz .LBB110_898
	s_branch .LBB110_899
.LBB110_897:
                                        ; implicit-def: $vgpr95_vgpr96
.LBB110_898:
	ds_load_b64 v[95:96], v98
.LBB110_899:
	s_mov_b32 s2, exec_lo
	v_cmpx_ne_u32_e32 44, v0
	s_cbranch_execz .LBB110_903
; %bb.900:
	v_add_nc_u32_e32 v101, 0x188, v97
	v_add3_u32 v102, 0, v97, 8
	v_mov_b32_e32 v103, v0
	s_mov_b32 s3, 0
.LBB110_901:                            ; =>This Inner Loop Header: Depth=1
	scratch_load_b64 v[104:105], v102, off
	ds_load_b64 v[106:107], v101
	v_add_nc_u32_e32 v103, 1, v103
	v_add_nc_u32_e32 v101, 8, v101
	;; [unrolled: 1-line block ×3, first 2 shown]
	s_delay_alu instid0(VALU_DEP_3)
	v_cmp_lt_u32_e32 vcc_lo, 43, v103
	s_or_b32 s3, vcc_lo, s3
	s_waitcnt vmcnt(0) lgkmcnt(0)
	v_fma_f64 v[95:96], v[104:105], v[106:107], v[95:96]
	s_and_not1_b32 exec_lo, exec_lo, s3
	s_cbranch_execnz .LBB110_901
; %bb.902:
	s_or_b32 exec_lo, exec_lo, s3
.LBB110_903:
	s_delay_alu instid0(SALU_CYCLE_1)
	s_or_b32 exec_lo, exec_lo, s2
	v_mov_b32_e32 v101, 0
	ds_load_b64 v[101:102], v101 offset:360
	s_waitcnt lgkmcnt(0)
	v_mul_f64 v[95:96], v[95:96], v[101:102]
	scratch_store_b64 off, v[95:96], off offset:360
.LBB110_904:
	s_or_b32 exec_lo, exec_lo, s1
	scratch_load_b64 v[95:96], off, off offset:368
	s_mov_b32 s1, exec_lo
	s_waitcnt vmcnt(0)
	ds_store_b64 v98, v[95:96]
	s_waitcnt lgkmcnt(0)
	s_waitcnt_vscnt null, 0x0
	s_barrier
	buffer_gl0_inv
	v_cmpx_ne_u32_e32 46, v0
	s_cbranch_execz .LBB110_914
; %bb.905:
	v_cmp_ne_u32_e32 vcc_lo, 1, v100
	s_cbranch_vccnz .LBB110_907
; %bb.906:
	scratch_load_b64 v[95:96], v99, off
	ds_load_b64 v[99:100], v98
	s_waitcnt vmcnt(0) lgkmcnt(0)
	v_mul_f64 v[95:96], v[95:96], v[99:100]
	s_cbranch_execz .LBB110_908
	s_branch .LBB110_909
.LBB110_907:
                                        ; implicit-def: $vgpr95_vgpr96
.LBB110_908:
	ds_load_b64 v[95:96], v98
.LBB110_909:
	s_and_saveexec_b32 s2, s0
	s_cbranch_execz .LBB110_913
; %bb.910:
	v_add_nc_u32_e32 v98, 0x188, v97
	v_add3_u32 v97, 0, v97, 8
	s_mov_b32 s0, 0
.LBB110_911:                            ; =>This Inner Loop Header: Depth=1
	scratch_load_b64 v[99:100], v97, off
	ds_load_b64 v[101:102], v98
	v_add_nc_u32_e32 v0, 1, v0
	v_add_nc_u32_e32 v98, 8, v98
	;; [unrolled: 1-line block ×3, first 2 shown]
	s_delay_alu instid0(VALU_DEP_3)
	v_cmp_lt_u32_e32 vcc_lo, 44, v0
	s_or_b32 s0, vcc_lo, s0
	s_waitcnt vmcnt(0) lgkmcnt(0)
	v_fma_f64 v[95:96], v[99:100], v[101:102], v[95:96]
	s_and_not1_b32 exec_lo, exec_lo, s0
	s_cbranch_execnz .LBB110_911
; %bb.912:
	s_or_b32 exec_lo, exec_lo, s0
.LBB110_913:
	s_delay_alu instid0(SALU_CYCLE_1)
	s_or_b32 exec_lo, exec_lo, s2
	v_mov_b32_e32 v0, 0
	ds_load_b64 v[97:98], v0 offset:368
	s_waitcnt lgkmcnt(0)
	v_mul_f64 v[95:96], v[95:96], v[97:98]
	scratch_store_b64 off, v[95:96], off offset:368
.LBB110_914:
	s_or_b32 exec_lo, exec_lo, s1
.LBB110_915:
	s_clause 0xc
	scratch_load_b128 v[95:98], off, off
	scratch_load_b128 v[99:102], off, off offset:16
	scratch_load_b128 v[103:106], off, off offset:32
	;; [unrolled: 1-line block ×12, first 2 shown]
	s_waitcnt vmcnt(12)
	s_clause 0x1
	global_store_b64 v[21:22], v[95:96], off
	global_store_b64 v[11:12], v[97:98], off
	s_waitcnt vmcnt(11)
	s_clause 0x1
	global_store_b64 v[23:24], v[99:100], off
	global_store_b64 v[7:8], v[101:102], off
	;; [unrolled: 4-line block ×4, first 2 shown]
	scratch_load_b128 v[27:30], off, off offset:288
	s_waitcnt vmcnt(9)
	s_clause 0x1
	global_store_b64 v[25:26], v[111:112], off
	global_store_b64 v[19:20], v[113:114], off
	s_waitcnt vmcnt(8)
	s_clause 0x1
	global_store_b64 v[13:14], v[115:116], off
	global_store_b64 v[15:16], v[117:118], off
	s_clause 0x9
	scratch_load_b128 v[95:98], off, off offset:192
	scratch_load_b128 v[21:24], off, off offset:208
	;; [unrolled: 1-line block ×9, first 2 shown]
	scratch_load_b64 v[0:1], off, off offset:368
	s_waitcnt vmcnt(17)
	s_clause 0x1
	global_store_b64 v[3:4], v[119:120], off
	global_store_b64 v[9:10], v[121:122], off
	s_waitcnt vmcnt(16)
	s_clause 0x1
	global_store_b64 v[17:18], v[123:124], off
	global_store_b64 v[31:32], v[125:126], off
	;; [unrolled: 4-line block ×11, first 2 shown]
	global_store_b64 v[71:72], v[143:144], off
	global_store_b64 v[73:74], v[145:146], off
	global_store_b64 v[75:76], v[27:28], off
	global_store_b64 v[77:78], v[29:30], off
	s_waitcnt vmcnt(4)
	s_clause 0x1
	global_store_b64 v[79:80], v[107:108], off
	global_store_b64 v[81:82], v[109:110], off
	s_waitcnt vmcnt(3)
	s_clause 0x1
	global_store_b64 v[83:84], v[111:112], off
	global_store_b64 v[85:86], v[113:114], off
	;; [unrolled: 4-line block ×4, first 2 shown]
	s_waitcnt vmcnt(0)
	global_store_b64 v[37:38], v[0:1], off
.LBB110_916:
	s_endpgm
	.section	.rodata,"a",@progbits
	.p2align	6, 0x0
	.amdhsa_kernel _ZN9rocsolver6v33100L18trti2_kernel_smallILi47EdPKPdEEv13rocblas_fill_17rocblas_diagonal_T1_iil
		.amdhsa_group_segment_fixed_size 760
		.amdhsa_private_segment_fixed_size 384
		.amdhsa_kernarg_size 32
		.amdhsa_user_sgpr_count 15
		.amdhsa_user_sgpr_dispatch_ptr 0
		.amdhsa_user_sgpr_queue_ptr 0
		.amdhsa_user_sgpr_kernarg_segment_ptr 1
		.amdhsa_user_sgpr_dispatch_id 0
		.amdhsa_user_sgpr_private_segment_size 0
		.amdhsa_wavefront_size32 1
		.amdhsa_uses_dynamic_stack 0
		.amdhsa_enable_private_segment 1
		.amdhsa_system_sgpr_workgroup_id_x 1
		.amdhsa_system_sgpr_workgroup_id_y 0
		.amdhsa_system_sgpr_workgroup_id_z 0
		.amdhsa_system_sgpr_workgroup_info 0
		.amdhsa_system_vgpr_workitem_id 0
		.amdhsa_next_free_vgpr 148
		.amdhsa_next_free_sgpr 21
		.amdhsa_reserve_vcc 1
		.amdhsa_float_round_mode_32 0
		.amdhsa_float_round_mode_16_64 0
		.amdhsa_float_denorm_mode_32 3
		.amdhsa_float_denorm_mode_16_64 3
		.amdhsa_dx10_clamp 1
		.amdhsa_ieee_mode 1
		.amdhsa_fp16_overflow 0
		.amdhsa_workgroup_processor_mode 1
		.amdhsa_memory_ordered 1
		.amdhsa_forward_progress 0
		.amdhsa_shared_vgpr_count 0
		.amdhsa_exception_fp_ieee_invalid_op 0
		.amdhsa_exception_fp_denorm_src 0
		.amdhsa_exception_fp_ieee_div_zero 0
		.amdhsa_exception_fp_ieee_overflow 0
		.amdhsa_exception_fp_ieee_underflow 0
		.amdhsa_exception_fp_ieee_inexact 0
		.amdhsa_exception_int_div_zero 0
	.end_amdhsa_kernel
	.section	.text._ZN9rocsolver6v33100L18trti2_kernel_smallILi47EdPKPdEEv13rocblas_fill_17rocblas_diagonal_T1_iil,"axG",@progbits,_ZN9rocsolver6v33100L18trti2_kernel_smallILi47EdPKPdEEv13rocblas_fill_17rocblas_diagonal_T1_iil,comdat
.Lfunc_end110:
	.size	_ZN9rocsolver6v33100L18trti2_kernel_smallILi47EdPKPdEEv13rocblas_fill_17rocblas_diagonal_T1_iil, .Lfunc_end110-_ZN9rocsolver6v33100L18trti2_kernel_smallILi47EdPKPdEEv13rocblas_fill_17rocblas_diagonal_T1_iil
                                        ; -- End function
	.section	.AMDGPU.csdata,"",@progbits
; Kernel info:
; codeLenInByte = 25676
; NumSgprs: 23
; NumVgprs: 148
; ScratchSize: 384
; MemoryBound: 0
; FloatMode: 240
; IeeeMode: 1
; LDSByteSize: 760 bytes/workgroup (compile time only)
; SGPRBlocks: 2
; VGPRBlocks: 18
; NumSGPRsForWavesPerEU: 23
; NumVGPRsForWavesPerEU: 148
; Occupancy: 9
; WaveLimiterHint : 1
; COMPUTE_PGM_RSRC2:SCRATCH_EN: 1
; COMPUTE_PGM_RSRC2:USER_SGPR: 15
; COMPUTE_PGM_RSRC2:TRAP_HANDLER: 0
; COMPUTE_PGM_RSRC2:TGID_X_EN: 1
; COMPUTE_PGM_RSRC2:TGID_Y_EN: 0
; COMPUTE_PGM_RSRC2:TGID_Z_EN: 0
; COMPUTE_PGM_RSRC2:TIDIG_COMP_CNT: 0
	.section	.text._ZN9rocsolver6v33100L18trti2_kernel_smallILi48EdPKPdEEv13rocblas_fill_17rocblas_diagonal_T1_iil,"axG",@progbits,_ZN9rocsolver6v33100L18trti2_kernel_smallILi48EdPKPdEEv13rocblas_fill_17rocblas_diagonal_T1_iil,comdat
	.globl	_ZN9rocsolver6v33100L18trti2_kernel_smallILi48EdPKPdEEv13rocblas_fill_17rocblas_diagonal_T1_iil ; -- Begin function _ZN9rocsolver6v33100L18trti2_kernel_smallILi48EdPKPdEEv13rocblas_fill_17rocblas_diagonal_T1_iil
	.p2align	8
	.type	_ZN9rocsolver6v33100L18trti2_kernel_smallILi48EdPKPdEEv13rocblas_fill_17rocblas_diagonal_T1_iil,@function
_ZN9rocsolver6v33100L18trti2_kernel_smallILi48EdPKPdEEv13rocblas_fill_17rocblas_diagonal_T1_iil: ; @_ZN9rocsolver6v33100L18trti2_kernel_smallILi48EdPKPdEEv13rocblas_fill_17rocblas_diagonal_T1_iil
; %bb.0:
	s_mov_b32 s2, exec_lo
	v_cmpx_gt_u32_e32 48, v0
	s_cbranch_execz .LBB111_936
; %bb.1:
	s_clause 0x1
	s_load_b64 s[4:5], s[0:1], 0x10
	s_load_b128 s[0:3], s[0:1], 0x0
	s_mov_b32 s6, s15
	s_ashr_i32 s7, s15, 31
	v_lshlrev_b32_e32 v99, 3, v0
	s_lshl_b64 s[8:9], s[6:7], 3
	s_waitcnt lgkmcnt(0)
	s_ashr_i32 s7, s4, 31
	s_add_u32 s2, s2, s8
	s_addc_u32 s3, s3, s9
	v_add3_u32 v1, s5, s5, v0
	s_load_b64 s[2:3], s[2:3], 0x0
	s_mov_b32 s6, s4
	s_mov_b32 s8, s5
	s_lshl_b64 s[6:7], s[6:7], 3
	v_add_nc_u32_e32 v3, s5, v1
	v_ashrrev_i32_e32 v2, 31, v1
	s_delay_alu instid0(VALU_DEP_2) | instskip(SKIP_1) | instid1(VALU_DEP_3)
	v_add_nc_u32_e32 v5, s5, v3
	v_ashrrev_i32_e32 v4, 31, v3
	v_lshlrev_b64 v[1:2], 3, v[1:2]
	s_delay_alu instid0(VALU_DEP_3) | instskip(NEXT) | instid1(VALU_DEP_3)
	v_add_nc_u32_e32 v7, s5, v5
	v_lshlrev_b64 v[3:4], 3, v[3:4]
	v_ashrrev_i32_e32 v6, 31, v5
	s_delay_alu instid0(VALU_DEP_3)
	v_ashrrev_i32_e32 v8, 31, v7
	s_waitcnt lgkmcnt(0)
	s_add_u32 s2, s2, s6
	s_addc_u32 s3, s3, s7
	v_add_co_u32 v23, s4, s2, v99
	s_ashr_i32 s9, s5, 31
	v_add_co_ci_u32_e64 v24, null, s3, 0, s4
	s_lshl_b64 s[6:7], s[8:9], 3
	v_add_nc_u32_e32 v11, s5, v7
	v_add_co_u32 v13, vcc_lo, v23, s6
	s_delay_alu instid0(VALU_DEP_3)
	v_add_co_ci_u32_e32 v14, vcc_lo, s7, v24, vcc_lo
	s_clause 0x1
	global_load_b64 v[43:44], v99, s[2:3]
	global_load_b64 v[45:46], v[13:14], off
	v_lshlrev_b64 v[7:8], 3, v[7:8]
	v_add_co_u32 v25, vcc_lo, s2, v1
	v_add_co_ci_u32_e32 v26, vcc_lo, s3, v2, vcc_lo
	v_lshlrev_b64 v[5:6], 3, v[5:6]
	v_add_co_u32 v15, vcc_lo, s2, v3
	v_add_nc_u32_e32 v1, s5, v11
	v_add_co_ci_u32_e32 v16, vcc_lo, s3, v4, vcc_lo
	v_add_co_u32 v3, vcc_lo, s2, v7
	v_ashrrev_i32_e32 v12, 31, v11
	v_add_co_ci_u32_e32 v4, vcc_lo, s3, v8, vcc_lo
	v_add_co_u32 v9, vcc_lo, s2, v5
	v_ashrrev_i32_e32 v2, 31, v1
	v_add_nc_u32_e32 v7, s5, v1
	v_add_co_ci_u32_e32 v10, vcc_lo, s3, v6, vcc_lo
	v_lshlrev_b64 v[5:6], 3, v[11:12]
	s_delay_alu instid0(VALU_DEP_4) | instskip(NEXT) | instid1(VALU_DEP_4)
	v_lshlrev_b64 v[1:2], 3, v[1:2]
	v_add_nc_u32_e32 v17, s5, v7
	s_clause 0x3
	global_load_b64 v[51:52], v[25:26], off
	global_load_b64 v[53:54], v[15:16], off
	;; [unrolled: 1-line block ×4, first 2 shown]
	v_ashrrev_i32_e32 v8, 31, v7
	s_cmpk_lg_i32 s1, 0x84
	v_add_co_u32 v11, vcc_lo, s2, v5
	v_add_co_ci_u32_e32 v12, vcc_lo, s3, v6, vcc_lo
	v_add_co_u32 v5, vcc_lo, s2, v1
	v_ashrrev_i32_e32 v18, 31, v17
	v_add_co_ci_u32_e32 v6, vcc_lo, s3, v2, vcc_lo
	v_lshlrev_b64 v[1:2], 3, v[7:8]
	s_clause 0x1
	global_load_b64 v[59:60], v[11:12], off
	global_load_b64 v[61:62], v[5:6], off
	v_lshlrev_b64 v[18:19], 3, v[17:18]
	v_add_nc_u32_e32 v17, s5, v17
	v_add_co_u32 v7, vcc_lo, s2, v1
	v_add_co_ci_u32_e32 v8, vcc_lo, s3, v2, vcc_lo
	s_delay_alu instid0(VALU_DEP_4)
	v_add_co_u32 v1, vcc_lo, s2, v18
	v_add_co_ci_u32_e32 v2, vcc_lo, s3, v19, vcc_lo
	s_clause 0x1
	global_load_b64 v[63:64], v[7:8], off
	global_load_b64 v[65:66], v[1:2], off
	v_add_nc_u32_e32 v19, s5, v17
	v_ashrrev_i32_e32 v18, 31, v17
	s_delay_alu instid0(VALU_DEP_2) | instskip(SKIP_1) | instid1(VALU_DEP_3)
	v_add_nc_u32_e32 v21, s5, v19
	v_ashrrev_i32_e32 v20, 31, v19
	v_lshlrev_b64 v[17:18], 3, v[17:18]
	s_delay_alu instid0(VALU_DEP_3) | instskip(SKIP_1) | instid1(VALU_DEP_4)
	v_add_nc_u32_e32 v29, s5, v21
	v_ashrrev_i32_e32 v22, 31, v21
	v_lshlrev_b64 v[19:20], 3, v[19:20]
	s_delay_alu instid0(VALU_DEP_4) | instskip(NEXT) | instid1(VALU_DEP_4)
	v_add_co_u32 v33, vcc_lo, s2, v17
	v_add_nc_u32_e32 v31, s5, v29
	v_add_co_ci_u32_e32 v34, vcc_lo, s3, v18, vcc_lo
	v_lshlrev_b64 v[17:18], 3, v[21:22]
	v_ashrrev_i32_e32 v30, 31, v29
	s_delay_alu instid0(VALU_DEP_4) | instskip(SKIP_3) | instid1(VALU_DEP_4)
	v_add_nc_u32_e32 v35, s5, v31
	v_add_co_u32 v27, vcc_lo, s2, v19
	v_ashrrev_i32_e32 v32, 31, v31
	v_add_co_ci_u32_e32 v28, vcc_lo, s3, v20, vcc_lo
	v_add_nc_u32_e32 v37, s5, v35
	v_lshlrev_b64 v[19:20], 3, v[29:30]
	v_add_co_u32 v21, vcc_lo, s2, v17
	v_ashrrev_i32_e32 v36, 31, v35
	s_delay_alu instid0(VALU_DEP_4) | instskip(SKIP_3) | instid1(VALU_DEP_4)
	v_add_nc_u32_e32 v39, s5, v37
	v_add_co_ci_u32_e32 v22, vcc_lo, s3, v18, vcc_lo
	v_lshlrev_b64 v[17:18], 3, v[31:32]
	v_add_co_u32 v19, vcc_lo, s2, v19
	v_add_nc_u32_e32 v41, s5, v39
	v_lshlrev_b64 v[29:30], 3, v[35:36]
	v_add_co_ci_u32_e32 v20, vcc_lo, s3, v20, vcc_lo
	v_ashrrev_i32_e32 v38, 31, v37
	s_delay_alu instid0(VALU_DEP_4) | instskip(SKIP_2) | instid1(VALU_DEP_3)
	v_add_nc_u32_e32 v47, s5, v41
	v_add_co_u32 v17, vcc_lo, s2, v17
	v_add_co_ci_u32_e32 v18, vcc_lo, s3, v18, vcc_lo
	v_add_nc_u32_e32 v49, s5, v47
	v_ashrrev_i32_e32 v40, 31, v39
	v_add_co_u32 v31, vcc_lo, s2, v29
	v_lshlrev_b64 v[35:36], 3, v[37:38]
	s_delay_alu instid0(VALU_DEP_4)
	v_add_nc_u32_e32 v87, s5, v49
	v_ashrrev_i32_e32 v42, 31, v41
	s_clause 0x2
	global_load_b64 v[67:68], v[33:34], off
	global_load_b64 v[69:70], v[27:28], off
	;; [unrolled: 1-line block ×3, first 2 shown]
	v_lshlrev_b64 v[37:38], 3, v[39:40]
	v_add_co_ci_u32_e32 v32, vcc_lo, s3, v30, vcc_lo
	v_add_nc_u32_e32 v89, s5, v87
	v_add_co_u32 v35, vcc_lo, s2, v35
	v_lshlrev_b64 v[39:40], 3, v[41:42]
	v_ashrrev_i32_e32 v48, 31, v47
	s_delay_alu instid0(VALU_DEP_4) | instskip(SKIP_2) | instid1(VALU_DEP_3)
	v_add_nc_u32_e32 v91, s5, v89
	v_add_co_ci_u32_e32 v36, vcc_lo, s3, v36, vcc_lo
	v_add_co_u32 v37, vcc_lo, s2, v37
	v_add_nc_u32_e32 v95, s5, v91
	v_ashrrev_i32_e32 v50, 31, v49
	s_clause 0x2
	global_load_b64 v[73:74], v[19:20], off
	global_load_b64 v[75:76], v[17:18], off
	;; [unrolled: 1-line block ×3, first 2 shown]
	v_add_co_ci_u32_e32 v38, vcc_lo, s3, v38, vcc_lo
	v_add_nc_u32_e32 v97, s5, v95
	v_lshlrev_b64 v[41:42], 3, v[47:48]
	v_add_co_u32 v39, vcc_lo, s2, v39
	v_ashrrev_i32_e32 v88, 31, v87
	s_delay_alu instid0(VALU_DEP_4) | instskip(SKIP_3) | instid1(VALU_DEP_4)
	v_add_nc_u32_e32 v100, s5, v97
	v_add_co_ci_u32_e32 v40, vcc_lo, s3, v40, vcc_lo
	v_ashrrev_i32_e32 v90, 31, v89
	v_ashrrev_i32_e32 v92, 31, v91
	v_add_nc_u32_e32 v106, s5, v100
	global_load_b64 v[79:80], v[35:36], off
	v_ashrrev_i32_e32 v96, 31, v95
	v_lshlrev_b64 v[47:48], 3, v[89:90]
	v_ashrrev_i32_e32 v98, 31, v97
	v_add_nc_u32_e32 v112, s5, v106
	v_ashrrev_i32_e32 v107, 31, v106
	s_delay_alu instid0(VALU_DEP_2) | instskip(SKIP_1) | instid1(VALU_DEP_2)
	v_add_nc_u32_e32 v114, s5, v112
	v_ashrrev_i32_e32 v113, 31, v112
	v_add_nc_u32_e32 v116, s5, v114
	v_ashrrev_i32_e32 v115, 31, v114
	s_delay_alu instid0(VALU_DEP_2) | instskip(SKIP_1) | instid1(VALU_DEP_2)
	v_add_nc_u32_e32 v118, s5, v116
	;; [unrolled: 5-line block ×10, first 2 shown]
	v_ashrrev_i32_e32 v149, 31, v148
	v_ashrrev_i32_e32 v30, 31, v29
	s_delay_alu instid0(VALU_DEP_1) | instskip(NEXT) | instid1(VALU_DEP_1)
	v_lshlrev_b64 v[29:30], 3, v[29:30]
	v_add_co_u32 v29, vcc_lo, s2, v29
	s_delay_alu instid0(VALU_DEP_2)
	v_add_co_ci_u32_e32 v30, vcc_lo, s3, v30, vcc_lo
	v_add_co_u32 v41, vcc_lo, s2, v41
	v_add_co_ci_u32_e32 v42, vcc_lo, s3, v42, vcc_lo
	global_load_b64 v[102:103], v[29:30], off
	s_waitcnt vmcnt(16)
	scratch_store_b128 off, v[43:46], off
	v_lshlrev_b64 v[43:44], 3, v[49:50]
	v_lshlrev_b64 v[45:46], 3, v[87:88]
	s_clause 0x2
	global_load_b64 v[81:82], v[37:38], off
	global_load_b64 v[83:84], v[39:40], off
	;; [unrolled: 1-line block ×3, first 2 shown]
	v_lshlrev_b64 v[49:50], 3, v[91:92]
	v_add_co_u32 v43, vcc_lo, s2, v43
	v_add_co_ci_u32_e32 v44, vcc_lo, s3, v44, vcc_lo
	v_add_co_u32 v45, vcc_lo, s2, v45
	v_add_co_ci_u32_e32 v46, vcc_lo, s3, v46, vcc_lo
	;; [unrolled: 2-line block ×4, first 2 shown]
	global_load_b64 v[87:88], v[43:44], off
	s_waitcnt vmcnt(18)
	scratch_store_b128 off, v[51:54], off offset:16
	v_lshlrev_b64 v[51:52], 3, v[95:96]
	s_waitcnt vmcnt(16)
	scratch_store_b128 off, v[55:58], off offset:32
	s_clause 0x2
	global_load_b64 v[89:90], v[45:46], off
	global_load_b64 v[91:92], v[47:48], off
	;; [unrolled: 1-line block ×3, first 2 shown]
	v_lshlrev_b64 v[53:54], 3, v[97:98]
	v_mov_b32_e32 v97, 0
	v_ashrrev_i32_e32 v101, 31, v100
	v_add_co_u32 v51, vcc_lo, s2, v51
	v_add_co_ci_u32_e32 v52, vcc_lo, s3, v52, vcc_lo
	s_delay_alu instid0(VALU_DEP_3) | instskip(SKIP_3) | instid1(VALU_DEP_4)
	v_lshlrev_b64 v[55:56], 3, v[100:101]
	v_add_co_u32 v53, vcc_lo, s2, v53
	v_lshlrev_b64 v[57:58], 3, v[106:107]
	v_add_co_ci_u32_e32 v54, vcc_lo, s3, v54, vcc_lo
	v_add_co_u32 v55, vcc_lo, s2, v55
	v_add_co_ci_u32_e32 v56, vcc_lo, s3, v56, vcc_lo
	s_delay_alu instid0(VALU_DEP_4)
	v_add_co_u32 v57, vcc_lo, s2, v57
	v_add_co_ci_u32_e32 v58, vcc_lo, s3, v58, vcc_lo
	s_waitcnt vmcnt(17)
	scratch_store_b128 off, v[59:62], off offset:48
	s_clause 0x1
	global_load_b64 v[104:105], v[51:52], off
	global_load_b64 v[106:107], v[53:54], off
	v_lshlrev_b64 v[59:60], 3, v[112:113]
	v_lshlrev_b64 v[61:62], 3, v[114:115]
	s_waitcnt vmcnt(17)
	scratch_store_b128 off, v[63:66], off offset:64
	s_clause 0x1
	global_load_b64 v[108:109], v[55:56], off
	global_load_b64 v[110:111], v[57:58], off
	v_lshlrev_b64 v[63:64], 3, v[116:117]
	v_lshlrev_b64 v[65:66], 3, v[118:119]
	v_add_co_u32 v59, vcc_lo, s2, v59
	v_add_co_ci_u32_e32 v60, vcc_lo, s3, v60, vcc_lo
	v_add_co_u32 v61, vcc_lo, s2, v61
	v_add_co_ci_u32_e32 v62, vcc_lo, s3, v62, vcc_lo
	v_add_co_u32 v63, vcc_lo, s2, v63
	v_add_co_ci_u32_e32 v64, vcc_lo, s3, v64, vcc_lo
	v_add_co_u32 v65, vcc_lo, s2, v65
	v_add_co_ci_u32_e32 v66, vcc_lo, s3, v66, vcc_lo
	v_lshlrev_b64 v[95:96], 3, v[124:125]
	global_load_b64 v[112:113], v[59:60], off
	v_mov_b32_e32 v98, 0xbff00000
	s_waitcnt vmcnt(18)
	scratch_store_b128 off, v[67:70], off offset:80
	v_lshlrev_b64 v[67:68], 3, v[120:121]
	v_lshlrev_b64 v[69:70], 3, v[122:123]
	s_waitcnt vmcnt(16)
	scratch_store_b128 off, v[71:74], off offset:96
	s_waitcnt vmcnt(14)
	scratch_store_b128 off, v[75:78], off offset:112
	v_add_co_u32 v67, vcc_lo, s2, v67
	v_add_co_ci_u32_e32 v68, vcc_lo, s3, v68, vcc_lo
	v_add_co_u32 v69, vcc_lo, s2, v69
	v_lshlrev_b64 v[73:74], 3, v[126:127]
	v_add_co_ci_u32_e32 v70, vcc_lo, s3, v70, vcc_lo
	v_add_co_u32 v71, vcc_lo, s2, v95
	v_lshlrev_b64 v[75:76], 3, v[128:129]
	;; [unrolled: 3-line block ×4, first 2 shown]
	v_add_co_ci_u32_e32 v76, vcc_lo, s3, v76, vcc_lo
	s_clause 0x3
	global_load_b64 v[114:115], v[61:62], off
	global_load_b64 v[116:117], v[63:64], off
	;; [unrolled: 1-line block ×4, first 2 shown]
	v_add_co_u32 v77, vcc_lo, s2, v77
	v_add_co_ci_u32_e32 v78, vcc_lo, s3, v78, vcc_lo
	s_waitcnt vmcnt(15)
	scratch_store_b128 off, v[79:82], off offset:128
	s_waitcnt vmcnt(13)
	scratch_store_b128 off, v[83:86], off offset:144
	v_lshlrev_b64 v[81:82], 3, v[134:135]
	v_add_co_u32 v79, vcc_lo, s2, v95
	v_lshlrev_b64 v[83:84], 3, v[136:137]
	v_add_co_ci_u32_e32 v80, vcc_lo, s3, v96, vcc_lo
	s_delay_alu instid0(VALU_DEP_4)
	v_add_co_u32 v81, vcc_lo, s2, v81
	v_lshlrev_b64 v[85:86], 3, v[138:139]
	v_add_co_ci_u32_e32 v82, vcc_lo, s3, v82, vcc_lo
	v_add_co_u32 v83, vcc_lo, s2, v83
	v_lshlrev_b64 v[95:96], 3, v[140:141]
	v_add_co_ci_u32_e32 v84, vcc_lo, s3, v84, vcc_lo
	s_clause 0x3
	global_load_b64 v[122:123], v[69:70], off
	global_load_b64 v[124:125], v[71:72], off
	;; [unrolled: 1-line block ×4, first 2 shown]
	s_waitcnt vmcnt(15)
	scratch_store_b128 off, v[87:90], off offset:160
	s_waitcnt vmcnt(13)
	scratch_store_b128 off, v[91:94], off offset:176
	v_add_co_u32 v85, vcc_lo, s2, v85
	v_lshlrev_b64 v[89:90], 3, v[142:143]
	v_add_co_ci_u32_e32 v86, vcc_lo, s3, v86, vcc_lo
	v_add_co_u32 v87, vcc_lo, s2, v95
	v_lshlrev_b64 v[91:92], 3, v[144:145]
	v_add_co_ci_u32_e32 v88, vcc_lo, s3, v96, vcc_lo
	v_add_co_u32 v89, vcc_lo, s2, v89
	v_add_co_ci_u32_e32 v90, vcc_lo, s3, v90, vcc_lo
	v_lshlrev_b64 v[95:96], 3, v[146:147]
	v_add_co_u32 v93, vcc_lo, s2, v91
	v_add_co_ci_u32_e32 v94, vcc_lo, s3, v92, vcc_lo
	v_lshlrev_b64 v[91:92], 3, v[148:149]
	s_delay_alu instid0(VALU_DEP_4)
	v_add_co_u32 v95, vcc_lo, s2, v95
	v_add_co_ci_u32_e32 v96, vcc_lo, s3, v96, vcc_lo
	s_clause 0x3
	global_load_b64 v[130:131], v[77:78], off
	global_load_b64 v[132:133], v[79:80], off
	;; [unrolled: 1-line block ×4, first 2 shown]
	v_add_co_u32 v91, vcc_lo, s2, v91
	v_add_co_ci_u32_e32 v92, vcc_lo, s3, v92, vcc_lo
	s_waitcnt vmcnt(15)
	scratch_store_b128 off, v[104:107], off offset:192
	s_clause 0x2
	global_load_b64 v[138:139], v[85:86], off
	global_load_b64 v[104:105], v[87:88], off
	;; [unrolled: 1-line block ×3, first 2 shown]
	s_waitcnt vmcnt(16)
	scratch_store_b128 off, v[108:111], off offset:208
	s_clause 0x2
	global_load_b64 v[108:109], v[93:94], off
	global_load_b64 v[110:111], v[95:96], off
	;; [unrolled: 1-line block ×3, first 2 shown]
	s_cselect_b32 s2, -1, 0
	s_cmpk_eq_i32 s1, 0x84
	s_waitcnt vmcnt(17)
	scratch_store_b128 off, v[112:115], off offset:224
	s_waitcnt vmcnt(15)
	scratch_store_b128 off, v[116:119], off offset:240
	;; [unrolled: 2-line block ×10, first 2 shown]
	s_cbranch_scc1 .LBB111_3
; %bb.2:
	scratch_load_b64 v[97:98], v99, off
	s_waitcnt vmcnt(0)
	v_div_scale_f64 v[100:101], null, v[97:98], v[97:98], 1.0
	v_div_scale_f64 v[106:107], vcc_lo, 1.0, v[97:98], 1.0
	s_delay_alu instid0(VALU_DEP_2) | instskip(SKIP_2) | instid1(VALU_DEP_1)
	v_rcp_f64_e32 v[102:103], v[100:101]
	s_waitcnt_depctr 0xfff
	v_fma_f64 v[104:105], -v[100:101], v[102:103], 1.0
	v_fma_f64 v[102:103], v[102:103], v[104:105], v[102:103]
	s_delay_alu instid0(VALU_DEP_1) | instskip(NEXT) | instid1(VALU_DEP_1)
	v_fma_f64 v[104:105], -v[100:101], v[102:103], 1.0
	v_fma_f64 v[102:103], v[102:103], v[104:105], v[102:103]
	s_delay_alu instid0(VALU_DEP_1) | instskip(NEXT) | instid1(VALU_DEP_1)
	v_mul_f64 v[104:105], v[106:107], v[102:103]
	v_fma_f64 v[100:101], -v[100:101], v[104:105], v[106:107]
	s_delay_alu instid0(VALU_DEP_1) | instskip(NEXT) | instid1(VALU_DEP_1)
	v_div_fmas_f64 v[100:101], v[100:101], v[102:103], v[104:105]
	v_div_fixup_f64 v[97:98], v[100:101], v[97:98], 1.0
	scratch_store_b64 v99, v[97:98], off
	v_xor_b32_e32 v98, 0x80000000, v98
.LBB111_3:
	v_add_nc_u32_e32 v100, 0x180, v99
	v_add_nc_u32_e32 v101, 0, v99
	s_cmpk_eq_i32 s0, 0x79
	s_mov_b32 s0, -1
	ds_store_b64 v99, v[97:98]
	s_cbranch_scc1 .LBB111_469
; %bb.4:
	scratch_load_b64 v[97:98], off, off offset:368
	v_cmp_eq_u32_e64 s0, 47, v0
	s_movk_i32 s1, 0x50
	s_movk_i32 s3, 0x60
	;; [unrolled: 1-line block ×18, first 2 shown]
	s_waitcnt vmcnt(0)
	ds_store_b64 v100, v[97:98]
	s_waitcnt lgkmcnt(0)
	s_waitcnt_vscnt null, 0x0
	s_barrier
	buffer_gl0_inv
	s_and_saveexec_b32 s20, s0
	s_cbranch_execz .LBB111_10
; %bb.5:
	s_and_b32 vcc_lo, exec_lo, s2
	s_cbranch_vccz .LBB111_7
; %bb.6:
	scratch_load_b64 v[97:98], v101, off
	ds_load_b64 v[102:103], v100
	s_waitcnt vmcnt(0) lgkmcnt(0)
	v_mul_f64 v[97:98], v[97:98], v[102:103]
	s_cbranch_execz .LBB111_8
	s_branch .LBB111_9
.LBB111_7:
                                        ; implicit-def: $vgpr97_vgpr98
.LBB111_8:
	ds_load_b64 v[97:98], v100
.LBB111_9:
	v_mov_b32_e32 v102, 0
	ds_load_b64 v[102:103], v102 offset:368
	s_waitcnt lgkmcnt(0)
	v_mul_f64 v[97:98], v[97:98], v[102:103]
	scratch_store_b64 off, v[97:98], off offset:368
.LBB111_10:
	s_or_b32 exec_lo, exec_lo, s20
	scratch_load_b64 v[97:98], off, off offset:360
	v_add_nc_u32_e64 v102, 0, 16
	v_add_nc_u32_e64 v103, 0, 32
	;; [unrolled: 1-line block ×22, first 2 shown]
	v_cmp_lt_u32_e64 s1, 45, v0
	s_waitcnt vmcnt(0)
	ds_store_b64 v100, v[97:98]
	s_waitcnt lgkmcnt(0)
	s_waitcnt_vscnt null, 0x0
	s_barrier
	buffer_gl0_inv
	s_and_saveexec_b32 s3, s1
	s_cbranch_execz .LBB111_18
; %bb.11:
	s_and_not1_b32 vcc_lo, exec_lo, s2
	s_cbranch_vccnz .LBB111_13
; %bb.12:
	scratch_load_b64 v[97:98], v101, off
	ds_load_b64 v[124:125], v100
	s_waitcnt vmcnt(0) lgkmcnt(0)
	v_mul_f64 v[97:98], v[97:98], v[124:125]
	s_cbranch_execz .LBB111_14
	s_branch .LBB111_15
.LBB111_13:
                                        ; implicit-def: $vgpr97_vgpr98
.LBB111_14:
	ds_load_b64 v[97:98], v100
.LBB111_15:
	s_and_saveexec_b32 s4, s0
	s_cbranch_execz .LBB111_17
; %bb.16:
	scratch_load_b64 v[124:125], off, off offset:368
	v_mov_b32_e32 v126, 0
	ds_load_b64 v[126:127], v126 offset:752
	s_waitcnt vmcnt(0) lgkmcnt(0)
	v_fma_f64 v[97:98], v[124:125], v[126:127], v[97:98]
.LBB111_17:
	s_or_b32 exec_lo, exec_lo, s4
	v_mov_b32_e32 v124, 0
	ds_load_b64 v[124:125], v124 offset:360
	s_waitcnt lgkmcnt(0)
	v_mul_f64 v[97:98], v[97:98], v[124:125]
	scratch_store_b64 off, v[97:98], off offset:360
.LBB111_18:
	s_or_b32 exec_lo, exec_lo, s3
	scratch_load_b64 v[97:98], off, off offset:352
	v_cmp_lt_u32_e64 s0, 44, v0
	s_waitcnt vmcnt(0)
	ds_store_b64 v100, v[97:98]
	s_waitcnt lgkmcnt(0)
	s_waitcnt_vscnt null, 0x0
	s_barrier
	buffer_gl0_inv
	s_and_saveexec_b32 s3, s0
	s_cbranch_execz .LBB111_28
; %bb.19:
	s_and_not1_b32 vcc_lo, exec_lo, s2
	s_cbranch_vccnz .LBB111_21
; %bb.20:
	scratch_load_b64 v[97:98], v101, off
	ds_load_b64 v[124:125], v100
	s_waitcnt vmcnt(0) lgkmcnt(0)
	v_mul_f64 v[97:98], v[97:98], v[124:125]
	s_cbranch_execz .LBB111_22
	s_branch .LBB111_23
.LBB111_21:
                                        ; implicit-def: $vgpr97_vgpr98
.LBB111_22:
	ds_load_b64 v[97:98], v100
.LBB111_23:
	s_and_saveexec_b32 s4, s1
	s_cbranch_execz .LBB111_27
; %bb.24:
	v_mov_b32_e32 v124, 0
	v_subrev_nc_u32_e32 v125, 45, v0
	s_movk_i32 s5, 0x2e8
	s_mov_b32 s1, 0
	s_delay_alu instid0(VALU_DEP_2)
	v_add_nc_u32_e32 v124, 0x168, v124
.LBB111_25:                             ; =>This Inner Loop Header: Depth=1
	scratch_load_b64 v[126:127], v124, off
	v_dual_mov_b32 v128, s5 :: v_dual_add_nc_u32 v125, -1, v125
	v_add_nc_u32_e32 v124, 8, v124
	s_add_i32 s5, s5, 8
	ds_load_b64 v[128:129], v128
	v_cmp_eq_u32_e32 vcc_lo, 0, v125
	s_or_b32 s1, vcc_lo, s1
	s_waitcnt vmcnt(0) lgkmcnt(0)
	v_fma_f64 v[97:98], v[126:127], v[128:129], v[97:98]
	s_and_not1_b32 exec_lo, exec_lo, s1
	s_cbranch_execnz .LBB111_25
; %bb.26:
	s_or_b32 exec_lo, exec_lo, s1
.LBB111_27:
	s_delay_alu instid0(SALU_CYCLE_1)
	s_or_b32 exec_lo, exec_lo, s4
	v_mov_b32_e32 v124, 0
	ds_load_b64 v[124:125], v124 offset:352
	s_waitcnt lgkmcnt(0)
	v_mul_f64 v[97:98], v[97:98], v[124:125]
	scratch_store_b64 off, v[97:98], off offset:352
.LBB111_28:
	s_or_b32 exec_lo, exec_lo, s3
	scratch_load_b64 v[97:98], off, off offset:344
	v_cmp_lt_u32_e64 s1, 43, v0
	s_waitcnt vmcnt(0)
	ds_store_b64 v100, v[97:98]
	s_waitcnt lgkmcnt(0)
	s_waitcnt_vscnt null, 0x0
	s_barrier
	buffer_gl0_inv
	s_and_saveexec_b32 s3, s1
	s_cbranch_execz .LBB111_38
; %bb.29:
	s_and_not1_b32 vcc_lo, exec_lo, s2
	s_cbranch_vccnz .LBB111_31
; %bb.30:
	scratch_load_b64 v[97:98], v101, off
	ds_load_b64 v[124:125], v100
	s_waitcnt vmcnt(0) lgkmcnt(0)
	v_mul_f64 v[97:98], v[97:98], v[124:125]
	s_cbranch_execz .LBB111_32
	s_branch .LBB111_33
.LBB111_31:
                                        ; implicit-def: $vgpr97_vgpr98
.LBB111_32:
	ds_load_b64 v[97:98], v100
.LBB111_33:
	s_and_saveexec_b32 s4, s0
	s_cbranch_execz .LBB111_37
; %bb.34:
	v_subrev_nc_u32_e32 v124, 44, v0
	s_movk_i32 s5, 0x2e0
	s_mov_b32 s0, 0
.LBB111_35:                             ; =>This Inner Loop Header: Depth=1
	scratch_load_b64 v[125:126], v123, off
	v_dual_mov_b32 v127, s5 :: v_dual_add_nc_u32 v124, -1, v124
	v_add_nc_u32_e32 v123, 8, v123
	s_add_i32 s5, s5, 8
	ds_load_b64 v[127:128], v127
	v_cmp_eq_u32_e32 vcc_lo, 0, v124
	s_or_b32 s0, vcc_lo, s0
	s_waitcnt vmcnt(0) lgkmcnt(0)
	v_fma_f64 v[97:98], v[125:126], v[127:128], v[97:98]
	s_and_not1_b32 exec_lo, exec_lo, s0
	s_cbranch_execnz .LBB111_35
; %bb.36:
	s_or_b32 exec_lo, exec_lo, s0
.LBB111_37:
	s_delay_alu instid0(SALU_CYCLE_1)
	s_or_b32 exec_lo, exec_lo, s4
	v_mov_b32_e32 v123, 0
	ds_load_b64 v[123:124], v123 offset:344
	s_waitcnt lgkmcnt(0)
	v_mul_f64 v[97:98], v[97:98], v[123:124]
	scratch_store_b64 off, v[97:98], off offset:344
.LBB111_38:
	s_or_b32 exec_lo, exec_lo, s3
	scratch_load_b64 v[97:98], off, off offset:336
	v_cmp_lt_u32_e64 s0, 42, v0
	s_waitcnt vmcnt(0)
	ds_store_b64 v100, v[97:98]
	s_waitcnt lgkmcnt(0)
	s_waitcnt_vscnt null, 0x0
	s_barrier
	buffer_gl0_inv
	s_and_saveexec_b32 s3, s0
	s_cbranch_execz .LBB111_48
; %bb.39:
	s_and_not1_b32 vcc_lo, exec_lo, s2
	s_cbranch_vccnz .LBB111_41
; %bb.40:
	scratch_load_b64 v[97:98], v101, off
	ds_load_b64 v[123:124], v100
	s_waitcnt vmcnt(0) lgkmcnt(0)
	v_mul_f64 v[97:98], v[97:98], v[123:124]
	s_cbranch_execz .LBB111_42
	s_branch .LBB111_43
.LBB111_41:
                                        ; implicit-def: $vgpr97_vgpr98
.LBB111_42:
	ds_load_b64 v[97:98], v100
.LBB111_43:
	s_and_saveexec_b32 s4, s1
	s_cbranch_execz .LBB111_47
; %bb.44:
	v_mov_b32_e32 v123, 0
	v_subrev_nc_u32_e32 v124, 43, v0
	s_movk_i32 s5, 0x2d8
	s_mov_b32 s1, 0
	s_delay_alu instid0(VALU_DEP_2)
	v_add_nc_u32_e32 v123, 0x158, v123
.LBB111_45:                             ; =>This Inner Loop Header: Depth=1
	scratch_load_b64 v[125:126], v123, off
	v_dual_mov_b32 v127, s5 :: v_dual_add_nc_u32 v124, -1, v124
	v_add_nc_u32_e32 v123, 8, v123
	s_add_i32 s5, s5, 8
	ds_load_b64 v[127:128], v127
	v_cmp_eq_u32_e32 vcc_lo, 0, v124
	s_or_b32 s1, vcc_lo, s1
	s_waitcnt vmcnt(0) lgkmcnt(0)
	v_fma_f64 v[97:98], v[125:126], v[127:128], v[97:98]
	s_and_not1_b32 exec_lo, exec_lo, s1
	s_cbranch_execnz .LBB111_45
; %bb.46:
	s_or_b32 exec_lo, exec_lo, s1
.LBB111_47:
	s_delay_alu instid0(SALU_CYCLE_1)
	s_or_b32 exec_lo, exec_lo, s4
	v_mov_b32_e32 v123, 0
	ds_load_b64 v[123:124], v123 offset:336
	s_waitcnt lgkmcnt(0)
	v_mul_f64 v[97:98], v[97:98], v[123:124]
	scratch_store_b64 off, v[97:98], off offset:336
.LBB111_48:
	s_or_b32 exec_lo, exec_lo, s3
	scratch_load_b64 v[97:98], off, off offset:328
	v_cmp_lt_u32_e64 s1, 41, v0
	s_waitcnt vmcnt(0)
	ds_store_b64 v100, v[97:98]
	s_waitcnt lgkmcnt(0)
	s_waitcnt_vscnt null, 0x0
	s_barrier
	buffer_gl0_inv
	s_and_saveexec_b32 s3, s1
	s_cbranch_execz .LBB111_58
; %bb.49:
	s_and_not1_b32 vcc_lo, exec_lo, s2
	s_cbranch_vccnz .LBB111_51
; %bb.50:
	scratch_load_b64 v[97:98], v101, off
	ds_load_b64 v[123:124], v100
	s_waitcnt vmcnt(0) lgkmcnt(0)
	v_mul_f64 v[97:98], v[97:98], v[123:124]
	s_cbranch_execz .LBB111_52
	s_branch .LBB111_53
.LBB111_51:
                                        ; implicit-def: $vgpr97_vgpr98
.LBB111_52:
	ds_load_b64 v[97:98], v100
.LBB111_53:
	s_and_saveexec_b32 s4, s0
	s_cbranch_execz .LBB111_57
; %bb.54:
	v_subrev_nc_u32_e32 v123, 42, v0
	s_movk_i32 s5, 0x2d0
	s_mov_b32 s0, 0
.LBB111_55:                             ; =>This Inner Loop Header: Depth=1
	scratch_load_b64 v[124:125], v122, off
	v_dual_mov_b32 v126, s5 :: v_dual_add_nc_u32 v123, -1, v123
	v_add_nc_u32_e32 v122, 8, v122
	s_add_i32 s5, s5, 8
	ds_load_b64 v[126:127], v126
	v_cmp_eq_u32_e32 vcc_lo, 0, v123
	s_or_b32 s0, vcc_lo, s0
	s_waitcnt vmcnt(0) lgkmcnt(0)
	v_fma_f64 v[97:98], v[124:125], v[126:127], v[97:98]
	s_and_not1_b32 exec_lo, exec_lo, s0
	s_cbranch_execnz .LBB111_55
; %bb.56:
	s_or_b32 exec_lo, exec_lo, s0
.LBB111_57:
	s_delay_alu instid0(SALU_CYCLE_1)
	s_or_b32 exec_lo, exec_lo, s4
	v_mov_b32_e32 v122, 0
	ds_load_b64 v[122:123], v122 offset:328
	s_waitcnt lgkmcnt(0)
	v_mul_f64 v[97:98], v[97:98], v[122:123]
	scratch_store_b64 off, v[97:98], off offset:328
.LBB111_58:
	s_or_b32 exec_lo, exec_lo, s3
	scratch_load_b64 v[97:98], off, off offset:320
	v_cmp_lt_u32_e64 s0, 40, v0
	s_waitcnt vmcnt(0)
	ds_store_b64 v100, v[97:98]
	s_waitcnt lgkmcnt(0)
	s_waitcnt_vscnt null, 0x0
	s_barrier
	buffer_gl0_inv
	s_and_saveexec_b32 s3, s0
	s_cbranch_execz .LBB111_68
; %bb.59:
	s_and_not1_b32 vcc_lo, exec_lo, s2
	s_cbranch_vccnz .LBB111_61
; %bb.60:
	scratch_load_b64 v[97:98], v101, off
	ds_load_b64 v[122:123], v100
	s_waitcnt vmcnt(0) lgkmcnt(0)
	v_mul_f64 v[97:98], v[97:98], v[122:123]
	s_cbranch_execz .LBB111_62
	s_branch .LBB111_63
.LBB111_61:
                                        ; implicit-def: $vgpr97_vgpr98
.LBB111_62:
	ds_load_b64 v[97:98], v100
.LBB111_63:
	s_and_saveexec_b32 s4, s1
	s_cbranch_execz .LBB111_67
; %bb.64:
	v_mov_b32_e32 v122, 0
	v_subrev_nc_u32_e32 v123, 41, v0
	s_movk_i32 s5, 0x2c8
	s_mov_b32 s1, 0
	s_delay_alu instid0(VALU_DEP_2)
	v_add_nc_u32_e32 v122, 0x148, v122
.LBB111_65:                             ; =>This Inner Loop Header: Depth=1
	scratch_load_b64 v[124:125], v122, off
	v_dual_mov_b32 v126, s5 :: v_dual_add_nc_u32 v123, -1, v123
	v_add_nc_u32_e32 v122, 8, v122
	s_add_i32 s5, s5, 8
	ds_load_b64 v[126:127], v126
	v_cmp_eq_u32_e32 vcc_lo, 0, v123
	s_or_b32 s1, vcc_lo, s1
	s_waitcnt vmcnt(0) lgkmcnt(0)
	v_fma_f64 v[97:98], v[124:125], v[126:127], v[97:98]
	s_and_not1_b32 exec_lo, exec_lo, s1
	s_cbranch_execnz .LBB111_65
; %bb.66:
	s_or_b32 exec_lo, exec_lo, s1
.LBB111_67:
	s_delay_alu instid0(SALU_CYCLE_1)
	s_or_b32 exec_lo, exec_lo, s4
	v_mov_b32_e32 v122, 0
	ds_load_b64 v[122:123], v122 offset:320
	s_waitcnt lgkmcnt(0)
	v_mul_f64 v[97:98], v[97:98], v[122:123]
	scratch_store_b64 off, v[97:98], off offset:320
.LBB111_68:
	s_or_b32 exec_lo, exec_lo, s3
	scratch_load_b64 v[97:98], off, off offset:312
	v_cmp_lt_u32_e64 s1, 39, v0
	s_waitcnt vmcnt(0)
	ds_store_b64 v100, v[97:98]
	s_waitcnt lgkmcnt(0)
	s_waitcnt_vscnt null, 0x0
	s_barrier
	buffer_gl0_inv
	s_and_saveexec_b32 s3, s1
	s_cbranch_execz .LBB111_78
; %bb.69:
	s_and_not1_b32 vcc_lo, exec_lo, s2
	s_cbranch_vccnz .LBB111_71
; %bb.70:
	scratch_load_b64 v[97:98], v101, off
	ds_load_b64 v[122:123], v100
	s_waitcnt vmcnt(0) lgkmcnt(0)
	v_mul_f64 v[97:98], v[97:98], v[122:123]
	s_cbranch_execz .LBB111_72
	s_branch .LBB111_73
.LBB111_71:
                                        ; implicit-def: $vgpr97_vgpr98
.LBB111_72:
	ds_load_b64 v[97:98], v100
.LBB111_73:
	s_and_saveexec_b32 s4, s0
	s_cbranch_execz .LBB111_77
; %bb.74:
	v_subrev_nc_u32_e32 v122, 40, v0
	s_movk_i32 s5, 0x2c0
	s_mov_b32 s0, 0
.LBB111_75:                             ; =>This Inner Loop Header: Depth=1
	scratch_load_b64 v[123:124], v121, off
	v_dual_mov_b32 v125, s5 :: v_dual_add_nc_u32 v122, -1, v122
	v_add_nc_u32_e32 v121, 8, v121
	s_add_i32 s5, s5, 8
	ds_load_b64 v[125:126], v125
	v_cmp_eq_u32_e32 vcc_lo, 0, v122
	s_or_b32 s0, vcc_lo, s0
	s_waitcnt vmcnt(0) lgkmcnt(0)
	v_fma_f64 v[97:98], v[123:124], v[125:126], v[97:98]
	s_and_not1_b32 exec_lo, exec_lo, s0
	s_cbranch_execnz .LBB111_75
; %bb.76:
	s_or_b32 exec_lo, exec_lo, s0
.LBB111_77:
	s_delay_alu instid0(SALU_CYCLE_1)
	s_or_b32 exec_lo, exec_lo, s4
	v_mov_b32_e32 v121, 0
	ds_load_b64 v[121:122], v121 offset:312
	s_waitcnt lgkmcnt(0)
	v_mul_f64 v[97:98], v[97:98], v[121:122]
	scratch_store_b64 off, v[97:98], off offset:312
.LBB111_78:
	s_or_b32 exec_lo, exec_lo, s3
	scratch_load_b64 v[97:98], off, off offset:304
	v_cmp_lt_u32_e64 s0, 38, v0
	s_waitcnt vmcnt(0)
	ds_store_b64 v100, v[97:98]
	s_waitcnt lgkmcnt(0)
	s_waitcnt_vscnt null, 0x0
	s_barrier
	buffer_gl0_inv
	s_and_saveexec_b32 s3, s0
	s_cbranch_execz .LBB111_88
; %bb.79:
	s_and_not1_b32 vcc_lo, exec_lo, s2
	s_cbranch_vccnz .LBB111_81
; %bb.80:
	scratch_load_b64 v[97:98], v101, off
	ds_load_b64 v[121:122], v100
	s_waitcnt vmcnt(0) lgkmcnt(0)
	v_mul_f64 v[97:98], v[97:98], v[121:122]
	s_cbranch_execz .LBB111_82
	s_branch .LBB111_83
.LBB111_81:
                                        ; implicit-def: $vgpr97_vgpr98
.LBB111_82:
	ds_load_b64 v[97:98], v100
.LBB111_83:
	s_and_saveexec_b32 s4, s1
	s_cbranch_execz .LBB111_87
; %bb.84:
	v_mov_b32_e32 v121, 0
	v_subrev_nc_u32_e32 v122, 39, v0
	s_movk_i32 s5, 0x2b8
	s_mov_b32 s1, 0
	s_delay_alu instid0(VALU_DEP_2)
	v_add_nc_u32_e32 v121, 0x138, v121
.LBB111_85:                             ; =>This Inner Loop Header: Depth=1
	scratch_load_b64 v[123:124], v121, off
	v_dual_mov_b32 v125, s5 :: v_dual_add_nc_u32 v122, -1, v122
	v_add_nc_u32_e32 v121, 8, v121
	s_add_i32 s5, s5, 8
	ds_load_b64 v[125:126], v125
	v_cmp_eq_u32_e32 vcc_lo, 0, v122
	s_or_b32 s1, vcc_lo, s1
	s_waitcnt vmcnt(0) lgkmcnt(0)
	v_fma_f64 v[97:98], v[123:124], v[125:126], v[97:98]
	s_and_not1_b32 exec_lo, exec_lo, s1
	s_cbranch_execnz .LBB111_85
; %bb.86:
	s_or_b32 exec_lo, exec_lo, s1
.LBB111_87:
	s_delay_alu instid0(SALU_CYCLE_1)
	s_or_b32 exec_lo, exec_lo, s4
	v_mov_b32_e32 v121, 0
	ds_load_b64 v[121:122], v121 offset:304
	s_waitcnt lgkmcnt(0)
	v_mul_f64 v[97:98], v[97:98], v[121:122]
	scratch_store_b64 off, v[97:98], off offset:304
.LBB111_88:
	s_or_b32 exec_lo, exec_lo, s3
	scratch_load_b64 v[97:98], off, off offset:296
	v_cmp_lt_u32_e64 s1, 37, v0
	s_waitcnt vmcnt(0)
	ds_store_b64 v100, v[97:98]
	s_waitcnt lgkmcnt(0)
	s_waitcnt_vscnt null, 0x0
	s_barrier
	buffer_gl0_inv
	s_and_saveexec_b32 s3, s1
	s_cbranch_execz .LBB111_98
; %bb.89:
	s_and_not1_b32 vcc_lo, exec_lo, s2
	s_cbranch_vccnz .LBB111_91
; %bb.90:
	scratch_load_b64 v[97:98], v101, off
	ds_load_b64 v[121:122], v100
	s_waitcnt vmcnt(0) lgkmcnt(0)
	v_mul_f64 v[97:98], v[97:98], v[121:122]
	s_cbranch_execz .LBB111_92
	s_branch .LBB111_93
.LBB111_91:
                                        ; implicit-def: $vgpr97_vgpr98
.LBB111_92:
	ds_load_b64 v[97:98], v100
.LBB111_93:
	s_and_saveexec_b32 s4, s0
	s_cbranch_execz .LBB111_97
; %bb.94:
	v_subrev_nc_u32_e32 v121, 38, v0
	s_movk_i32 s5, 0x2b0
	s_mov_b32 s0, 0
.LBB111_95:                             ; =>This Inner Loop Header: Depth=1
	scratch_load_b64 v[122:123], v120, off
	v_dual_mov_b32 v124, s5 :: v_dual_add_nc_u32 v121, -1, v121
	v_add_nc_u32_e32 v120, 8, v120
	s_add_i32 s5, s5, 8
	ds_load_b64 v[124:125], v124
	v_cmp_eq_u32_e32 vcc_lo, 0, v121
	s_or_b32 s0, vcc_lo, s0
	s_waitcnt vmcnt(0) lgkmcnt(0)
	v_fma_f64 v[97:98], v[122:123], v[124:125], v[97:98]
	s_and_not1_b32 exec_lo, exec_lo, s0
	s_cbranch_execnz .LBB111_95
; %bb.96:
	s_or_b32 exec_lo, exec_lo, s0
.LBB111_97:
	s_delay_alu instid0(SALU_CYCLE_1)
	s_or_b32 exec_lo, exec_lo, s4
	v_mov_b32_e32 v120, 0
	ds_load_b64 v[120:121], v120 offset:296
	s_waitcnt lgkmcnt(0)
	v_mul_f64 v[97:98], v[97:98], v[120:121]
	scratch_store_b64 off, v[97:98], off offset:296
.LBB111_98:
	s_or_b32 exec_lo, exec_lo, s3
	scratch_load_b64 v[97:98], off, off offset:288
	v_cmp_lt_u32_e64 s0, 36, v0
	s_waitcnt vmcnt(0)
	ds_store_b64 v100, v[97:98]
	s_waitcnt lgkmcnt(0)
	s_waitcnt_vscnt null, 0x0
	s_barrier
	buffer_gl0_inv
	s_and_saveexec_b32 s3, s0
	s_cbranch_execz .LBB111_108
; %bb.99:
	s_and_not1_b32 vcc_lo, exec_lo, s2
	s_cbranch_vccnz .LBB111_101
; %bb.100:
	scratch_load_b64 v[97:98], v101, off
	ds_load_b64 v[120:121], v100
	s_waitcnt vmcnt(0) lgkmcnt(0)
	v_mul_f64 v[97:98], v[97:98], v[120:121]
	s_cbranch_execz .LBB111_102
	s_branch .LBB111_103
.LBB111_101:
                                        ; implicit-def: $vgpr97_vgpr98
.LBB111_102:
	ds_load_b64 v[97:98], v100
.LBB111_103:
	s_and_saveexec_b32 s4, s1
	s_cbranch_execz .LBB111_107
; %bb.104:
	v_mov_b32_e32 v120, 0
	v_subrev_nc_u32_e32 v121, 37, v0
	s_movk_i32 s5, 0x2a8
	s_mov_b32 s1, 0
	s_delay_alu instid0(VALU_DEP_2)
	v_add_nc_u32_e32 v120, 0x128, v120
.LBB111_105:                            ; =>This Inner Loop Header: Depth=1
	scratch_load_b64 v[122:123], v120, off
	v_dual_mov_b32 v124, s5 :: v_dual_add_nc_u32 v121, -1, v121
	v_add_nc_u32_e32 v120, 8, v120
	s_add_i32 s5, s5, 8
	ds_load_b64 v[124:125], v124
	v_cmp_eq_u32_e32 vcc_lo, 0, v121
	s_or_b32 s1, vcc_lo, s1
	s_waitcnt vmcnt(0) lgkmcnt(0)
	v_fma_f64 v[97:98], v[122:123], v[124:125], v[97:98]
	s_and_not1_b32 exec_lo, exec_lo, s1
	s_cbranch_execnz .LBB111_105
; %bb.106:
	s_or_b32 exec_lo, exec_lo, s1
.LBB111_107:
	s_delay_alu instid0(SALU_CYCLE_1)
	s_or_b32 exec_lo, exec_lo, s4
	v_mov_b32_e32 v120, 0
	ds_load_b64 v[120:121], v120 offset:288
	s_waitcnt lgkmcnt(0)
	v_mul_f64 v[97:98], v[97:98], v[120:121]
	scratch_store_b64 off, v[97:98], off offset:288
.LBB111_108:
	s_or_b32 exec_lo, exec_lo, s3
	scratch_load_b64 v[97:98], off, off offset:280
	v_cmp_lt_u32_e64 s1, 35, v0
	s_waitcnt vmcnt(0)
	ds_store_b64 v100, v[97:98]
	s_waitcnt lgkmcnt(0)
	s_waitcnt_vscnt null, 0x0
	s_barrier
	buffer_gl0_inv
	s_and_saveexec_b32 s3, s1
	s_cbranch_execz .LBB111_118
; %bb.109:
	s_and_not1_b32 vcc_lo, exec_lo, s2
	s_cbranch_vccnz .LBB111_111
; %bb.110:
	scratch_load_b64 v[97:98], v101, off
	ds_load_b64 v[120:121], v100
	s_waitcnt vmcnt(0) lgkmcnt(0)
	v_mul_f64 v[97:98], v[97:98], v[120:121]
	s_cbranch_execz .LBB111_112
	s_branch .LBB111_113
.LBB111_111:
                                        ; implicit-def: $vgpr97_vgpr98
.LBB111_112:
	ds_load_b64 v[97:98], v100
.LBB111_113:
	s_and_saveexec_b32 s4, s0
	s_cbranch_execz .LBB111_117
; %bb.114:
	v_subrev_nc_u32_e32 v120, 36, v0
	s_movk_i32 s5, 0x2a0
	s_mov_b32 s0, 0
.LBB111_115:                            ; =>This Inner Loop Header: Depth=1
	scratch_load_b64 v[121:122], v119, off
	v_dual_mov_b32 v123, s5 :: v_dual_add_nc_u32 v120, -1, v120
	v_add_nc_u32_e32 v119, 8, v119
	s_add_i32 s5, s5, 8
	ds_load_b64 v[123:124], v123
	v_cmp_eq_u32_e32 vcc_lo, 0, v120
	s_or_b32 s0, vcc_lo, s0
	s_waitcnt vmcnt(0) lgkmcnt(0)
	v_fma_f64 v[97:98], v[121:122], v[123:124], v[97:98]
	s_and_not1_b32 exec_lo, exec_lo, s0
	s_cbranch_execnz .LBB111_115
; %bb.116:
	s_or_b32 exec_lo, exec_lo, s0
.LBB111_117:
	s_delay_alu instid0(SALU_CYCLE_1)
	s_or_b32 exec_lo, exec_lo, s4
	v_mov_b32_e32 v119, 0
	ds_load_b64 v[119:120], v119 offset:280
	s_waitcnt lgkmcnt(0)
	v_mul_f64 v[97:98], v[97:98], v[119:120]
	scratch_store_b64 off, v[97:98], off offset:280
.LBB111_118:
	s_or_b32 exec_lo, exec_lo, s3
	scratch_load_b64 v[97:98], off, off offset:272
	v_cmp_lt_u32_e64 s0, 34, v0
	s_waitcnt vmcnt(0)
	ds_store_b64 v100, v[97:98]
	s_waitcnt lgkmcnt(0)
	s_waitcnt_vscnt null, 0x0
	s_barrier
	buffer_gl0_inv
	s_and_saveexec_b32 s3, s0
	s_cbranch_execz .LBB111_128
; %bb.119:
	s_and_not1_b32 vcc_lo, exec_lo, s2
	s_cbranch_vccnz .LBB111_121
; %bb.120:
	scratch_load_b64 v[97:98], v101, off
	ds_load_b64 v[119:120], v100
	s_waitcnt vmcnt(0) lgkmcnt(0)
	v_mul_f64 v[97:98], v[97:98], v[119:120]
	s_cbranch_execz .LBB111_122
	s_branch .LBB111_123
.LBB111_121:
                                        ; implicit-def: $vgpr97_vgpr98
.LBB111_122:
	ds_load_b64 v[97:98], v100
.LBB111_123:
	s_and_saveexec_b32 s4, s1
	s_cbranch_execz .LBB111_127
; %bb.124:
	v_mov_b32_e32 v119, 0
	v_subrev_nc_u32_e32 v120, 35, v0
	s_movk_i32 s5, 0x298
	s_mov_b32 s1, 0
	s_delay_alu instid0(VALU_DEP_2)
	v_add_nc_u32_e32 v119, 0x118, v119
.LBB111_125:                            ; =>This Inner Loop Header: Depth=1
	scratch_load_b64 v[121:122], v119, off
	v_dual_mov_b32 v123, s5 :: v_dual_add_nc_u32 v120, -1, v120
	v_add_nc_u32_e32 v119, 8, v119
	s_add_i32 s5, s5, 8
	ds_load_b64 v[123:124], v123
	v_cmp_eq_u32_e32 vcc_lo, 0, v120
	s_or_b32 s1, vcc_lo, s1
	s_waitcnt vmcnt(0) lgkmcnt(0)
	v_fma_f64 v[97:98], v[121:122], v[123:124], v[97:98]
	s_and_not1_b32 exec_lo, exec_lo, s1
	s_cbranch_execnz .LBB111_125
; %bb.126:
	s_or_b32 exec_lo, exec_lo, s1
.LBB111_127:
	s_delay_alu instid0(SALU_CYCLE_1)
	s_or_b32 exec_lo, exec_lo, s4
	v_mov_b32_e32 v119, 0
	ds_load_b64 v[119:120], v119 offset:272
	s_waitcnt lgkmcnt(0)
	v_mul_f64 v[97:98], v[97:98], v[119:120]
	scratch_store_b64 off, v[97:98], off offset:272
.LBB111_128:
	s_or_b32 exec_lo, exec_lo, s3
	scratch_load_b64 v[97:98], off, off offset:264
	v_cmp_lt_u32_e64 s1, 33, v0
	s_waitcnt vmcnt(0)
	ds_store_b64 v100, v[97:98]
	s_waitcnt lgkmcnt(0)
	s_waitcnt_vscnt null, 0x0
	s_barrier
	buffer_gl0_inv
	s_and_saveexec_b32 s3, s1
	s_cbranch_execz .LBB111_138
; %bb.129:
	s_and_not1_b32 vcc_lo, exec_lo, s2
	s_cbranch_vccnz .LBB111_131
; %bb.130:
	scratch_load_b64 v[97:98], v101, off
	ds_load_b64 v[119:120], v100
	s_waitcnt vmcnt(0) lgkmcnt(0)
	v_mul_f64 v[97:98], v[97:98], v[119:120]
	s_cbranch_execz .LBB111_132
	s_branch .LBB111_133
.LBB111_131:
                                        ; implicit-def: $vgpr97_vgpr98
.LBB111_132:
	ds_load_b64 v[97:98], v100
.LBB111_133:
	s_and_saveexec_b32 s4, s0
	s_cbranch_execz .LBB111_137
; %bb.134:
	v_subrev_nc_u32_e32 v119, 34, v0
	s_movk_i32 s5, 0x290
	s_mov_b32 s0, 0
.LBB111_135:                            ; =>This Inner Loop Header: Depth=1
	scratch_load_b64 v[120:121], v118, off
	v_dual_mov_b32 v122, s5 :: v_dual_add_nc_u32 v119, -1, v119
	v_add_nc_u32_e32 v118, 8, v118
	s_add_i32 s5, s5, 8
	ds_load_b64 v[122:123], v122
	v_cmp_eq_u32_e32 vcc_lo, 0, v119
	s_or_b32 s0, vcc_lo, s0
	s_waitcnt vmcnt(0) lgkmcnt(0)
	v_fma_f64 v[97:98], v[120:121], v[122:123], v[97:98]
	s_and_not1_b32 exec_lo, exec_lo, s0
	s_cbranch_execnz .LBB111_135
; %bb.136:
	s_or_b32 exec_lo, exec_lo, s0
.LBB111_137:
	s_delay_alu instid0(SALU_CYCLE_1)
	s_or_b32 exec_lo, exec_lo, s4
	v_mov_b32_e32 v118, 0
	ds_load_b64 v[118:119], v118 offset:264
	s_waitcnt lgkmcnt(0)
	v_mul_f64 v[97:98], v[97:98], v[118:119]
	scratch_store_b64 off, v[97:98], off offset:264
.LBB111_138:
	s_or_b32 exec_lo, exec_lo, s3
	scratch_load_b64 v[97:98], off, off offset:256
	v_cmp_lt_u32_e64 s0, 32, v0
	s_waitcnt vmcnt(0)
	ds_store_b64 v100, v[97:98]
	s_waitcnt lgkmcnt(0)
	s_waitcnt_vscnt null, 0x0
	s_barrier
	buffer_gl0_inv
	s_and_saveexec_b32 s3, s0
	s_cbranch_execz .LBB111_148
; %bb.139:
	s_and_not1_b32 vcc_lo, exec_lo, s2
	s_cbranch_vccnz .LBB111_141
; %bb.140:
	scratch_load_b64 v[97:98], v101, off
	ds_load_b64 v[118:119], v100
	s_waitcnt vmcnt(0) lgkmcnt(0)
	v_mul_f64 v[97:98], v[97:98], v[118:119]
	s_cbranch_execz .LBB111_142
	s_branch .LBB111_143
.LBB111_141:
                                        ; implicit-def: $vgpr97_vgpr98
.LBB111_142:
	ds_load_b64 v[97:98], v100
.LBB111_143:
	s_and_saveexec_b32 s4, s1
	s_cbranch_execz .LBB111_147
; %bb.144:
	v_mov_b32_e32 v118, 0
	v_subrev_nc_u32_e32 v119, 33, v0
	s_movk_i32 s5, 0x288
	s_mov_b32 s1, 0
	s_delay_alu instid0(VALU_DEP_2)
	v_add_nc_u32_e32 v118, 0x108, v118
.LBB111_145:                            ; =>This Inner Loop Header: Depth=1
	scratch_load_b64 v[120:121], v118, off
	v_dual_mov_b32 v122, s5 :: v_dual_add_nc_u32 v119, -1, v119
	v_add_nc_u32_e32 v118, 8, v118
	s_add_i32 s5, s5, 8
	ds_load_b64 v[122:123], v122
	v_cmp_eq_u32_e32 vcc_lo, 0, v119
	s_or_b32 s1, vcc_lo, s1
	s_waitcnt vmcnt(0) lgkmcnt(0)
	v_fma_f64 v[97:98], v[120:121], v[122:123], v[97:98]
	s_and_not1_b32 exec_lo, exec_lo, s1
	s_cbranch_execnz .LBB111_145
; %bb.146:
	s_or_b32 exec_lo, exec_lo, s1
.LBB111_147:
	s_delay_alu instid0(SALU_CYCLE_1)
	s_or_b32 exec_lo, exec_lo, s4
	v_mov_b32_e32 v118, 0
	ds_load_b64 v[118:119], v118 offset:256
	s_waitcnt lgkmcnt(0)
	v_mul_f64 v[97:98], v[97:98], v[118:119]
	scratch_store_b64 off, v[97:98], off offset:256
.LBB111_148:
	s_or_b32 exec_lo, exec_lo, s3
	scratch_load_b64 v[97:98], off, off offset:248
	v_cmp_lt_u32_e64 s1, 31, v0
	s_waitcnt vmcnt(0)
	ds_store_b64 v100, v[97:98]
	s_waitcnt lgkmcnt(0)
	s_waitcnt_vscnt null, 0x0
	s_barrier
	buffer_gl0_inv
	s_and_saveexec_b32 s3, s1
	s_cbranch_execz .LBB111_158
; %bb.149:
	s_and_not1_b32 vcc_lo, exec_lo, s2
	s_cbranch_vccnz .LBB111_151
; %bb.150:
	scratch_load_b64 v[97:98], v101, off
	ds_load_b64 v[118:119], v100
	s_waitcnt vmcnt(0) lgkmcnt(0)
	v_mul_f64 v[97:98], v[97:98], v[118:119]
	s_cbranch_execz .LBB111_152
	s_branch .LBB111_153
.LBB111_151:
                                        ; implicit-def: $vgpr97_vgpr98
.LBB111_152:
	ds_load_b64 v[97:98], v100
.LBB111_153:
	s_and_saveexec_b32 s4, s0
	s_cbranch_execz .LBB111_157
; %bb.154:
	v_subrev_nc_u32_e32 v118, 32, v0
	s_movk_i32 s5, 0x280
	s_mov_b32 s0, 0
.LBB111_155:                            ; =>This Inner Loop Header: Depth=1
	scratch_load_b64 v[119:120], v117, off
	v_dual_mov_b32 v121, s5 :: v_dual_add_nc_u32 v118, -1, v118
	v_add_nc_u32_e32 v117, 8, v117
	s_add_i32 s5, s5, 8
	ds_load_b64 v[121:122], v121
	v_cmp_eq_u32_e32 vcc_lo, 0, v118
	s_or_b32 s0, vcc_lo, s0
	s_waitcnt vmcnt(0) lgkmcnt(0)
	v_fma_f64 v[97:98], v[119:120], v[121:122], v[97:98]
	s_and_not1_b32 exec_lo, exec_lo, s0
	s_cbranch_execnz .LBB111_155
; %bb.156:
	s_or_b32 exec_lo, exec_lo, s0
.LBB111_157:
	s_delay_alu instid0(SALU_CYCLE_1)
	s_or_b32 exec_lo, exec_lo, s4
	v_mov_b32_e32 v117, 0
	ds_load_b64 v[117:118], v117 offset:248
	s_waitcnt lgkmcnt(0)
	v_mul_f64 v[97:98], v[97:98], v[117:118]
	scratch_store_b64 off, v[97:98], off offset:248
.LBB111_158:
	s_or_b32 exec_lo, exec_lo, s3
	scratch_load_b64 v[97:98], off, off offset:240
	v_cmp_lt_u32_e64 s0, 30, v0
	s_waitcnt vmcnt(0)
	ds_store_b64 v100, v[97:98]
	s_waitcnt lgkmcnt(0)
	s_waitcnt_vscnt null, 0x0
	s_barrier
	buffer_gl0_inv
	s_and_saveexec_b32 s3, s0
	s_cbranch_execz .LBB111_168
; %bb.159:
	s_and_not1_b32 vcc_lo, exec_lo, s2
	s_cbranch_vccnz .LBB111_161
; %bb.160:
	scratch_load_b64 v[97:98], v101, off
	ds_load_b64 v[117:118], v100
	s_waitcnt vmcnt(0) lgkmcnt(0)
	v_mul_f64 v[97:98], v[97:98], v[117:118]
	s_cbranch_execz .LBB111_162
	s_branch .LBB111_163
.LBB111_161:
                                        ; implicit-def: $vgpr97_vgpr98
.LBB111_162:
	ds_load_b64 v[97:98], v100
.LBB111_163:
	s_and_saveexec_b32 s4, s1
	s_cbranch_execz .LBB111_167
; %bb.164:
	v_mov_b32_e32 v117, 0
	v_subrev_nc_u32_e32 v118, 31, v0
	s_movk_i32 s5, 0x278
	s_mov_b32 s1, 0
	s_delay_alu instid0(VALU_DEP_2)
	v_add_nc_u32_e32 v117, 0xf8, v117
.LBB111_165:                            ; =>This Inner Loop Header: Depth=1
	scratch_load_b64 v[119:120], v117, off
	v_dual_mov_b32 v121, s5 :: v_dual_add_nc_u32 v118, -1, v118
	v_add_nc_u32_e32 v117, 8, v117
	s_add_i32 s5, s5, 8
	ds_load_b64 v[121:122], v121
	v_cmp_eq_u32_e32 vcc_lo, 0, v118
	s_or_b32 s1, vcc_lo, s1
	s_waitcnt vmcnt(0) lgkmcnt(0)
	v_fma_f64 v[97:98], v[119:120], v[121:122], v[97:98]
	s_and_not1_b32 exec_lo, exec_lo, s1
	s_cbranch_execnz .LBB111_165
; %bb.166:
	s_or_b32 exec_lo, exec_lo, s1
.LBB111_167:
	s_delay_alu instid0(SALU_CYCLE_1)
	s_or_b32 exec_lo, exec_lo, s4
	v_mov_b32_e32 v117, 0
	ds_load_b64 v[117:118], v117 offset:240
	s_waitcnt lgkmcnt(0)
	v_mul_f64 v[97:98], v[97:98], v[117:118]
	scratch_store_b64 off, v[97:98], off offset:240
.LBB111_168:
	s_or_b32 exec_lo, exec_lo, s3
	scratch_load_b64 v[97:98], off, off offset:232
	v_cmp_lt_u32_e64 s1, 29, v0
	s_waitcnt vmcnt(0)
	ds_store_b64 v100, v[97:98]
	s_waitcnt lgkmcnt(0)
	s_waitcnt_vscnt null, 0x0
	s_barrier
	buffer_gl0_inv
	s_and_saveexec_b32 s3, s1
	s_cbranch_execz .LBB111_178
; %bb.169:
	s_and_not1_b32 vcc_lo, exec_lo, s2
	s_cbranch_vccnz .LBB111_171
; %bb.170:
	scratch_load_b64 v[97:98], v101, off
	ds_load_b64 v[117:118], v100
	s_waitcnt vmcnt(0) lgkmcnt(0)
	v_mul_f64 v[97:98], v[97:98], v[117:118]
	s_cbranch_execz .LBB111_172
	s_branch .LBB111_173
.LBB111_171:
                                        ; implicit-def: $vgpr97_vgpr98
.LBB111_172:
	ds_load_b64 v[97:98], v100
.LBB111_173:
	s_and_saveexec_b32 s4, s0
	s_cbranch_execz .LBB111_177
; %bb.174:
	v_subrev_nc_u32_e32 v117, 30, v0
	s_movk_i32 s5, 0x270
	s_mov_b32 s0, 0
.LBB111_175:                            ; =>This Inner Loop Header: Depth=1
	scratch_load_b64 v[118:119], v116, off
	v_dual_mov_b32 v120, s5 :: v_dual_add_nc_u32 v117, -1, v117
	v_add_nc_u32_e32 v116, 8, v116
	s_add_i32 s5, s5, 8
	ds_load_b64 v[120:121], v120
	v_cmp_eq_u32_e32 vcc_lo, 0, v117
	s_or_b32 s0, vcc_lo, s0
	s_waitcnt vmcnt(0) lgkmcnt(0)
	v_fma_f64 v[97:98], v[118:119], v[120:121], v[97:98]
	s_and_not1_b32 exec_lo, exec_lo, s0
	s_cbranch_execnz .LBB111_175
; %bb.176:
	s_or_b32 exec_lo, exec_lo, s0
.LBB111_177:
	s_delay_alu instid0(SALU_CYCLE_1)
	s_or_b32 exec_lo, exec_lo, s4
	v_mov_b32_e32 v116, 0
	ds_load_b64 v[116:117], v116 offset:232
	s_waitcnt lgkmcnt(0)
	v_mul_f64 v[97:98], v[97:98], v[116:117]
	scratch_store_b64 off, v[97:98], off offset:232
.LBB111_178:
	s_or_b32 exec_lo, exec_lo, s3
	scratch_load_b64 v[97:98], off, off offset:224
	v_cmp_lt_u32_e64 s0, 28, v0
	s_waitcnt vmcnt(0)
	ds_store_b64 v100, v[97:98]
	s_waitcnt lgkmcnt(0)
	s_waitcnt_vscnt null, 0x0
	s_barrier
	buffer_gl0_inv
	s_and_saveexec_b32 s3, s0
	s_cbranch_execz .LBB111_188
; %bb.179:
	s_and_not1_b32 vcc_lo, exec_lo, s2
	s_cbranch_vccnz .LBB111_181
; %bb.180:
	scratch_load_b64 v[97:98], v101, off
	ds_load_b64 v[116:117], v100
	s_waitcnt vmcnt(0) lgkmcnt(0)
	v_mul_f64 v[97:98], v[97:98], v[116:117]
	s_cbranch_execz .LBB111_182
	s_branch .LBB111_183
.LBB111_181:
                                        ; implicit-def: $vgpr97_vgpr98
.LBB111_182:
	ds_load_b64 v[97:98], v100
.LBB111_183:
	s_and_saveexec_b32 s4, s1
	s_cbranch_execz .LBB111_187
; %bb.184:
	v_mov_b32_e32 v116, 0
	v_subrev_nc_u32_e32 v117, 29, v0
	s_movk_i32 s5, 0x268
	s_mov_b32 s1, 0
	s_delay_alu instid0(VALU_DEP_2)
	v_add_nc_u32_e32 v116, 0xe8, v116
.LBB111_185:                            ; =>This Inner Loop Header: Depth=1
	scratch_load_b64 v[118:119], v116, off
	v_dual_mov_b32 v120, s5 :: v_dual_add_nc_u32 v117, -1, v117
	v_add_nc_u32_e32 v116, 8, v116
	s_add_i32 s5, s5, 8
	ds_load_b64 v[120:121], v120
	v_cmp_eq_u32_e32 vcc_lo, 0, v117
	s_or_b32 s1, vcc_lo, s1
	s_waitcnt vmcnt(0) lgkmcnt(0)
	v_fma_f64 v[97:98], v[118:119], v[120:121], v[97:98]
	s_and_not1_b32 exec_lo, exec_lo, s1
	s_cbranch_execnz .LBB111_185
; %bb.186:
	s_or_b32 exec_lo, exec_lo, s1
.LBB111_187:
	s_delay_alu instid0(SALU_CYCLE_1)
	s_or_b32 exec_lo, exec_lo, s4
	v_mov_b32_e32 v116, 0
	ds_load_b64 v[116:117], v116 offset:224
	s_waitcnt lgkmcnt(0)
	v_mul_f64 v[97:98], v[97:98], v[116:117]
	scratch_store_b64 off, v[97:98], off offset:224
.LBB111_188:
	s_or_b32 exec_lo, exec_lo, s3
	scratch_load_b64 v[97:98], off, off offset:216
	v_cmp_lt_u32_e64 s1, 27, v0
	s_waitcnt vmcnt(0)
	ds_store_b64 v100, v[97:98]
	s_waitcnt lgkmcnt(0)
	s_waitcnt_vscnt null, 0x0
	s_barrier
	buffer_gl0_inv
	s_and_saveexec_b32 s3, s1
	s_cbranch_execz .LBB111_198
; %bb.189:
	s_and_not1_b32 vcc_lo, exec_lo, s2
	s_cbranch_vccnz .LBB111_191
; %bb.190:
	scratch_load_b64 v[97:98], v101, off
	ds_load_b64 v[116:117], v100
	s_waitcnt vmcnt(0) lgkmcnt(0)
	v_mul_f64 v[97:98], v[97:98], v[116:117]
	s_cbranch_execz .LBB111_192
	s_branch .LBB111_193
.LBB111_191:
                                        ; implicit-def: $vgpr97_vgpr98
.LBB111_192:
	ds_load_b64 v[97:98], v100
.LBB111_193:
	s_and_saveexec_b32 s4, s0
	s_cbranch_execz .LBB111_197
; %bb.194:
	v_subrev_nc_u32_e32 v116, 28, v0
	s_movk_i32 s5, 0x260
	s_mov_b32 s0, 0
.LBB111_195:                            ; =>This Inner Loop Header: Depth=1
	scratch_load_b64 v[117:118], v115, off
	v_dual_mov_b32 v119, s5 :: v_dual_add_nc_u32 v116, -1, v116
	v_add_nc_u32_e32 v115, 8, v115
	s_add_i32 s5, s5, 8
	ds_load_b64 v[119:120], v119
	v_cmp_eq_u32_e32 vcc_lo, 0, v116
	s_or_b32 s0, vcc_lo, s0
	s_waitcnt vmcnt(0) lgkmcnt(0)
	v_fma_f64 v[97:98], v[117:118], v[119:120], v[97:98]
	s_and_not1_b32 exec_lo, exec_lo, s0
	s_cbranch_execnz .LBB111_195
; %bb.196:
	s_or_b32 exec_lo, exec_lo, s0
.LBB111_197:
	s_delay_alu instid0(SALU_CYCLE_1)
	s_or_b32 exec_lo, exec_lo, s4
	v_mov_b32_e32 v115, 0
	ds_load_b64 v[115:116], v115 offset:216
	s_waitcnt lgkmcnt(0)
	v_mul_f64 v[97:98], v[97:98], v[115:116]
	scratch_store_b64 off, v[97:98], off offset:216
.LBB111_198:
	s_or_b32 exec_lo, exec_lo, s3
	scratch_load_b64 v[97:98], off, off offset:208
	v_cmp_lt_u32_e64 s0, 26, v0
	s_waitcnt vmcnt(0)
	ds_store_b64 v100, v[97:98]
	s_waitcnt lgkmcnt(0)
	s_waitcnt_vscnt null, 0x0
	s_barrier
	buffer_gl0_inv
	s_and_saveexec_b32 s3, s0
	s_cbranch_execz .LBB111_208
; %bb.199:
	s_and_not1_b32 vcc_lo, exec_lo, s2
	s_cbranch_vccnz .LBB111_201
; %bb.200:
	scratch_load_b64 v[97:98], v101, off
	ds_load_b64 v[115:116], v100
	s_waitcnt vmcnt(0) lgkmcnt(0)
	v_mul_f64 v[97:98], v[97:98], v[115:116]
	s_cbranch_execz .LBB111_202
	s_branch .LBB111_203
.LBB111_201:
                                        ; implicit-def: $vgpr97_vgpr98
.LBB111_202:
	ds_load_b64 v[97:98], v100
.LBB111_203:
	s_and_saveexec_b32 s4, s1
	s_cbranch_execz .LBB111_207
; %bb.204:
	v_mov_b32_e32 v115, 0
	v_subrev_nc_u32_e32 v116, 27, v0
	s_movk_i32 s5, 0x258
	s_mov_b32 s1, 0
	s_delay_alu instid0(VALU_DEP_2)
	v_add_nc_u32_e32 v115, 0xd8, v115
.LBB111_205:                            ; =>This Inner Loop Header: Depth=1
	scratch_load_b64 v[117:118], v115, off
	v_dual_mov_b32 v119, s5 :: v_dual_add_nc_u32 v116, -1, v116
	v_add_nc_u32_e32 v115, 8, v115
	s_add_i32 s5, s5, 8
	ds_load_b64 v[119:120], v119
	v_cmp_eq_u32_e32 vcc_lo, 0, v116
	s_or_b32 s1, vcc_lo, s1
	s_waitcnt vmcnt(0) lgkmcnt(0)
	v_fma_f64 v[97:98], v[117:118], v[119:120], v[97:98]
	s_and_not1_b32 exec_lo, exec_lo, s1
	s_cbranch_execnz .LBB111_205
; %bb.206:
	s_or_b32 exec_lo, exec_lo, s1
.LBB111_207:
	s_delay_alu instid0(SALU_CYCLE_1)
	s_or_b32 exec_lo, exec_lo, s4
	v_mov_b32_e32 v115, 0
	ds_load_b64 v[115:116], v115 offset:208
	s_waitcnt lgkmcnt(0)
	v_mul_f64 v[97:98], v[97:98], v[115:116]
	scratch_store_b64 off, v[97:98], off offset:208
.LBB111_208:
	s_or_b32 exec_lo, exec_lo, s3
	scratch_load_b64 v[97:98], off, off offset:200
	v_cmp_lt_u32_e64 s1, 25, v0
	s_waitcnt vmcnt(0)
	ds_store_b64 v100, v[97:98]
	s_waitcnt lgkmcnt(0)
	s_waitcnt_vscnt null, 0x0
	s_barrier
	buffer_gl0_inv
	s_and_saveexec_b32 s3, s1
	s_cbranch_execz .LBB111_218
; %bb.209:
	s_and_not1_b32 vcc_lo, exec_lo, s2
	s_cbranch_vccnz .LBB111_211
; %bb.210:
	scratch_load_b64 v[97:98], v101, off
	ds_load_b64 v[115:116], v100
	s_waitcnt vmcnt(0) lgkmcnt(0)
	v_mul_f64 v[97:98], v[97:98], v[115:116]
	s_cbranch_execz .LBB111_212
	s_branch .LBB111_213
.LBB111_211:
                                        ; implicit-def: $vgpr97_vgpr98
.LBB111_212:
	ds_load_b64 v[97:98], v100
.LBB111_213:
	s_and_saveexec_b32 s4, s0
	s_cbranch_execz .LBB111_217
; %bb.214:
	v_subrev_nc_u32_e32 v115, 26, v0
	s_movk_i32 s5, 0x250
	s_mov_b32 s0, 0
.LBB111_215:                            ; =>This Inner Loop Header: Depth=1
	scratch_load_b64 v[116:117], v114, off
	v_dual_mov_b32 v118, s5 :: v_dual_add_nc_u32 v115, -1, v115
	v_add_nc_u32_e32 v114, 8, v114
	s_add_i32 s5, s5, 8
	ds_load_b64 v[118:119], v118
	v_cmp_eq_u32_e32 vcc_lo, 0, v115
	s_or_b32 s0, vcc_lo, s0
	s_waitcnt vmcnt(0) lgkmcnt(0)
	v_fma_f64 v[97:98], v[116:117], v[118:119], v[97:98]
	s_and_not1_b32 exec_lo, exec_lo, s0
	s_cbranch_execnz .LBB111_215
; %bb.216:
	s_or_b32 exec_lo, exec_lo, s0
.LBB111_217:
	s_delay_alu instid0(SALU_CYCLE_1)
	s_or_b32 exec_lo, exec_lo, s4
	v_mov_b32_e32 v114, 0
	ds_load_b64 v[114:115], v114 offset:200
	s_waitcnt lgkmcnt(0)
	v_mul_f64 v[97:98], v[97:98], v[114:115]
	scratch_store_b64 off, v[97:98], off offset:200
.LBB111_218:
	s_or_b32 exec_lo, exec_lo, s3
	scratch_load_b64 v[97:98], off, off offset:192
	v_cmp_lt_u32_e64 s0, 24, v0
	s_waitcnt vmcnt(0)
	ds_store_b64 v100, v[97:98]
	s_waitcnt lgkmcnt(0)
	s_waitcnt_vscnt null, 0x0
	s_barrier
	buffer_gl0_inv
	s_and_saveexec_b32 s3, s0
	s_cbranch_execz .LBB111_228
; %bb.219:
	s_and_not1_b32 vcc_lo, exec_lo, s2
	s_cbranch_vccnz .LBB111_221
; %bb.220:
	scratch_load_b64 v[97:98], v101, off
	ds_load_b64 v[114:115], v100
	s_waitcnt vmcnt(0) lgkmcnt(0)
	v_mul_f64 v[97:98], v[97:98], v[114:115]
	s_cbranch_execz .LBB111_222
	s_branch .LBB111_223
.LBB111_221:
                                        ; implicit-def: $vgpr97_vgpr98
.LBB111_222:
	ds_load_b64 v[97:98], v100
.LBB111_223:
	s_and_saveexec_b32 s4, s1
	s_cbranch_execz .LBB111_227
; %bb.224:
	v_mov_b32_e32 v114, 0
	v_subrev_nc_u32_e32 v115, 25, v0
	s_movk_i32 s5, 0x248
	s_mov_b32 s1, 0
	s_delay_alu instid0(VALU_DEP_2)
	v_add_nc_u32_e32 v114, 0xc8, v114
.LBB111_225:                            ; =>This Inner Loop Header: Depth=1
	scratch_load_b64 v[116:117], v114, off
	v_dual_mov_b32 v118, s5 :: v_dual_add_nc_u32 v115, -1, v115
	v_add_nc_u32_e32 v114, 8, v114
	s_add_i32 s5, s5, 8
	ds_load_b64 v[118:119], v118
	v_cmp_eq_u32_e32 vcc_lo, 0, v115
	s_or_b32 s1, vcc_lo, s1
	s_waitcnt vmcnt(0) lgkmcnt(0)
	v_fma_f64 v[97:98], v[116:117], v[118:119], v[97:98]
	s_and_not1_b32 exec_lo, exec_lo, s1
	s_cbranch_execnz .LBB111_225
; %bb.226:
	s_or_b32 exec_lo, exec_lo, s1
.LBB111_227:
	s_delay_alu instid0(SALU_CYCLE_1)
	s_or_b32 exec_lo, exec_lo, s4
	v_mov_b32_e32 v114, 0
	ds_load_b64 v[114:115], v114 offset:192
	s_waitcnt lgkmcnt(0)
	v_mul_f64 v[97:98], v[97:98], v[114:115]
	scratch_store_b64 off, v[97:98], off offset:192
.LBB111_228:
	s_or_b32 exec_lo, exec_lo, s3
	scratch_load_b64 v[97:98], off, off offset:184
	v_cmp_lt_u32_e64 s1, 23, v0
	s_waitcnt vmcnt(0)
	ds_store_b64 v100, v[97:98]
	s_waitcnt lgkmcnt(0)
	s_waitcnt_vscnt null, 0x0
	s_barrier
	buffer_gl0_inv
	s_and_saveexec_b32 s3, s1
	s_cbranch_execz .LBB111_238
; %bb.229:
	s_and_not1_b32 vcc_lo, exec_lo, s2
	s_cbranch_vccnz .LBB111_231
; %bb.230:
	scratch_load_b64 v[97:98], v101, off
	ds_load_b64 v[114:115], v100
	s_waitcnt vmcnt(0) lgkmcnt(0)
	v_mul_f64 v[97:98], v[97:98], v[114:115]
	s_cbranch_execz .LBB111_232
	s_branch .LBB111_233
.LBB111_231:
                                        ; implicit-def: $vgpr97_vgpr98
.LBB111_232:
	ds_load_b64 v[97:98], v100
.LBB111_233:
	s_and_saveexec_b32 s4, s0
	s_cbranch_execz .LBB111_237
; %bb.234:
	v_subrev_nc_u32_e32 v114, 24, v0
	s_movk_i32 s5, 0x240
	s_mov_b32 s0, 0
.LBB111_235:                            ; =>This Inner Loop Header: Depth=1
	scratch_load_b64 v[115:116], v113, off
	v_dual_mov_b32 v117, s5 :: v_dual_add_nc_u32 v114, -1, v114
	v_add_nc_u32_e32 v113, 8, v113
	s_add_i32 s5, s5, 8
	ds_load_b64 v[117:118], v117
	v_cmp_eq_u32_e32 vcc_lo, 0, v114
	s_or_b32 s0, vcc_lo, s0
	s_waitcnt vmcnt(0) lgkmcnt(0)
	v_fma_f64 v[97:98], v[115:116], v[117:118], v[97:98]
	s_and_not1_b32 exec_lo, exec_lo, s0
	s_cbranch_execnz .LBB111_235
; %bb.236:
	s_or_b32 exec_lo, exec_lo, s0
.LBB111_237:
	s_delay_alu instid0(SALU_CYCLE_1)
	s_or_b32 exec_lo, exec_lo, s4
	v_mov_b32_e32 v113, 0
	ds_load_b64 v[113:114], v113 offset:184
	s_waitcnt lgkmcnt(0)
	v_mul_f64 v[97:98], v[97:98], v[113:114]
	scratch_store_b64 off, v[97:98], off offset:184
.LBB111_238:
	s_or_b32 exec_lo, exec_lo, s3
	scratch_load_b64 v[97:98], off, off offset:176
	v_cmp_lt_u32_e64 s0, 22, v0
	s_waitcnt vmcnt(0)
	ds_store_b64 v100, v[97:98]
	s_waitcnt lgkmcnt(0)
	s_waitcnt_vscnt null, 0x0
	s_barrier
	buffer_gl0_inv
	s_and_saveexec_b32 s3, s0
	s_cbranch_execz .LBB111_248
; %bb.239:
	s_and_not1_b32 vcc_lo, exec_lo, s2
	s_cbranch_vccnz .LBB111_241
; %bb.240:
	scratch_load_b64 v[97:98], v101, off
	ds_load_b64 v[113:114], v100
	s_waitcnt vmcnt(0) lgkmcnt(0)
	v_mul_f64 v[97:98], v[97:98], v[113:114]
	s_cbranch_execz .LBB111_242
	s_branch .LBB111_243
.LBB111_241:
                                        ; implicit-def: $vgpr97_vgpr98
.LBB111_242:
	ds_load_b64 v[97:98], v100
.LBB111_243:
	s_and_saveexec_b32 s4, s1
	s_cbranch_execz .LBB111_247
; %bb.244:
	v_mov_b32_e32 v113, 0
	v_subrev_nc_u32_e32 v114, 23, v0
	s_movk_i32 s5, 0x238
	s_mov_b32 s1, 0
	s_delay_alu instid0(VALU_DEP_2)
	v_add_nc_u32_e32 v113, 0xb8, v113
.LBB111_245:                            ; =>This Inner Loop Header: Depth=1
	scratch_load_b64 v[115:116], v113, off
	v_dual_mov_b32 v117, s5 :: v_dual_add_nc_u32 v114, -1, v114
	v_add_nc_u32_e32 v113, 8, v113
	s_add_i32 s5, s5, 8
	ds_load_b64 v[117:118], v117
	v_cmp_eq_u32_e32 vcc_lo, 0, v114
	s_or_b32 s1, vcc_lo, s1
	s_waitcnt vmcnt(0) lgkmcnt(0)
	v_fma_f64 v[97:98], v[115:116], v[117:118], v[97:98]
	s_and_not1_b32 exec_lo, exec_lo, s1
	s_cbranch_execnz .LBB111_245
; %bb.246:
	s_or_b32 exec_lo, exec_lo, s1
.LBB111_247:
	s_delay_alu instid0(SALU_CYCLE_1)
	s_or_b32 exec_lo, exec_lo, s4
	v_mov_b32_e32 v113, 0
	ds_load_b64 v[113:114], v113 offset:176
	s_waitcnt lgkmcnt(0)
	v_mul_f64 v[97:98], v[97:98], v[113:114]
	scratch_store_b64 off, v[97:98], off offset:176
.LBB111_248:
	s_or_b32 exec_lo, exec_lo, s3
	scratch_load_b64 v[97:98], off, off offset:168
	v_cmp_lt_u32_e64 s1, 21, v0
	s_waitcnt vmcnt(0)
	ds_store_b64 v100, v[97:98]
	s_waitcnt lgkmcnt(0)
	s_waitcnt_vscnt null, 0x0
	s_barrier
	buffer_gl0_inv
	s_and_saveexec_b32 s3, s1
	s_cbranch_execz .LBB111_258
; %bb.249:
	s_and_not1_b32 vcc_lo, exec_lo, s2
	s_cbranch_vccnz .LBB111_251
; %bb.250:
	scratch_load_b64 v[97:98], v101, off
	ds_load_b64 v[113:114], v100
	s_waitcnt vmcnt(0) lgkmcnt(0)
	v_mul_f64 v[97:98], v[97:98], v[113:114]
	s_cbranch_execz .LBB111_252
	s_branch .LBB111_253
.LBB111_251:
                                        ; implicit-def: $vgpr97_vgpr98
.LBB111_252:
	ds_load_b64 v[97:98], v100
.LBB111_253:
	s_and_saveexec_b32 s4, s0
	s_cbranch_execz .LBB111_257
; %bb.254:
	v_subrev_nc_u32_e32 v113, 22, v0
	s_movk_i32 s5, 0x230
	s_mov_b32 s0, 0
.LBB111_255:                            ; =>This Inner Loop Header: Depth=1
	scratch_load_b64 v[114:115], v112, off
	v_dual_mov_b32 v116, s5 :: v_dual_add_nc_u32 v113, -1, v113
	v_add_nc_u32_e32 v112, 8, v112
	s_add_i32 s5, s5, 8
	ds_load_b64 v[116:117], v116
	v_cmp_eq_u32_e32 vcc_lo, 0, v113
	s_or_b32 s0, vcc_lo, s0
	s_waitcnt vmcnt(0) lgkmcnt(0)
	v_fma_f64 v[97:98], v[114:115], v[116:117], v[97:98]
	s_and_not1_b32 exec_lo, exec_lo, s0
	s_cbranch_execnz .LBB111_255
; %bb.256:
	s_or_b32 exec_lo, exec_lo, s0
.LBB111_257:
	s_delay_alu instid0(SALU_CYCLE_1)
	s_or_b32 exec_lo, exec_lo, s4
	v_mov_b32_e32 v112, 0
	ds_load_b64 v[112:113], v112 offset:168
	s_waitcnt lgkmcnt(0)
	v_mul_f64 v[97:98], v[97:98], v[112:113]
	scratch_store_b64 off, v[97:98], off offset:168
.LBB111_258:
	s_or_b32 exec_lo, exec_lo, s3
	scratch_load_b64 v[97:98], off, off offset:160
	v_cmp_lt_u32_e64 s0, 20, v0
	s_waitcnt vmcnt(0)
	ds_store_b64 v100, v[97:98]
	s_waitcnt lgkmcnt(0)
	s_waitcnt_vscnt null, 0x0
	s_barrier
	buffer_gl0_inv
	s_and_saveexec_b32 s3, s0
	s_cbranch_execz .LBB111_268
; %bb.259:
	s_and_not1_b32 vcc_lo, exec_lo, s2
	s_cbranch_vccnz .LBB111_261
; %bb.260:
	scratch_load_b64 v[97:98], v101, off
	ds_load_b64 v[112:113], v100
	s_waitcnt vmcnt(0) lgkmcnt(0)
	v_mul_f64 v[97:98], v[97:98], v[112:113]
	s_cbranch_execz .LBB111_262
	s_branch .LBB111_263
.LBB111_261:
                                        ; implicit-def: $vgpr97_vgpr98
.LBB111_262:
	ds_load_b64 v[97:98], v100
.LBB111_263:
	s_and_saveexec_b32 s4, s1
	s_cbranch_execz .LBB111_267
; %bb.264:
	v_mov_b32_e32 v112, 0
	v_subrev_nc_u32_e32 v113, 21, v0
	s_movk_i32 s5, 0x228
	s_mov_b32 s1, 0
	s_delay_alu instid0(VALU_DEP_2)
	v_add_nc_u32_e32 v112, 0xa8, v112
.LBB111_265:                            ; =>This Inner Loop Header: Depth=1
	scratch_load_b64 v[114:115], v112, off
	v_dual_mov_b32 v116, s5 :: v_dual_add_nc_u32 v113, -1, v113
	v_add_nc_u32_e32 v112, 8, v112
	s_add_i32 s5, s5, 8
	ds_load_b64 v[116:117], v116
	v_cmp_eq_u32_e32 vcc_lo, 0, v113
	s_or_b32 s1, vcc_lo, s1
	s_waitcnt vmcnt(0) lgkmcnt(0)
	v_fma_f64 v[97:98], v[114:115], v[116:117], v[97:98]
	s_and_not1_b32 exec_lo, exec_lo, s1
	s_cbranch_execnz .LBB111_265
; %bb.266:
	s_or_b32 exec_lo, exec_lo, s1
.LBB111_267:
	s_delay_alu instid0(SALU_CYCLE_1)
	s_or_b32 exec_lo, exec_lo, s4
	v_mov_b32_e32 v112, 0
	ds_load_b64 v[112:113], v112 offset:160
	s_waitcnt lgkmcnt(0)
	v_mul_f64 v[97:98], v[97:98], v[112:113]
	scratch_store_b64 off, v[97:98], off offset:160
.LBB111_268:
	s_or_b32 exec_lo, exec_lo, s3
	scratch_load_b64 v[97:98], off, off offset:152
	v_cmp_lt_u32_e64 s1, 19, v0
	s_waitcnt vmcnt(0)
	ds_store_b64 v100, v[97:98]
	s_waitcnt lgkmcnt(0)
	s_waitcnt_vscnt null, 0x0
	s_barrier
	buffer_gl0_inv
	s_and_saveexec_b32 s3, s1
	s_cbranch_execz .LBB111_278
; %bb.269:
	s_and_not1_b32 vcc_lo, exec_lo, s2
	s_cbranch_vccnz .LBB111_271
; %bb.270:
	scratch_load_b64 v[97:98], v101, off
	ds_load_b64 v[112:113], v100
	s_waitcnt vmcnt(0) lgkmcnt(0)
	v_mul_f64 v[97:98], v[97:98], v[112:113]
	s_cbranch_execz .LBB111_272
	s_branch .LBB111_273
.LBB111_271:
                                        ; implicit-def: $vgpr97_vgpr98
.LBB111_272:
	ds_load_b64 v[97:98], v100
.LBB111_273:
	s_and_saveexec_b32 s4, s0
	s_cbranch_execz .LBB111_277
; %bb.274:
	v_subrev_nc_u32_e32 v112, 20, v0
	s_movk_i32 s5, 0x220
	s_mov_b32 s0, 0
.LBB111_275:                            ; =>This Inner Loop Header: Depth=1
	scratch_load_b64 v[113:114], v111, off
	v_dual_mov_b32 v115, s5 :: v_dual_add_nc_u32 v112, -1, v112
	v_add_nc_u32_e32 v111, 8, v111
	s_add_i32 s5, s5, 8
	ds_load_b64 v[115:116], v115
	v_cmp_eq_u32_e32 vcc_lo, 0, v112
	s_or_b32 s0, vcc_lo, s0
	s_waitcnt vmcnt(0) lgkmcnt(0)
	v_fma_f64 v[97:98], v[113:114], v[115:116], v[97:98]
	s_and_not1_b32 exec_lo, exec_lo, s0
	s_cbranch_execnz .LBB111_275
; %bb.276:
	s_or_b32 exec_lo, exec_lo, s0
.LBB111_277:
	s_delay_alu instid0(SALU_CYCLE_1)
	s_or_b32 exec_lo, exec_lo, s4
	v_mov_b32_e32 v111, 0
	ds_load_b64 v[111:112], v111 offset:152
	s_waitcnt lgkmcnt(0)
	v_mul_f64 v[97:98], v[97:98], v[111:112]
	scratch_store_b64 off, v[97:98], off offset:152
.LBB111_278:
	s_or_b32 exec_lo, exec_lo, s3
	scratch_load_b64 v[97:98], off, off offset:144
	v_cmp_lt_u32_e64 s0, 18, v0
	s_waitcnt vmcnt(0)
	ds_store_b64 v100, v[97:98]
	s_waitcnt lgkmcnt(0)
	s_waitcnt_vscnt null, 0x0
	s_barrier
	buffer_gl0_inv
	s_and_saveexec_b32 s3, s0
	s_cbranch_execz .LBB111_288
; %bb.279:
	s_and_not1_b32 vcc_lo, exec_lo, s2
	s_cbranch_vccnz .LBB111_281
; %bb.280:
	scratch_load_b64 v[97:98], v101, off
	ds_load_b64 v[111:112], v100
	s_waitcnt vmcnt(0) lgkmcnt(0)
	v_mul_f64 v[97:98], v[97:98], v[111:112]
	s_cbranch_execz .LBB111_282
	s_branch .LBB111_283
.LBB111_281:
                                        ; implicit-def: $vgpr97_vgpr98
.LBB111_282:
	ds_load_b64 v[97:98], v100
.LBB111_283:
	s_and_saveexec_b32 s4, s1
	s_cbranch_execz .LBB111_287
; %bb.284:
	v_mov_b32_e32 v111, 0
	v_subrev_nc_u32_e32 v112, 19, v0
	s_movk_i32 s5, 0x218
	s_mov_b32 s1, 0
	s_delay_alu instid0(VALU_DEP_2)
	v_add_nc_u32_e32 v111, 0x98, v111
.LBB111_285:                            ; =>This Inner Loop Header: Depth=1
	scratch_load_b64 v[113:114], v111, off
	v_dual_mov_b32 v115, s5 :: v_dual_add_nc_u32 v112, -1, v112
	v_add_nc_u32_e32 v111, 8, v111
	s_add_i32 s5, s5, 8
	ds_load_b64 v[115:116], v115
	v_cmp_eq_u32_e32 vcc_lo, 0, v112
	s_or_b32 s1, vcc_lo, s1
	s_waitcnt vmcnt(0) lgkmcnt(0)
	v_fma_f64 v[97:98], v[113:114], v[115:116], v[97:98]
	s_and_not1_b32 exec_lo, exec_lo, s1
	s_cbranch_execnz .LBB111_285
; %bb.286:
	s_or_b32 exec_lo, exec_lo, s1
.LBB111_287:
	s_delay_alu instid0(SALU_CYCLE_1)
	s_or_b32 exec_lo, exec_lo, s4
	v_mov_b32_e32 v111, 0
	ds_load_b64 v[111:112], v111 offset:144
	s_waitcnt lgkmcnt(0)
	v_mul_f64 v[97:98], v[97:98], v[111:112]
	scratch_store_b64 off, v[97:98], off offset:144
.LBB111_288:
	s_or_b32 exec_lo, exec_lo, s3
	scratch_load_b64 v[97:98], off, off offset:136
	v_cmp_lt_u32_e64 s1, 17, v0
	s_waitcnt vmcnt(0)
	ds_store_b64 v100, v[97:98]
	s_waitcnt lgkmcnt(0)
	s_waitcnt_vscnt null, 0x0
	s_barrier
	buffer_gl0_inv
	s_and_saveexec_b32 s3, s1
	s_cbranch_execz .LBB111_298
; %bb.289:
	s_and_not1_b32 vcc_lo, exec_lo, s2
	s_cbranch_vccnz .LBB111_291
; %bb.290:
	scratch_load_b64 v[97:98], v101, off
	ds_load_b64 v[111:112], v100
	s_waitcnt vmcnt(0) lgkmcnt(0)
	v_mul_f64 v[97:98], v[97:98], v[111:112]
	s_cbranch_execz .LBB111_292
	s_branch .LBB111_293
.LBB111_291:
                                        ; implicit-def: $vgpr97_vgpr98
.LBB111_292:
	ds_load_b64 v[97:98], v100
.LBB111_293:
	s_and_saveexec_b32 s4, s0
	s_cbranch_execz .LBB111_297
; %bb.294:
	v_subrev_nc_u32_e32 v111, 18, v0
	s_movk_i32 s5, 0x210
	s_mov_b32 s0, 0
.LBB111_295:                            ; =>This Inner Loop Header: Depth=1
	scratch_load_b64 v[112:113], v110, off
	v_dual_mov_b32 v114, s5 :: v_dual_add_nc_u32 v111, -1, v111
	v_add_nc_u32_e32 v110, 8, v110
	s_add_i32 s5, s5, 8
	ds_load_b64 v[114:115], v114
	v_cmp_eq_u32_e32 vcc_lo, 0, v111
	s_or_b32 s0, vcc_lo, s0
	s_waitcnt vmcnt(0) lgkmcnt(0)
	v_fma_f64 v[97:98], v[112:113], v[114:115], v[97:98]
	s_and_not1_b32 exec_lo, exec_lo, s0
	s_cbranch_execnz .LBB111_295
; %bb.296:
	s_or_b32 exec_lo, exec_lo, s0
.LBB111_297:
	s_delay_alu instid0(SALU_CYCLE_1)
	s_or_b32 exec_lo, exec_lo, s4
	v_mov_b32_e32 v110, 0
	ds_load_b64 v[110:111], v110 offset:136
	s_waitcnt lgkmcnt(0)
	v_mul_f64 v[97:98], v[97:98], v[110:111]
	scratch_store_b64 off, v[97:98], off offset:136
.LBB111_298:
	s_or_b32 exec_lo, exec_lo, s3
	scratch_load_b64 v[97:98], off, off offset:128
	v_cmp_lt_u32_e64 s0, 16, v0
	s_waitcnt vmcnt(0)
	ds_store_b64 v100, v[97:98]
	s_waitcnt lgkmcnt(0)
	s_waitcnt_vscnt null, 0x0
	s_barrier
	buffer_gl0_inv
	s_and_saveexec_b32 s3, s0
	s_cbranch_execz .LBB111_308
; %bb.299:
	s_and_not1_b32 vcc_lo, exec_lo, s2
	s_cbranch_vccnz .LBB111_301
; %bb.300:
	scratch_load_b64 v[97:98], v101, off
	ds_load_b64 v[110:111], v100
	s_waitcnt vmcnt(0) lgkmcnt(0)
	v_mul_f64 v[97:98], v[97:98], v[110:111]
	s_cbranch_execz .LBB111_302
	s_branch .LBB111_303
.LBB111_301:
                                        ; implicit-def: $vgpr97_vgpr98
.LBB111_302:
	ds_load_b64 v[97:98], v100
.LBB111_303:
	s_and_saveexec_b32 s4, s1
	s_cbranch_execz .LBB111_307
; %bb.304:
	v_mov_b32_e32 v110, 0
	v_subrev_nc_u32_e32 v111, 17, v0
	s_movk_i32 s5, 0x208
	s_mov_b32 s1, 0
	s_delay_alu instid0(VALU_DEP_2)
	v_add_nc_u32_e32 v110, 0x88, v110
.LBB111_305:                            ; =>This Inner Loop Header: Depth=1
	scratch_load_b64 v[112:113], v110, off
	v_dual_mov_b32 v114, s5 :: v_dual_add_nc_u32 v111, -1, v111
	v_add_nc_u32_e32 v110, 8, v110
	s_add_i32 s5, s5, 8
	ds_load_b64 v[114:115], v114
	v_cmp_eq_u32_e32 vcc_lo, 0, v111
	s_or_b32 s1, vcc_lo, s1
	s_waitcnt vmcnt(0) lgkmcnt(0)
	v_fma_f64 v[97:98], v[112:113], v[114:115], v[97:98]
	s_and_not1_b32 exec_lo, exec_lo, s1
	s_cbranch_execnz .LBB111_305
; %bb.306:
	s_or_b32 exec_lo, exec_lo, s1
.LBB111_307:
	s_delay_alu instid0(SALU_CYCLE_1)
	s_or_b32 exec_lo, exec_lo, s4
	v_mov_b32_e32 v110, 0
	ds_load_b64 v[110:111], v110 offset:128
	s_waitcnt lgkmcnt(0)
	v_mul_f64 v[97:98], v[97:98], v[110:111]
	scratch_store_b64 off, v[97:98], off offset:128
.LBB111_308:
	s_or_b32 exec_lo, exec_lo, s3
	scratch_load_b64 v[97:98], off, off offset:120
	v_cmp_lt_u32_e64 s1, 15, v0
	s_waitcnt vmcnt(0)
	ds_store_b64 v100, v[97:98]
	s_waitcnt lgkmcnt(0)
	s_waitcnt_vscnt null, 0x0
	s_barrier
	buffer_gl0_inv
	s_and_saveexec_b32 s3, s1
	s_cbranch_execz .LBB111_318
; %bb.309:
	s_and_not1_b32 vcc_lo, exec_lo, s2
	s_cbranch_vccnz .LBB111_311
; %bb.310:
	scratch_load_b64 v[97:98], v101, off
	ds_load_b64 v[110:111], v100
	s_waitcnt vmcnt(0) lgkmcnt(0)
	v_mul_f64 v[97:98], v[97:98], v[110:111]
	s_cbranch_execz .LBB111_312
	s_branch .LBB111_313
.LBB111_311:
                                        ; implicit-def: $vgpr97_vgpr98
.LBB111_312:
	ds_load_b64 v[97:98], v100
.LBB111_313:
	s_and_saveexec_b32 s4, s0
	s_cbranch_execz .LBB111_317
; %bb.314:
	v_add_nc_u32_e32 v110, -16, v0
	s_movk_i32 s5, 0x200
	s_mov_b32 s0, 0
.LBB111_315:                            ; =>This Inner Loop Header: Depth=1
	scratch_load_b64 v[111:112], v109, off
	v_dual_mov_b32 v113, s5 :: v_dual_add_nc_u32 v110, -1, v110
	v_add_nc_u32_e32 v109, 8, v109
	s_add_i32 s5, s5, 8
	ds_load_b64 v[113:114], v113
	v_cmp_eq_u32_e32 vcc_lo, 0, v110
	s_or_b32 s0, vcc_lo, s0
	s_waitcnt vmcnt(0) lgkmcnt(0)
	v_fma_f64 v[97:98], v[111:112], v[113:114], v[97:98]
	s_and_not1_b32 exec_lo, exec_lo, s0
	s_cbranch_execnz .LBB111_315
; %bb.316:
	s_or_b32 exec_lo, exec_lo, s0
.LBB111_317:
	s_delay_alu instid0(SALU_CYCLE_1)
	s_or_b32 exec_lo, exec_lo, s4
	v_mov_b32_e32 v109, 0
	ds_load_b64 v[109:110], v109 offset:120
	s_waitcnt lgkmcnt(0)
	v_mul_f64 v[97:98], v[97:98], v[109:110]
	scratch_store_b64 off, v[97:98], off offset:120
.LBB111_318:
	s_or_b32 exec_lo, exec_lo, s3
	scratch_load_b64 v[97:98], off, off offset:112
	v_cmp_lt_u32_e64 s0, 14, v0
	s_waitcnt vmcnt(0)
	ds_store_b64 v100, v[97:98]
	s_waitcnt lgkmcnt(0)
	s_waitcnt_vscnt null, 0x0
	s_barrier
	buffer_gl0_inv
	s_and_saveexec_b32 s3, s0
	s_cbranch_execz .LBB111_328
; %bb.319:
	s_and_not1_b32 vcc_lo, exec_lo, s2
	s_cbranch_vccnz .LBB111_321
; %bb.320:
	scratch_load_b64 v[97:98], v101, off
	ds_load_b64 v[109:110], v100
	s_waitcnt vmcnt(0) lgkmcnt(0)
	v_mul_f64 v[97:98], v[97:98], v[109:110]
	s_cbranch_execz .LBB111_322
	s_branch .LBB111_323
.LBB111_321:
                                        ; implicit-def: $vgpr97_vgpr98
.LBB111_322:
	ds_load_b64 v[97:98], v100
.LBB111_323:
	s_and_saveexec_b32 s4, s1
	s_cbranch_execz .LBB111_327
; %bb.324:
	v_dual_mov_b32 v109, 0 :: v_dual_add_nc_u32 v110, -15, v0
	s_movk_i32 s5, 0x1f8
	s_mov_b32 s1, 0
	s_delay_alu instid0(VALU_DEP_1)
	v_add_nc_u32_e32 v109, 0x78, v109
.LBB111_325:                            ; =>This Inner Loop Header: Depth=1
	scratch_load_b64 v[111:112], v109, off
	v_dual_mov_b32 v113, s5 :: v_dual_add_nc_u32 v110, -1, v110
	v_add_nc_u32_e32 v109, 8, v109
	s_add_i32 s5, s5, 8
	ds_load_b64 v[113:114], v113
	v_cmp_eq_u32_e32 vcc_lo, 0, v110
	s_or_b32 s1, vcc_lo, s1
	s_waitcnt vmcnt(0) lgkmcnt(0)
	v_fma_f64 v[97:98], v[111:112], v[113:114], v[97:98]
	s_and_not1_b32 exec_lo, exec_lo, s1
	s_cbranch_execnz .LBB111_325
; %bb.326:
	s_or_b32 exec_lo, exec_lo, s1
.LBB111_327:
	s_delay_alu instid0(SALU_CYCLE_1)
	s_or_b32 exec_lo, exec_lo, s4
	v_mov_b32_e32 v109, 0
	ds_load_b64 v[109:110], v109 offset:112
	s_waitcnt lgkmcnt(0)
	v_mul_f64 v[97:98], v[97:98], v[109:110]
	scratch_store_b64 off, v[97:98], off offset:112
.LBB111_328:
	s_or_b32 exec_lo, exec_lo, s3
	scratch_load_b64 v[97:98], off, off offset:104
	v_cmp_lt_u32_e64 s1, 13, v0
	s_waitcnt vmcnt(0)
	ds_store_b64 v100, v[97:98]
	s_waitcnt lgkmcnt(0)
	s_waitcnt_vscnt null, 0x0
	s_barrier
	buffer_gl0_inv
	s_and_saveexec_b32 s3, s1
	s_cbranch_execz .LBB111_338
; %bb.329:
	s_and_not1_b32 vcc_lo, exec_lo, s2
	s_cbranch_vccnz .LBB111_331
; %bb.330:
	scratch_load_b64 v[97:98], v101, off
	ds_load_b64 v[109:110], v100
	s_waitcnt vmcnt(0) lgkmcnt(0)
	v_mul_f64 v[97:98], v[97:98], v[109:110]
	s_cbranch_execz .LBB111_332
	s_branch .LBB111_333
.LBB111_331:
                                        ; implicit-def: $vgpr97_vgpr98
.LBB111_332:
	ds_load_b64 v[97:98], v100
.LBB111_333:
	s_and_saveexec_b32 s4, s0
	s_cbranch_execz .LBB111_337
; %bb.334:
	v_add_nc_u32_e32 v109, -14, v0
	s_movk_i32 s5, 0x1f0
	s_mov_b32 s0, 0
.LBB111_335:                            ; =>This Inner Loop Header: Depth=1
	scratch_load_b64 v[110:111], v108, off
	v_dual_mov_b32 v112, s5 :: v_dual_add_nc_u32 v109, -1, v109
	v_add_nc_u32_e32 v108, 8, v108
	s_add_i32 s5, s5, 8
	ds_load_b64 v[112:113], v112
	v_cmp_eq_u32_e32 vcc_lo, 0, v109
	s_or_b32 s0, vcc_lo, s0
	s_waitcnt vmcnt(0) lgkmcnt(0)
	v_fma_f64 v[97:98], v[110:111], v[112:113], v[97:98]
	s_and_not1_b32 exec_lo, exec_lo, s0
	s_cbranch_execnz .LBB111_335
; %bb.336:
	s_or_b32 exec_lo, exec_lo, s0
.LBB111_337:
	s_delay_alu instid0(SALU_CYCLE_1)
	s_or_b32 exec_lo, exec_lo, s4
	v_mov_b32_e32 v108, 0
	ds_load_b64 v[108:109], v108 offset:104
	s_waitcnt lgkmcnt(0)
	v_mul_f64 v[97:98], v[97:98], v[108:109]
	scratch_store_b64 off, v[97:98], off offset:104
.LBB111_338:
	s_or_b32 exec_lo, exec_lo, s3
	scratch_load_b64 v[97:98], off, off offset:96
	v_cmp_lt_u32_e64 s0, 12, v0
	s_waitcnt vmcnt(0)
	ds_store_b64 v100, v[97:98]
	s_waitcnt lgkmcnt(0)
	s_waitcnt_vscnt null, 0x0
	s_barrier
	buffer_gl0_inv
	s_and_saveexec_b32 s3, s0
	s_cbranch_execz .LBB111_348
; %bb.339:
	s_and_not1_b32 vcc_lo, exec_lo, s2
	s_cbranch_vccnz .LBB111_341
; %bb.340:
	scratch_load_b64 v[97:98], v101, off
	ds_load_b64 v[108:109], v100
	s_waitcnt vmcnt(0) lgkmcnt(0)
	v_mul_f64 v[97:98], v[97:98], v[108:109]
	s_cbranch_execz .LBB111_342
	s_branch .LBB111_343
.LBB111_341:
                                        ; implicit-def: $vgpr97_vgpr98
.LBB111_342:
	ds_load_b64 v[97:98], v100
.LBB111_343:
	s_and_saveexec_b32 s4, s1
	s_cbranch_execz .LBB111_347
; %bb.344:
	v_dual_mov_b32 v108, 0 :: v_dual_add_nc_u32 v109, -13, v0
	s_movk_i32 s5, 0x1e8
	s_mov_b32 s1, 0
	s_delay_alu instid0(VALU_DEP_1)
	v_add_nc_u32_e32 v108, 0x68, v108
.LBB111_345:                            ; =>This Inner Loop Header: Depth=1
	scratch_load_b64 v[110:111], v108, off
	v_dual_mov_b32 v112, s5 :: v_dual_add_nc_u32 v109, -1, v109
	v_add_nc_u32_e32 v108, 8, v108
	s_add_i32 s5, s5, 8
	ds_load_b64 v[112:113], v112
	v_cmp_eq_u32_e32 vcc_lo, 0, v109
	s_or_b32 s1, vcc_lo, s1
	s_waitcnt vmcnt(0) lgkmcnt(0)
	v_fma_f64 v[97:98], v[110:111], v[112:113], v[97:98]
	s_and_not1_b32 exec_lo, exec_lo, s1
	s_cbranch_execnz .LBB111_345
; %bb.346:
	s_or_b32 exec_lo, exec_lo, s1
.LBB111_347:
	s_delay_alu instid0(SALU_CYCLE_1)
	s_or_b32 exec_lo, exec_lo, s4
	v_mov_b32_e32 v108, 0
	ds_load_b64 v[108:109], v108 offset:96
	s_waitcnt lgkmcnt(0)
	v_mul_f64 v[97:98], v[97:98], v[108:109]
	scratch_store_b64 off, v[97:98], off offset:96
.LBB111_348:
	s_or_b32 exec_lo, exec_lo, s3
	scratch_load_b64 v[97:98], off, off offset:88
	v_cmp_lt_u32_e64 s1, 11, v0
	s_waitcnt vmcnt(0)
	ds_store_b64 v100, v[97:98]
	s_waitcnt lgkmcnt(0)
	s_waitcnt_vscnt null, 0x0
	s_barrier
	buffer_gl0_inv
	s_and_saveexec_b32 s3, s1
	s_cbranch_execz .LBB111_358
; %bb.349:
	s_and_not1_b32 vcc_lo, exec_lo, s2
	s_cbranch_vccnz .LBB111_351
; %bb.350:
	scratch_load_b64 v[97:98], v101, off
	ds_load_b64 v[108:109], v100
	s_waitcnt vmcnt(0) lgkmcnt(0)
	v_mul_f64 v[97:98], v[97:98], v[108:109]
	s_cbranch_execz .LBB111_352
	s_branch .LBB111_353
.LBB111_351:
                                        ; implicit-def: $vgpr97_vgpr98
.LBB111_352:
	ds_load_b64 v[97:98], v100
.LBB111_353:
	s_and_saveexec_b32 s4, s0
	s_cbranch_execz .LBB111_357
; %bb.354:
	v_add_nc_u32_e32 v108, -12, v0
	s_movk_i32 s5, 0x1e0
	s_mov_b32 s0, 0
.LBB111_355:                            ; =>This Inner Loop Header: Depth=1
	scratch_load_b64 v[109:110], v107, off
	v_dual_mov_b32 v111, s5 :: v_dual_add_nc_u32 v108, -1, v108
	v_add_nc_u32_e32 v107, 8, v107
	s_add_i32 s5, s5, 8
	ds_load_b64 v[111:112], v111
	v_cmp_eq_u32_e32 vcc_lo, 0, v108
	s_or_b32 s0, vcc_lo, s0
	s_waitcnt vmcnt(0) lgkmcnt(0)
	v_fma_f64 v[97:98], v[109:110], v[111:112], v[97:98]
	s_and_not1_b32 exec_lo, exec_lo, s0
	s_cbranch_execnz .LBB111_355
; %bb.356:
	s_or_b32 exec_lo, exec_lo, s0
.LBB111_357:
	s_delay_alu instid0(SALU_CYCLE_1)
	s_or_b32 exec_lo, exec_lo, s4
	v_mov_b32_e32 v107, 0
	ds_load_b64 v[107:108], v107 offset:88
	s_waitcnt lgkmcnt(0)
	v_mul_f64 v[97:98], v[97:98], v[107:108]
	scratch_store_b64 off, v[97:98], off offset:88
.LBB111_358:
	s_or_b32 exec_lo, exec_lo, s3
	scratch_load_b64 v[97:98], off, off offset:80
	v_cmp_lt_u32_e64 s0, 10, v0
	s_waitcnt vmcnt(0)
	ds_store_b64 v100, v[97:98]
	s_waitcnt lgkmcnt(0)
	s_waitcnt_vscnt null, 0x0
	s_barrier
	buffer_gl0_inv
	s_and_saveexec_b32 s3, s0
	s_cbranch_execz .LBB111_368
; %bb.359:
	s_and_not1_b32 vcc_lo, exec_lo, s2
	s_cbranch_vccnz .LBB111_361
; %bb.360:
	scratch_load_b64 v[97:98], v101, off
	ds_load_b64 v[107:108], v100
	s_waitcnt vmcnt(0) lgkmcnt(0)
	v_mul_f64 v[97:98], v[97:98], v[107:108]
	s_cbranch_execz .LBB111_362
	s_branch .LBB111_363
.LBB111_361:
                                        ; implicit-def: $vgpr97_vgpr98
.LBB111_362:
	ds_load_b64 v[97:98], v100
.LBB111_363:
	s_and_saveexec_b32 s4, s1
	s_cbranch_execz .LBB111_367
; %bb.364:
	v_dual_mov_b32 v107, 0 :: v_dual_add_nc_u32 v108, -11, v0
	s_movk_i32 s5, 0x1d8
	s_mov_b32 s1, 0
	s_delay_alu instid0(VALU_DEP_1)
	v_add_nc_u32_e32 v107, 0x58, v107
.LBB111_365:                            ; =>This Inner Loop Header: Depth=1
	scratch_load_b64 v[109:110], v107, off
	v_dual_mov_b32 v111, s5 :: v_dual_add_nc_u32 v108, -1, v108
	v_add_nc_u32_e32 v107, 8, v107
	s_add_i32 s5, s5, 8
	ds_load_b64 v[111:112], v111
	v_cmp_eq_u32_e32 vcc_lo, 0, v108
	s_or_b32 s1, vcc_lo, s1
	s_waitcnt vmcnt(0) lgkmcnt(0)
	v_fma_f64 v[97:98], v[109:110], v[111:112], v[97:98]
	s_and_not1_b32 exec_lo, exec_lo, s1
	s_cbranch_execnz .LBB111_365
; %bb.366:
	s_or_b32 exec_lo, exec_lo, s1
.LBB111_367:
	s_delay_alu instid0(SALU_CYCLE_1)
	s_or_b32 exec_lo, exec_lo, s4
	v_mov_b32_e32 v107, 0
	ds_load_b64 v[107:108], v107 offset:80
	s_waitcnt lgkmcnt(0)
	v_mul_f64 v[97:98], v[97:98], v[107:108]
	scratch_store_b64 off, v[97:98], off offset:80
.LBB111_368:
	s_or_b32 exec_lo, exec_lo, s3
	scratch_load_b64 v[97:98], off, off offset:72
	v_cmp_lt_u32_e64 s1, 9, v0
	s_waitcnt vmcnt(0)
	ds_store_b64 v100, v[97:98]
	s_waitcnt lgkmcnt(0)
	s_waitcnt_vscnt null, 0x0
	s_barrier
	buffer_gl0_inv
	s_and_saveexec_b32 s3, s1
	s_cbranch_execz .LBB111_378
; %bb.369:
	s_and_not1_b32 vcc_lo, exec_lo, s2
	s_cbranch_vccnz .LBB111_371
; %bb.370:
	scratch_load_b64 v[97:98], v101, off
	ds_load_b64 v[107:108], v100
	s_waitcnt vmcnt(0) lgkmcnt(0)
	v_mul_f64 v[97:98], v[97:98], v[107:108]
	s_cbranch_execz .LBB111_372
	s_branch .LBB111_373
.LBB111_371:
                                        ; implicit-def: $vgpr97_vgpr98
.LBB111_372:
	ds_load_b64 v[97:98], v100
.LBB111_373:
	s_and_saveexec_b32 s4, s0
	s_cbranch_execz .LBB111_377
; %bb.374:
	v_add_nc_u32_e32 v107, -10, v0
	s_movk_i32 s5, 0x1d0
	s_mov_b32 s0, 0
.LBB111_375:                            ; =>This Inner Loop Header: Depth=1
	scratch_load_b64 v[108:109], v106, off
	v_dual_mov_b32 v110, s5 :: v_dual_add_nc_u32 v107, -1, v107
	v_add_nc_u32_e32 v106, 8, v106
	s_add_i32 s5, s5, 8
	ds_load_b64 v[110:111], v110
	v_cmp_eq_u32_e32 vcc_lo, 0, v107
	s_or_b32 s0, vcc_lo, s0
	s_waitcnt vmcnt(0) lgkmcnt(0)
	v_fma_f64 v[97:98], v[108:109], v[110:111], v[97:98]
	s_and_not1_b32 exec_lo, exec_lo, s0
	s_cbranch_execnz .LBB111_375
; %bb.376:
	s_or_b32 exec_lo, exec_lo, s0
.LBB111_377:
	s_delay_alu instid0(SALU_CYCLE_1)
	s_or_b32 exec_lo, exec_lo, s4
	v_mov_b32_e32 v106, 0
	ds_load_b64 v[106:107], v106 offset:72
	s_waitcnt lgkmcnt(0)
	v_mul_f64 v[97:98], v[97:98], v[106:107]
	scratch_store_b64 off, v[97:98], off offset:72
.LBB111_378:
	s_or_b32 exec_lo, exec_lo, s3
	scratch_load_b64 v[97:98], off, off offset:64
	v_cmp_lt_u32_e64 s0, 8, v0
	s_waitcnt vmcnt(0)
	ds_store_b64 v100, v[97:98]
	s_waitcnt lgkmcnt(0)
	s_waitcnt_vscnt null, 0x0
	s_barrier
	buffer_gl0_inv
	s_and_saveexec_b32 s3, s0
	s_cbranch_execz .LBB111_388
; %bb.379:
	s_and_not1_b32 vcc_lo, exec_lo, s2
	s_cbranch_vccnz .LBB111_381
; %bb.380:
	scratch_load_b64 v[97:98], v101, off
	ds_load_b64 v[106:107], v100
	s_waitcnt vmcnt(0) lgkmcnt(0)
	v_mul_f64 v[97:98], v[97:98], v[106:107]
	s_cbranch_execz .LBB111_382
	s_branch .LBB111_383
.LBB111_381:
                                        ; implicit-def: $vgpr97_vgpr98
.LBB111_382:
	ds_load_b64 v[97:98], v100
.LBB111_383:
	s_and_saveexec_b32 s4, s1
	s_cbranch_execz .LBB111_387
; %bb.384:
	v_dual_mov_b32 v106, 0 :: v_dual_add_nc_u32 v107, -9, v0
	s_movk_i32 s5, 0x1c8
	s_mov_b32 s1, 0
	s_delay_alu instid0(VALU_DEP_1)
	v_add_nc_u32_e32 v106, 0x48, v106
.LBB111_385:                            ; =>This Inner Loop Header: Depth=1
	scratch_load_b64 v[108:109], v106, off
	v_dual_mov_b32 v110, s5 :: v_dual_add_nc_u32 v107, -1, v107
	v_add_nc_u32_e32 v106, 8, v106
	s_add_i32 s5, s5, 8
	ds_load_b64 v[110:111], v110
	v_cmp_eq_u32_e32 vcc_lo, 0, v107
	s_or_b32 s1, vcc_lo, s1
	s_waitcnt vmcnt(0) lgkmcnt(0)
	v_fma_f64 v[97:98], v[108:109], v[110:111], v[97:98]
	s_and_not1_b32 exec_lo, exec_lo, s1
	s_cbranch_execnz .LBB111_385
; %bb.386:
	s_or_b32 exec_lo, exec_lo, s1
.LBB111_387:
	s_delay_alu instid0(SALU_CYCLE_1)
	s_or_b32 exec_lo, exec_lo, s4
	v_mov_b32_e32 v106, 0
	ds_load_b64 v[106:107], v106 offset:64
	s_waitcnt lgkmcnt(0)
	v_mul_f64 v[97:98], v[97:98], v[106:107]
	scratch_store_b64 off, v[97:98], off offset:64
.LBB111_388:
	s_or_b32 exec_lo, exec_lo, s3
	scratch_load_b64 v[97:98], off, off offset:56
	v_cmp_lt_u32_e64 s1, 7, v0
	s_waitcnt vmcnt(0)
	ds_store_b64 v100, v[97:98]
	s_waitcnt lgkmcnt(0)
	s_waitcnt_vscnt null, 0x0
	s_barrier
	buffer_gl0_inv
	s_and_saveexec_b32 s3, s1
	s_cbranch_execz .LBB111_398
; %bb.389:
	s_and_not1_b32 vcc_lo, exec_lo, s2
	s_cbranch_vccnz .LBB111_391
; %bb.390:
	scratch_load_b64 v[97:98], v101, off
	ds_load_b64 v[106:107], v100
	s_waitcnt vmcnt(0) lgkmcnt(0)
	v_mul_f64 v[97:98], v[97:98], v[106:107]
	s_cbranch_execz .LBB111_392
	s_branch .LBB111_393
.LBB111_391:
                                        ; implicit-def: $vgpr97_vgpr98
.LBB111_392:
	ds_load_b64 v[97:98], v100
.LBB111_393:
	s_and_saveexec_b32 s4, s0
	s_cbranch_execz .LBB111_397
; %bb.394:
	v_add_nc_u32_e32 v106, -8, v0
	s_movk_i32 s5, 0x1c0
	s_mov_b32 s0, 0
.LBB111_395:                            ; =>This Inner Loop Header: Depth=1
	scratch_load_b64 v[107:108], v105, off
	v_dual_mov_b32 v109, s5 :: v_dual_add_nc_u32 v106, -1, v106
	v_add_nc_u32_e32 v105, 8, v105
	s_add_i32 s5, s5, 8
	ds_load_b64 v[109:110], v109
	v_cmp_eq_u32_e32 vcc_lo, 0, v106
	s_or_b32 s0, vcc_lo, s0
	s_waitcnt vmcnt(0) lgkmcnt(0)
	v_fma_f64 v[97:98], v[107:108], v[109:110], v[97:98]
	s_and_not1_b32 exec_lo, exec_lo, s0
	s_cbranch_execnz .LBB111_395
; %bb.396:
	s_or_b32 exec_lo, exec_lo, s0
.LBB111_397:
	s_delay_alu instid0(SALU_CYCLE_1)
	s_or_b32 exec_lo, exec_lo, s4
	v_mov_b32_e32 v105, 0
	ds_load_b64 v[105:106], v105 offset:56
	s_waitcnt lgkmcnt(0)
	v_mul_f64 v[97:98], v[97:98], v[105:106]
	scratch_store_b64 off, v[97:98], off offset:56
.LBB111_398:
	s_or_b32 exec_lo, exec_lo, s3
	scratch_load_b64 v[97:98], off, off offset:48
	v_cmp_lt_u32_e64 s0, 6, v0
	s_waitcnt vmcnt(0)
	ds_store_b64 v100, v[97:98]
	s_waitcnt lgkmcnt(0)
	s_waitcnt_vscnt null, 0x0
	s_barrier
	buffer_gl0_inv
	s_and_saveexec_b32 s3, s0
	s_cbranch_execz .LBB111_408
; %bb.399:
	s_and_not1_b32 vcc_lo, exec_lo, s2
	s_cbranch_vccnz .LBB111_401
; %bb.400:
	scratch_load_b64 v[97:98], v101, off
	ds_load_b64 v[105:106], v100
	s_waitcnt vmcnt(0) lgkmcnt(0)
	v_mul_f64 v[97:98], v[97:98], v[105:106]
	s_cbranch_execz .LBB111_402
	s_branch .LBB111_403
.LBB111_401:
                                        ; implicit-def: $vgpr97_vgpr98
.LBB111_402:
	ds_load_b64 v[97:98], v100
.LBB111_403:
	s_and_saveexec_b32 s4, s1
	s_cbranch_execz .LBB111_407
; %bb.404:
	v_add_nc_u32_e64 v105, 0, 56
	v_add_nc_u32_e32 v106, -7, v0
	s_movk_i32 s5, 0x1b8
	s_mov_b32 s1, 0
.LBB111_405:                            ; =>This Inner Loop Header: Depth=1
	scratch_load_b64 v[107:108], v105, off
	v_dual_mov_b32 v109, s5 :: v_dual_add_nc_u32 v106, -1, v106
	v_add_nc_u32_e32 v105, 8, v105
	s_add_i32 s5, s5, 8
	ds_load_b64 v[109:110], v109
	v_cmp_eq_u32_e32 vcc_lo, 0, v106
	s_or_b32 s1, vcc_lo, s1
	s_waitcnt vmcnt(0) lgkmcnt(0)
	v_fma_f64 v[97:98], v[107:108], v[109:110], v[97:98]
	s_and_not1_b32 exec_lo, exec_lo, s1
	s_cbranch_execnz .LBB111_405
; %bb.406:
	s_or_b32 exec_lo, exec_lo, s1
.LBB111_407:
	s_delay_alu instid0(SALU_CYCLE_1)
	s_or_b32 exec_lo, exec_lo, s4
	v_mov_b32_e32 v105, 0
	ds_load_b64 v[105:106], v105 offset:48
	s_waitcnt lgkmcnt(0)
	v_mul_f64 v[97:98], v[97:98], v[105:106]
	scratch_store_b64 off, v[97:98], off offset:48
.LBB111_408:
	s_or_b32 exec_lo, exec_lo, s3
	scratch_load_b64 v[97:98], off, off offset:40
	v_cmp_lt_u32_e64 s1, 5, v0
	s_waitcnt vmcnt(0)
	ds_store_b64 v100, v[97:98]
	s_waitcnt lgkmcnt(0)
	s_waitcnt_vscnt null, 0x0
	s_barrier
	buffer_gl0_inv
	s_and_saveexec_b32 s3, s1
	s_cbranch_execz .LBB111_418
; %bb.409:
	s_and_not1_b32 vcc_lo, exec_lo, s2
	s_cbranch_vccnz .LBB111_411
; %bb.410:
	scratch_load_b64 v[97:98], v101, off
	ds_load_b64 v[105:106], v100
	s_waitcnt vmcnt(0) lgkmcnt(0)
	v_mul_f64 v[97:98], v[97:98], v[105:106]
	s_cbranch_execz .LBB111_412
	s_branch .LBB111_413
.LBB111_411:
                                        ; implicit-def: $vgpr97_vgpr98
.LBB111_412:
	ds_load_b64 v[97:98], v100
.LBB111_413:
	s_and_saveexec_b32 s4, s0
	s_cbranch_execz .LBB111_417
; %bb.414:
	v_add_nc_u32_e32 v105, -6, v0
	s_movk_i32 s5, 0x1b0
	s_mov_b32 s0, 0
.LBB111_415:                            ; =>This Inner Loop Header: Depth=1
	scratch_load_b64 v[106:107], v104, off
	v_dual_mov_b32 v108, s5 :: v_dual_add_nc_u32 v105, -1, v105
	v_add_nc_u32_e32 v104, 8, v104
	s_add_i32 s5, s5, 8
	ds_load_b64 v[108:109], v108
	v_cmp_eq_u32_e32 vcc_lo, 0, v105
	s_or_b32 s0, vcc_lo, s0
	s_waitcnt vmcnt(0) lgkmcnt(0)
	v_fma_f64 v[97:98], v[106:107], v[108:109], v[97:98]
	s_and_not1_b32 exec_lo, exec_lo, s0
	s_cbranch_execnz .LBB111_415
; %bb.416:
	s_or_b32 exec_lo, exec_lo, s0
.LBB111_417:
	s_delay_alu instid0(SALU_CYCLE_1)
	s_or_b32 exec_lo, exec_lo, s4
	v_mov_b32_e32 v104, 0
	ds_load_b64 v[104:105], v104 offset:40
	s_waitcnt lgkmcnt(0)
	v_mul_f64 v[97:98], v[97:98], v[104:105]
	scratch_store_b64 off, v[97:98], off offset:40
.LBB111_418:
	s_or_b32 exec_lo, exec_lo, s3
	scratch_load_b64 v[97:98], off, off offset:32
	v_cmp_lt_u32_e64 s0, 4, v0
	s_waitcnt vmcnt(0)
	ds_store_b64 v100, v[97:98]
	s_waitcnt lgkmcnt(0)
	s_waitcnt_vscnt null, 0x0
	s_barrier
	buffer_gl0_inv
	s_and_saveexec_b32 s3, s0
	s_cbranch_execz .LBB111_428
; %bb.419:
	s_and_not1_b32 vcc_lo, exec_lo, s2
	s_cbranch_vccnz .LBB111_421
; %bb.420:
	scratch_load_b64 v[97:98], v101, off
	ds_load_b64 v[104:105], v100
	s_waitcnt vmcnt(0) lgkmcnt(0)
	v_mul_f64 v[97:98], v[97:98], v[104:105]
	s_cbranch_execz .LBB111_422
	s_branch .LBB111_423
.LBB111_421:
                                        ; implicit-def: $vgpr97_vgpr98
.LBB111_422:
	ds_load_b64 v[97:98], v100
.LBB111_423:
	s_and_saveexec_b32 s4, s1
	s_cbranch_execz .LBB111_427
; %bb.424:
	v_add_nc_u32_e64 v104, 0, 40
	v_add_nc_u32_e32 v105, -5, v0
	s_movk_i32 s5, 0x1a8
	s_mov_b32 s1, 0
.LBB111_425:                            ; =>This Inner Loop Header: Depth=1
	scratch_load_b64 v[106:107], v104, off
	v_dual_mov_b32 v108, s5 :: v_dual_add_nc_u32 v105, -1, v105
	v_add_nc_u32_e32 v104, 8, v104
	s_add_i32 s5, s5, 8
	ds_load_b64 v[108:109], v108
	v_cmp_eq_u32_e32 vcc_lo, 0, v105
	s_or_b32 s1, vcc_lo, s1
	s_waitcnt vmcnt(0) lgkmcnt(0)
	v_fma_f64 v[97:98], v[106:107], v[108:109], v[97:98]
	s_and_not1_b32 exec_lo, exec_lo, s1
	s_cbranch_execnz .LBB111_425
; %bb.426:
	s_or_b32 exec_lo, exec_lo, s1
.LBB111_427:
	s_delay_alu instid0(SALU_CYCLE_1)
	s_or_b32 exec_lo, exec_lo, s4
	v_mov_b32_e32 v104, 0
	ds_load_b64 v[104:105], v104 offset:32
	s_waitcnt lgkmcnt(0)
	v_mul_f64 v[97:98], v[97:98], v[104:105]
	scratch_store_b64 off, v[97:98], off offset:32
.LBB111_428:
	s_or_b32 exec_lo, exec_lo, s3
	scratch_load_b64 v[97:98], off, off offset:24
	v_cmp_lt_u32_e64 s1, 3, v0
	s_waitcnt vmcnt(0)
	ds_store_b64 v100, v[97:98]
	s_waitcnt lgkmcnt(0)
	s_waitcnt_vscnt null, 0x0
	s_barrier
	buffer_gl0_inv
	s_and_saveexec_b32 s3, s1
	s_cbranch_execz .LBB111_438
; %bb.429:
	s_and_not1_b32 vcc_lo, exec_lo, s2
	s_cbranch_vccnz .LBB111_431
; %bb.430:
	scratch_load_b64 v[97:98], v101, off
	ds_load_b64 v[104:105], v100
	s_waitcnt vmcnt(0) lgkmcnt(0)
	v_mul_f64 v[97:98], v[97:98], v[104:105]
	s_cbranch_execz .LBB111_432
	s_branch .LBB111_433
.LBB111_431:
                                        ; implicit-def: $vgpr97_vgpr98
.LBB111_432:
	ds_load_b64 v[97:98], v100
.LBB111_433:
	s_and_saveexec_b32 s4, s0
	s_cbranch_execz .LBB111_437
; %bb.434:
	v_add_nc_u32_e32 v104, -4, v0
	s_movk_i32 s5, 0x1a0
	s_mov_b32 s0, 0
.LBB111_435:                            ; =>This Inner Loop Header: Depth=1
	scratch_load_b64 v[105:106], v103, off
	v_dual_mov_b32 v107, s5 :: v_dual_add_nc_u32 v104, -1, v104
	v_add_nc_u32_e32 v103, 8, v103
	s_add_i32 s5, s5, 8
	ds_load_b64 v[107:108], v107
	v_cmp_eq_u32_e32 vcc_lo, 0, v104
	s_or_b32 s0, vcc_lo, s0
	s_waitcnt vmcnt(0) lgkmcnt(0)
	v_fma_f64 v[97:98], v[105:106], v[107:108], v[97:98]
	s_and_not1_b32 exec_lo, exec_lo, s0
	s_cbranch_execnz .LBB111_435
; %bb.436:
	s_or_b32 exec_lo, exec_lo, s0
.LBB111_437:
	s_delay_alu instid0(SALU_CYCLE_1)
	s_or_b32 exec_lo, exec_lo, s4
	v_mov_b32_e32 v103, 0
	ds_load_b64 v[103:104], v103 offset:24
	s_waitcnt lgkmcnt(0)
	v_mul_f64 v[97:98], v[97:98], v[103:104]
	scratch_store_b64 off, v[97:98], off offset:24
.LBB111_438:
	s_or_b32 exec_lo, exec_lo, s3
	scratch_load_b64 v[97:98], off, off offset:16
	v_cmp_lt_u32_e64 s0, 2, v0
	s_waitcnt vmcnt(0)
	ds_store_b64 v100, v[97:98]
	s_waitcnt lgkmcnt(0)
	s_waitcnt_vscnt null, 0x0
	s_barrier
	buffer_gl0_inv
	s_and_saveexec_b32 s3, s0
	s_cbranch_execz .LBB111_448
; %bb.439:
	s_and_not1_b32 vcc_lo, exec_lo, s2
	s_cbranch_vccnz .LBB111_441
; %bb.440:
	scratch_load_b64 v[97:98], v101, off
	ds_load_b64 v[103:104], v100
	s_waitcnt vmcnt(0) lgkmcnt(0)
	v_mul_f64 v[97:98], v[97:98], v[103:104]
	s_cbranch_execz .LBB111_442
	s_branch .LBB111_443
.LBB111_441:
                                        ; implicit-def: $vgpr97_vgpr98
.LBB111_442:
	ds_load_b64 v[97:98], v100
.LBB111_443:
	s_and_saveexec_b32 s4, s1
	s_cbranch_execz .LBB111_447
; %bb.444:
	v_add_nc_u32_e64 v103, 0, 24
	v_add_nc_u32_e32 v104, -3, v0
	s_movk_i32 s5, 0x198
	s_mov_b32 s1, 0
.LBB111_445:                            ; =>This Inner Loop Header: Depth=1
	scratch_load_b64 v[105:106], v103, off
	v_dual_mov_b32 v107, s5 :: v_dual_add_nc_u32 v104, -1, v104
	v_add_nc_u32_e32 v103, 8, v103
	s_add_i32 s5, s5, 8
	ds_load_b64 v[107:108], v107
	v_cmp_eq_u32_e32 vcc_lo, 0, v104
	s_or_b32 s1, vcc_lo, s1
	s_waitcnt vmcnt(0) lgkmcnt(0)
	v_fma_f64 v[97:98], v[105:106], v[107:108], v[97:98]
	s_and_not1_b32 exec_lo, exec_lo, s1
	s_cbranch_execnz .LBB111_445
; %bb.446:
	s_or_b32 exec_lo, exec_lo, s1
.LBB111_447:
	s_delay_alu instid0(SALU_CYCLE_1)
	s_or_b32 exec_lo, exec_lo, s4
	v_mov_b32_e32 v103, 0
	ds_load_b64 v[103:104], v103 offset:16
	s_waitcnt lgkmcnt(0)
	v_mul_f64 v[97:98], v[97:98], v[103:104]
	scratch_store_b64 off, v[97:98], off offset:16
.LBB111_448:
	s_or_b32 exec_lo, exec_lo, s3
	scratch_load_b64 v[97:98], off, off offset:8
	v_cmp_lt_u32_e64 s1, 1, v0
	s_waitcnt vmcnt(0)
	ds_store_b64 v100, v[97:98]
	s_waitcnt lgkmcnt(0)
	s_waitcnt_vscnt null, 0x0
	s_barrier
	buffer_gl0_inv
	s_and_saveexec_b32 s3, s1
	s_cbranch_execz .LBB111_458
; %bb.449:
	s_and_not1_b32 vcc_lo, exec_lo, s2
	s_cbranch_vccnz .LBB111_451
; %bb.450:
	scratch_load_b64 v[97:98], v101, off
	ds_load_b64 v[103:104], v100
	s_waitcnt vmcnt(0) lgkmcnt(0)
	v_mul_f64 v[97:98], v[97:98], v[103:104]
	s_cbranch_execz .LBB111_452
	s_branch .LBB111_453
.LBB111_451:
                                        ; implicit-def: $vgpr97_vgpr98
.LBB111_452:
	ds_load_b64 v[97:98], v100
.LBB111_453:
	s_and_saveexec_b32 s4, s0
	s_cbranch_execz .LBB111_457
; %bb.454:
	v_add_nc_u32_e32 v103, -2, v0
	s_movk_i32 s5, 0x190
	s_mov_b32 s0, 0
.LBB111_455:                            ; =>This Inner Loop Header: Depth=1
	scratch_load_b64 v[104:105], v102, off
	v_dual_mov_b32 v106, s5 :: v_dual_add_nc_u32 v103, -1, v103
	v_add_nc_u32_e32 v102, 8, v102
	s_add_i32 s5, s5, 8
	ds_load_b64 v[106:107], v106
	v_cmp_eq_u32_e32 vcc_lo, 0, v103
	s_or_b32 s0, vcc_lo, s0
	s_waitcnt vmcnt(0) lgkmcnt(0)
	v_fma_f64 v[97:98], v[104:105], v[106:107], v[97:98]
	s_and_not1_b32 exec_lo, exec_lo, s0
	s_cbranch_execnz .LBB111_455
; %bb.456:
	s_or_b32 exec_lo, exec_lo, s0
.LBB111_457:
	s_delay_alu instid0(SALU_CYCLE_1)
	s_or_b32 exec_lo, exec_lo, s4
	v_mov_b32_e32 v102, 0
	ds_load_b64 v[102:103], v102 offset:8
	s_waitcnt lgkmcnt(0)
	v_mul_f64 v[97:98], v[97:98], v[102:103]
	scratch_store_b64 off, v[97:98], off offset:8
.LBB111_458:
	s_or_b32 exec_lo, exec_lo, s3
	scratch_load_b64 v[97:98], off, off
	s_mov_b32 s0, 0
	s_mov_b32 s3, exec_lo
	s_waitcnt vmcnt(0)
	ds_store_b64 v100, v[97:98]
	s_waitcnt lgkmcnt(0)
	s_waitcnt_vscnt null, 0x0
	s_barrier
	buffer_gl0_inv
	v_cmpx_ne_u32_e32 0, v0
	s_cbranch_execz .LBB111_468
; %bb.459:
	s_and_not1_b32 vcc_lo, exec_lo, s2
	s_cbranch_vccnz .LBB111_461
; %bb.460:
	scratch_load_b64 v[97:98], v101, off
	ds_load_b64 v[102:103], v100
	s_waitcnt vmcnt(0) lgkmcnt(0)
	v_mul_f64 v[97:98], v[97:98], v[102:103]
	s_cbranch_execz .LBB111_462
	s_branch .LBB111_463
.LBB111_461:
                                        ; implicit-def: $vgpr97_vgpr98
.LBB111_462:
	ds_load_b64 v[97:98], v100
.LBB111_463:
	s_and_saveexec_b32 s4, s1
	s_cbranch_execz .LBB111_467
; %bb.464:
	v_or_b32_e64 v102, 0, 8
	v_add_nc_u32_e32 v103, -1, v0
	s_movk_i32 s5, 0x188
	s_mov_b32 s1, 0
.LBB111_465:                            ; =>This Inner Loop Header: Depth=1
	scratch_load_b64 v[104:105], v102, off
	v_dual_mov_b32 v106, s5 :: v_dual_add_nc_u32 v103, -1, v103
	v_add_nc_u32_e32 v102, 8, v102
	s_add_i32 s5, s5, 8
	ds_load_b64 v[106:107], v106
	v_cmp_eq_u32_e32 vcc_lo, 0, v103
	s_or_b32 s1, vcc_lo, s1
	s_waitcnt vmcnt(0) lgkmcnt(0)
	v_fma_f64 v[97:98], v[104:105], v[106:107], v[97:98]
	s_and_not1_b32 exec_lo, exec_lo, s1
	s_cbranch_execnz .LBB111_465
; %bb.466:
	s_or_b32 exec_lo, exec_lo, s1
.LBB111_467:
	s_delay_alu instid0(SALU_CYCLE_1)
	s_or_b32 exec_lo, exec_lo, s4
	v_mov_b32_e32 v102, 0
	ds_load_b64 v[102:103], v102
	s_waitcnt lgkmcnt(0)
	v_mul_f64 v[97:98], v[97:98], v[102:103]
	scratch_store_b64 off, v[97:98], off
.LBB111_468:
	s_or_b32 exec_lo, exec_lo, s3
.LBB111_469:
	s_delay_alu instid0(SALU_CYCLE_1)
	s_and_b32 vcc_lo, exec_lo, s0
	s_cbranch_vccz .LBB111_935
; %bb.470:
	scratch_load_b64 v[97:98], off, off offset:8
	v_cmp_eq_u32_e64 s0, 0, v0
	s_waitcnt vmcnt(0)
	ds_store_b64 v100, v[97:98]
	s_waitcnt lgkmcnt(0)
	s_waitcnt_vscnt null, 0x0
	s_barrier
	buffer_gl0_inv
	s_and_saveexec_b32 s1, s0
	s_cbranch_execz .LBB111_476
; %bb.471:
	s_and_b32 vcc_lo, exec_lo, s2
	s_cbranch_vccz .LBB111_473
; %bb.472:
	scratch_load_b64 v[97:98], v101, off
	ds_load_b64 v[102:103], v100
	s_waitcnt vmcnt(0) lgkmcnt(0)
	v_mul_f64 v[97:98], v[97:98], v[102:103]
	s_cbranch_execz .LBB111_474
	s_branch .LBB111_475
.LBB111_473:
                                        ; implicit-def: $vgpr97_vgpr98
.LBB111_474:
	ds_load_b64 v[97:98], v100
.LBB111_475:
	v_mov_b32_e32 v102, 0
	ds_load_b64 v[102:103], v102 offset:8
	s_waitcnt lgkmcnt(0)
	v_mul_f64 v[97:98], v[97:98], v[102:103]
	scratch_store_b64 off, v[97:98], off offset:8
.LBB111_476:
	s_or_b32 exec_lo, exec_lo, s1
	scratch_load_b64 v[97:98], off, off offset:16
	v_cndmask_b32_e64 v102, 0, 1, s2
	s_mov_b32 s1, exec_lo
	s_waitcnt vmcnt(0)
	ds_store_b64 v100, v[97:98]
	s_waitcnt lgkmcnt(0)
	s_waitcnt_vscnt null, 0x0
	s_barrier
	buffer_gl0_inv
	v_cmpx_gt_u32_e32 2, v0
	s_cbranch_execz .LBB111_484
; %bb.477:
	s_and_not1_b32 vcc_lo, exec_lo, s2
	s_cbranch_vccnz .LBB111_479
; %bb.478:
	scratch_load_b64 v[97:98], v101, off
	ds_load_b64 v[103:104], v100
	s_waitcnt vmcnt(0) lgkmcnt(0)
	v_mul_f64 v[97:98], v[97:98], v[103:104]
	s_cbranch_execz .LBB111_480
	s_branch .LBB111_481
.LBB111_479:
                                        ; implicit-def: $vgpr97_vgpr98
.LBB111_480:
	ds_load_b64 v[97:98], v100
.LBB111_481:
	s_and_saveexec_b32 s2, s0
	s_cbranch_execz .LBB111_483
; %bb.482:
	scratch_load_b64 v[103:104], v101, off offset:8
	ds_load_b64 v[105:106], v100 offset:8
	s_waitcnt vmcnt(0) lgkmcnt(0)
	v_fma_f64 v[97:98], v[103:104], v[105:106], v[97:98]
.LBB111_483:
	s_or_b32 exec_lo, exec_lo, s2
	v_mov_b32_e32 v103, 0
	ds_load_b64 v[103:104], v103 offset:16
	s_waitcnt lgkmcnt(0)
	v_mul_f64 v[97:98], v[97:98], v[103:104]
	scratch_store_b64 off, v[97:98], off offset:16
.LBB111_484:
	s_or_b32 exec_lo, exec_lo, s1
	scratch_load_b64 v[97:98], off, off offset:24
	s_mov_b32 s1, exec_lo
	s_waitcnt vmcnt(0)
	ds_store_b64 v100, v[97:98]
	s_waitcnt lgkmcnt(0)
	s_waitcnt_vscnt null, 0x0
	s_barrier
	buffer_gl0_inv
	v_cmpx_gt_u32_e32 3, v0
	s_cbranch_execz .LBB111_494
; %bb.485:
	v_cmp_ne_u32_e32 vcc_lo, 1, v102
	s_cbranch_vccnz .LBB111_487
; %bb.486:
	scratch_load_b64 v[97:98], v101, off
	ds_load_b64 v[103:104], v100
	s_waitcnt vmcnt(0) lgkmcnt(0)
	v_mul_f64 v[97:98], v[97:98], v[103:104]
	s_cbranch_execz .LBB111_488
	s_branch .LBB111_489
.LBB111_487:
                                        ; implicit-def: $vgpr97_vgpr98
.LBB111_488:
	ds_load_b64 v[97:98], v100
.LBB111_489:
	s_mov_b32 s2, exec_lo
	v_cmpx_ne_u32_e32 2, v0
	s_cbranch_execz .LBB111_493
; %bb.490:
	scratch_load_b64 v[103:104], v101, off offset:8
	ds_load_b64 v[105:106], v100 offset:8
	s_waitcnt vmcnt(0) lgkmcnt(0)
	v_fma_f64 v[97:98], v[103:104], v[105:106], v[97:98]
	s_and_saveexec_b32 s3, s0
	s_cbranch_execz .LBB111_492
; %bb.491:
	scratch_load_b64 v[103:104], off, off offset:16
	v_mov_b32_e32 v105, 0
	ds_load_b64 v[105:106], v105 offset:400
	s_waitcnt vmcnt(0) lgkmcnt(0)
	v_fma_f64 v[97:98], v[103:104], v[105:106], v[97:98]
.LBB111_492:
	s_or_b32 exec_lo, exec_lo, s3
.LBB111_493:
	s_delay_alu instid0(SALU_CYCLE_1)
	s_or_b32 exec_lo, exec_lo, s2
	v_mov_b32_e32 v103, 0
	ds_load_b64 v[103:104], v103 offset:24
	s_waitcnt lgkmcnt(0)
	v_mul_f64 v[97:98], v[97:98], v[103:104]
	scratch_store_b64 off, v[97:98], off offset:24
.LBB111_494:
	s_or_b32 exec_lo, exec_lo, s1
	scratch_load_b64 v[97:98], off, off offset:32
	s_mov_b32 s0, exec_lo
	s_waitcnt vmcnt(0)
	ds_store_b64 v100, v[97:98]
	s_waitcnt lgkmcnt(0)
	s_waitcnt_vscnt null, 0x0
	s_barrier
	buffer_gl0_inv
	v_cmpx_gt_u32_e32 4, v0
	s_cbranch_execz .LBB111_504
; %bb.495:
	v_cmp_ne_u32_e32 vcc_lo, 1, v102
	s_cbranch_vccnz .LBB111_497
; %bb.496:
	scratch_load_b64 v[97:98], v101, off
	ds_load_b64 v[103:104], v100
	s_waitcnt vmcnt(0) lgkmcnt(0)
	v_mul_f64 v[97:98], v[97:98], v[103:104]
	s_cbranch_execz .LBB111_498
	s_branch .LBB111_499
.LBB111_497:
                                        ; implicit-def: $vgpr97_vgpr98
.LBB111_498:
	ds_load_b64 v[97:98], v100
.LBB111_499:
	s_mov_b32 s1, exec_lo
	v_cmpx_ne_u32_e32 3, v0
	s_cbranch_execz .LBB111_503
; %bb.500:
	v_add_nc_u32_e32 v103, 0x188, v99
	v_add3_u32 v104, 0, v99, 8
	v_mov_b32_e32 v105, v0
	s_mov_b32 s2, 0
.LBB111_501:                            ; =>This Inner Loop Header: Depth=1
	scratch_load_b64 v[106:107], v104, off
	ds_load_b64 v[108:109], v103
	v_add_nc_u32_e32 v105, 1, v105
	v_add_nc_u32_e32 v103, 8, v103
	v_add_nc_u32_e32 v104, 8, v104
	s_delay_alu instid0(VALU_DEP_3)
	v_cmp_lt_u32_e32 vcc_lo, 2, v105
	s_or_b32 s2, vcc_lo, s2
	s_waitcnt vmcnt(0) lgkmcnt(0)
	v_fma_f64 v[97:98], v[106:107], v[108:109], v[97:98]
	s_and_not1_b32 exec_lo, exec_lo, s2
	s_cbranch_execnz .LBB111_501
; %bb.502:
	s_or_b32 exec_lo, exec_lo, s2
.LBB111_503:
	s_delay_alu instid0(SALU_CYCLE_1)
	s_or_b32 exec_lo, exec_lo, s1
	v_mov_b32_e32 v103, 0
	ds_load_b64 v[103:104], v103 offset:32
	s_waitcnt lgkmcnt(0)
	v_mul_f64 v[97:98], v[97:98], v[103:104]
	scratch_store_b64 off, v[97:98], off offset:32
.LBB111_504:
	s_or_b32 exec_lo, exec_lo, s0
	scratch_load_b64 v[97:98], off, off offset:40
	s_mov_b32 s0, exec_lo
	s_waitcnt vmcnt(0)
	ds_store_b64 v100, v[97:98]
	s_waitcnt lgkmcnt(0)
	s_waitcnt_vscnt null, 0x0
	s_barrier
	buffer_gl0_inv
	v_cmpx_gt_u32_e32 5, v0
	s_cbranch_execz .LBB111_514
; %bb.505:
	v_cmp_ne_u32_e32 vcc_lo, 1, v102
	s_cbranch_vccnz .LBB111_507
; %bb.506:
	scratch_load_b64 v[97:98], v101, off
	ds_load_b64 v[103:104], v100
	s_waitcnt vmcnt(0) lgkmcnt(0)
	v_mul_f64 v[97:98], v[97:98], v[103:104]
	s_cbranch_execz .LBB111_508
	s_branch .LBB111_509
.LBB111_507:
                                        ; implicit-def: $vgpr97_vgpr98
.LBB111_508:
	ds_load_b64 v[97:98], v100
.LBB111_509:
	s_mov_b32 s1, exec_lo
	v_cmpx_ne_u32_e32 4, v0
	s_cbranch_execz .LBB111_513
; %bb.510:
	v_add_nc_u32_e32 v103, 0x188, v99
	v_add3_u32 v104, 0, v99, 8
	v_mov_b32_e32 v105, v0
	s_mov_b32 s2, 0
.LBB111_511:                            ; =>This Inner Loop Header: Depth=1
	scratch_load_b64 v[106:107], v104, off
	ds_load_b64 v[108:109], v103
	v_add_nc_u32_e32 v105, 1, v105
	v_add_nc_u32_e32 v103, 8, v103
	v_add_nc_u32_e32 v104, 8, v104
	s_delay_alu instid0(VALU_DEP_3)
	v_cmp_lt_u32_e32 vcc_lo, 3, v105
	s_or_b32 s2, vcc_lo, s2
	s_waitcnt vmcnt(0) lgkmcnt(0)
	v_fma_f64 v[97:98], v[106:107], v[108:109], v[97:98]
	s_and_not1_b32 exec_lo, exec_lo, s2
	s_cbranch_execnz .LBB111_511
; %bb.512:
	s_or_b32 exec_lo, exec_lo, s2
.LBB111_513:
	s_delay_alu instid0(SALU_CYCLE_1)
	s_or_b32 exec_lo, exec_lo, s1
	v_mov_b32_e32 v103, 0
	ds_load_b64 v[103:104], v103 offset:40
	s_waitcnt lgkmcnt(0)
	v_mul_f64 v[97:98], v[97:98], v[103:104]
	scratch_store_b64 off, v[97:98], off offset:40
.LBB111_514:
	;; [unrolled: 58-line block ×42, first 2 shown]
	s_or_b32 exec_lo, exec_lo, s0
	scratch_load_b64 v[97:98], off, off offset:368
	v_cmp_gt_u32_e64 s0, 46, v0
	s_waitcnt vmcnt(0)
	ds_store_b64 v100, v[97:98]
	s_waitcnt lgkmcnt(0)
	s_waitcnt_vscnt null, 0x0
	s_barrier
	buffer_gl0_inv
	s_and_saveexec_b32 s1, s0
	s_cbranch_execz .LBB111_924
; %bb.915:
	v_cmp_ne_u32_e32 vcc_lo, 1, v102
	s_cbranch_vccnz .LBB111_917
; %bb.916:
	scratch_load_b64 v[97:98], v101, off
	ds_load_b64 v[103:104], v100
	s_waitcnt vmcnt(0) lgkmcnt(0)
	v_mul_f64 v[97:98], v[97:98], v[103:104]
	s_cbranch_execz .LBB111_918
	s_branch .LBB111_919
.LBB111_917:
                                        ; implicit-def: $vgpr97_vgpr98
.LBB111_918:
	ds_load_b64 v[97:98], v100
.LBB111_919:
	s_mov_b32 s2, exec_lo
	v_cmpx_ne_u32_e32 45, v0
	s_cbranch_execz .LBB111_923
; %bb.920:
	v_add_nc_u32_e32 v103, 0x188, v99
	v_add3_u32 v104, 0, v99, 8
	v_mov_b32_e32 v105, v0
	s_mov_b32 s3, 0
.LBB111_921:                            ; =>This Inner Loop Header: Depth=1
	scratch_load_b64 v[106:107], v104, off
	ds_load_b64 v[108:109], v103
	v_add_nc_u32_e32 v105, 1, v105
	v_add_nc_u32_e32 v103, 8, v103
	;; [unrolled: 1-line block ×3, first 2 shown]
	s_delay_alu instid0(VALU_DEP_3)
	v_cmp_lt_u32_e32 vcc_lo, 44, v105
	s_or_b32 s3, vcc_lo, s3
	s_waitcnt vmcnt(0) lgkmcnt(0)
	v_fma_f64 v[97:98], v[106:107], v[108:109], v[97:98]
	s_and_not1_b32 exec_lo, exec_lo, s3
	s_cbranch_execnz .LBB111_921
; %bb.922:
	s_or_b32 exec_lo, exec_lo, s3
.LBB111_923:
	s_delay_alu instid0(SALU_CYCLE_1)
	s_or_b32 exec_lo, exec_lo, s2
	v_mov_b32_e32 v103, 0
	ds_load_b64 v[103:104], v103 offset:368
	s_waitcnt lgkmcnt(0)
	v_mul_f64 v[97:98], v[97:98], v[103:104]
	scratch_store_b64 off, v[97:98], off offset:368
.LBB111_924:
	s_or_b32 exec_lo, exec_lo, s1
	scratch_load_b64 v[97:98], off, off offset:376
	s_mov_b32 s1, exec_lo
	s_waitcnt vmcnt(0)
	ds_store_b64 v100, v[97:98]
	s_waitcnt lgkmcnt(0)
	s_waitcnt_vscnt null, 0x0
	s_barrier
	buffer_gl0_inv
	v_cmpx_ne_u32_e32 47, v0
	s_cbranch_execz .LBB111_934
; %bb.925:
	v_cmp_ne_u32_e32 vcc_lo, 1, v102
	s_cbranch_vccnz .LBB111_927
; %bb.926:
	scratch_load_b64 v[97:98], v101, off
	ds_load_b64 v[101:102], v100
	s_waitcnt vmcnt(0) lgkmcnt(0)
	v_mul_f64 v[97:98], v[97:98], v[101:102]
	s_cbranch_execz .LBB111_928
	s_branch .LBB111_929
.LBB111_927:
                                        ; implicit-def: $vgpr97_vgpr98
.LBB111_928:
	ds_load_b64 v[97:98], v100
.LBB111_929:
	s_and_saveexec_b32 s2, s0
	s_cbranch_execz .LBB111_933
; %bb.930:
	v_add_nc_u32_e32 v100, 0x188, v99
	v_add3_u32 v99, 0, v99, 8
	s_mov_b32 s0, 0
.LBB111_931:                            ; =>This Inner Loop Header: Depth=1
	scratch_load_b64 v[101:102], v99, off
	ds_load_b64 v[103:104], v100
	v_add_nc_u32_e32 v0, 1, v0
	v_add_nc_u32_e32 v100, 8, v100
	;; [unrolled: 1-line block ×3, first 2 shown]
	s_delay_alu instid0(VALU_DEP_3)
	v_cmp_lt_u32_e32 vcc_lo, 45, v0
	s_or_b32 s0, vcc_lo, s0
	s_waitcnt vmcnt(0) lgkmcnt(0)
	v_fma_f64 v[97:98], v[101:102], v[103:104], v[97:98]
	s_and_not1_b32 exec_lo, exec_lo, s0
	s_cbranch_execnz .LBB111_931
; %bb.932:
	s_or_b32 exec_lo, exec_lo, s0
.LBB111_933:
	s_delay_alu instid0(SALU_CYCLE_1)
	s_or_b32 exec_lo, exec_lo, s2
	v_mov_b32_e32 v0, 0
	ds_load_b64 v[99:100], v0 offset:376
	s_waitcnt lgkmcnt(0)
	v_mul_f64 v[97:98], v[97:98], v[99:100]
	scratch_store_b64 off, v[97:98], off offset:376
.LBB111_934:
	s_or_b32 exec_lo, exec_lo, s1
.LBB111_935:
	s_clause 0xc
	scratch_load_b128 v[97:100], off, off
	scratch_load_b128 v[101:104], off, off offset:16
	scratch_load_b128 v[105:108], off, off offset:32
	;; [unrolled: 1-line block ×12, first 2 shown]
	s_waitcnt vmcnt(12)
	s_clause 0x1
	global_store_b64 v[23:24], v[97:98], off
	global_store_b64 v[13:14], v[99:100], off
	scratch_load_b128 v[97:100], off, off offset:176
	s_waitcnt vmcnt(12)
	global_store_b64 v[25:26], v[101:102], off
	scratch_load_b128 v[23:26], off, off offset:192
	global_store_b64 v[15:16], v[103:104], off
	s_clause 0x1
	scratch_load_b128 v[13:16], off, off offset:208
	scratch_load_b128 v[101:104], off, off offset:224
	s_waitcnt vmcnt(14)
	s_clause 0x1
	global_store_b64 v[9:10], v[105:106], off
	global_store_b64 v[3:4], v[107:108], off
	scratch_load_b128 v[105:108], off, off offset:240
	s_waitcnt vmcnt(14)
	global_store_b64 v[11:12], v[109:110], off
	scratch_load_b128 v[9:12], off, off offset:256
	global_store_b64 v[5:6], v[111:112], off
	s_clause 0x1
	scratch_load_b128 v[3:6], off, off offset:272
	scratch_load_b128 v[109:112], off, off offset:288
	s_waitcnt vmcnt(16)
	s_clause 0x1
	global_store_b64 v[7:8], v[113:114], off
	global_store_b64 v[1:2], v[115:116], off
	scratch_load_b128 v[113:116], off, off offset:304
	s_waitcnt vmcnt(16)
	s_clause 0x1
	global_store_b64 v[33:34], v[117:118], off
	global_store_b64 v[27:28], v[119:120], off
	;; [unrolled: 5-line block ×4, first 2 shown]
	s_waitcnt vmcnt(15)
	s_clause 0x1
	global_store_b64 v[35:36], v[129:130], off
	global_store_b64 v[37:38], v[131:132], off
	s_waitcnt vmcnt(14)
	s_clause 0x1
	global_store_b64 v[39:40], v[133:134], off
	global_store_b64 v[41:42], v[135:136], off
	s_waitcnt vmcnt(13)
	s_clause 0x1
	global_store_b64 v[43:44], v[137:138], off
	global_store_b64 v[45:46], v[139:140], off
	s_waitcnt vmcnt(10)
	s_clause 0x1
	global_store_b64 v[47:48], v[97:98], off
	global_store_b64 v[49:50], v[99:100], off
	s_waitcnt vmcnt(9)
	s_clause 0x1
	global_store_b64 v[51:52], v[23:24], off
	global_store_b64 v[53:54], v[25:26], off
	s_waitcnt vmcnt(8)
	s_clause 0x1
	global_store_b64 v[55:56], v[13:14], off
	global_store_b64 v[57:58], v[15:16], off
	s_waitcnt vmcnt(7)
	s_clause 0x1
	global_store_b64 v[59:60], v[101:102], off
	global_store_b64 v[61:62], v[103:104], off
	s_waitcnt vmcnt(6)
	s_clause 0x1
	global_store_b64 v[63:64], v[105:106], off
	global_store_b64 v[65:66], v[107:108], off
	s_waitcnt vmcnt(5)
	s_clause 0x1
	global_store_b64 v[67:68], v[9:10], off
	global_store_b64 v[69:70], v[11:12], off
	s_waitcnt vmcnt(4)
	s_clause 0x1
	global_store_b64 v[71:72], v[3:4], off
	global_store_b64 v[73:74], v[5:6], off
	s_waitcnt vmcnt(3)
	s_clause 0x1
	global_store_b64 v[75:76], v[109:110], off
	global_store_b64 v[77:78], v[111:112], off
	s_waitcnt vmcnt(2)
	s_clause 0x3
	global_store_b64 v[79:80], v[113:114], off
	global_store_b64 v[81:82], v[115:116], off
	global_store_b64 v[83:84], v[141:142], off
	global_store_b64 v[85:86], v[143:144], off
	s_waitcnt vmcnt(1)
	s_clause 0x3
	global_store_b64 v[87:88], v[117:118], off
	global_store_b64 v[89:90], v[119:120], off
	;; [unrolled: 1-line block ×4, first 2 shown]
	s_waitcnt vmcnt(0)
	s_clause 0x1
	global_store_b64 v[91:92], v[19:20], off
	global_store_b64 v[29:30], v[21:22], off
.LBB111_936:
	s_endpgm
	.section	.rodata,"a",@progbits
	.p2align	6, 0x0
	.amdhsa_kernel _ZN9rocsolver6v33100L18trti2_kernel_smallILi48EdPKPdEEv13rocblas_fill_17rocblas_diagonal_T1_iil
		.amdhsa_group_segment_fixed_size 768
		.amdhsa_private_segment_fixed_size 400
		.amdhsa_kernarg_size 32
		.amdhsa_user_sgpr_count 15
		.amdhsa_user_sgpr_dispatch_ptr 0
		.amdhsa_user_sgpr_queue_ptr 0
		.amdhsa_user_sgpr_kernarg_segment_ptr 1
		.amdhsa_user_sgpr_dispatch_id 0
		.amdhsa_user_sgpr_private_segment_size 0
		.amdhsa_wavefront_size32 1
		.amdhsa_uses_dynamic_stack 0
		.amdhsa_enable_private_segment 1
		.amdhsa_system_sgpr_workgroup_id_x 1
		.amdhsa_system_sgpr_workgroup_id_y 0
		.amdhsa_system_sgpr_workgroup_id_z 0
		.amdhsa_system_sgpr_workgroup_info 0
		.amdhsa_system_vgpr_workitem_id 0
		.amdhsa_next_free_vgpr 150
		.amdhsa_next_free_sgpr 21
		.amdhsa_reserve_vcc 1
		.amdhsa_float_round_mode_32 0
		.amdhsa_float_round_mode_16_64 0
		.amdhsa_float_denorm_mode_32 3
		.amdhsa_float_denorm_mode_16_64 3
		.amdhsa_dx10_clamp 1
		.amdhsa_ieee_mode 1
		.amdhsa_fp16_overflow 0
		.amdhsa_workgroup_processor_mode 1
		.amdhsa_memory_ordered 1
		.amdhsa_forward_progress 0
		.amdhsa_shared_vgpr_count 0
		.amdhsa_exception_fp_ieee_invalid_op 0
		.amdhsa_exception_fp_denorm_src 0
		.amdhsa_exception_fp_ieee_div_zero 0
		.amdhsa_exception_fp_ieee_overflow 0
		.amdhsa_exception_fp_ieee_underflow 0
		.amdhsa_exception_fp_ieee_inexact 0
		.amdhsa_exception_int_div_zero 0
	.end_amdhsa_kernel
	.section	.text._ZN9rocsolver6v33100L18trti2_kernel_smallILi48EdPKPdEEv13rocblas_fill_17rocblas_diagonal_T1_iil,"axG",@progbits,_ZN9rocsolver6v33100L18trti2_kernel_smallILi48EdPKPdEEv13rocblas_fill_17rocblas_diagonal_T1_iil,comdat
.Lfunc_end111:
	.size	_ZN9rocsolver6v33100L18trti2_kernel_smallILi48EdPKPdEEv13rocblas_fill_17rocblas_diagonal_T1_iil, .Lfunc_end111-_ZN9rocsolver6v33100L18trti2_kernel_smallILi48EdPKPdEEv13rocblas_fill_17rocblas_diagonal_T1_iil
                                        ; -- End function
	.section	.AMDGPU.csdata,"",@progbits
; Kernel info:
; codeLenInByte = 26252
; NumSgprs: 23
; NumVgprs: 150
; ScratchSize: 400
; MemoryBound: 0
; FloatMode: 240
; IeeeMode: 1
; LDSByteSize: 768 bytes/workgroup (compile time only)
; SGPRBlocks: 2
; VGPRBlocks: 18
; NumSGPRsForWavesPerEU: 23
; NumVGPRsForWavesPerEU: 150
; Occupancy: 9
; WaveLimiterHint : 1
; COMPUTE_PGM_RSRC2:SCRATCH_EN: 1
; COMPUTE_PGM_RSRC2:USER_SGPR: 15
; COMPUTE_PGM_RSRC2:TRAP_HANDLER: 0
; COMPUTE_PGM_RSRC2:TGID_X_EN: 1
; COMPUTE_PGM_RSRC2:TGID_Y_EN: 0
; COMPUTE_PGM_RSRC2:TGID_Z_EN: 0
; COMPUTE_PGM_RSRC2:TIDIG_COMP_CNT: 0
	.section	.text._ZN9rocsolver6v33100L18trti2_kernel_smallILi49EdPKPdEEv13rocblas_fill_17rocblas_diagonal_T1_iil,"axG",@progbits,_ZN9rocsolver6v33100L18trti2_kernel_smallILi49EdPKPdEEv13rocblas_fill_17rocblas_diagonal_T1_iil,comdat
	.globl	_ZN9rocsolver6v33100L18trti2_kernel_smallILi49EdPKPdEEv13rocblas_fill_17rocblas_diagonal_T1_iil ; -- Begin function _ZN9rocsolver6v33100L18trti2_kernel_smallILi49EdPKPdEEv13rocblas_fill_17rocblas_diagonal_T1_iil
	.p2align	8
	.type	_ZN9rocsolver6v33100L18trti2_kernel_smallILi49EdPKPdEEv13rocblas_fill_17rocblas_diagonal_T1_iil,@function
_ZN9rocsolver6v33100L18trti2_kernel_smallILi49EdPKPdEEv13rocblas_fill_17rocblas_diagonal_T1_iil: ; @_ZN9rocsolver6v33100L18trti2_kernel_smallILi49EdPKPdEEv13rocblas_fill_17rocblas_diagonal_T1_iil
; %bb.0:
	s_mov_b32 s2, exec_lo
	v_cmpx_gt_u32_e32 49, v0
	s_cbranch_execz .LBB112_956
; %bb.1:
	s_clause 0x1
	s_load_b64 s[4:5], s[0:1], 0x10
	s_load_b128 s[0:3], s[0:1], 0x0
	s_mov_b32 s6, s15
	s_ashr_i32 s7, s15, 31
	v_lshlrev_b32_e32 v111, 3, v0
	s_lshl_b64 s[6:7], s[6:7], 3
	s_waitcnt lgkmcnt(0)
	v_add3_u32 v1, s5, s5, v0
	s_ashr_i32 s9, s4, 31
	s_add_u32 s2, s2, s6
	s_addc_u32 s3, s3, s7
	s_mov_b32 s8, s4
	s_load_b64 s[2:3], s[2:3], 0x0
	v_add_nc_u32_e32 v3, s5, v1
	v_ashrrev_i32_e32 v2, 31, v1
	s_lshl_b64 s[8:9], s[8:9], 3
	s_mov_b32 s6, s5
	s_delay_alu instid0(VALU_DEP_2) | instskip(SKIP_2) | instid1(VALU_DEP_3)
	v_add_nc_u32_e32 v5, s5, v3
	v_ashrrev_i32_e32 v4, 31, v3
	v_lshlrev_b64 v[9:10], 3, v[1:2]
	v_add_nc_u32_e32 v7, s5, v5
	v_ashrrev_i32_e32 v6, 31, v5
	s_delay_alu instid0(VALU_DEP_4) | instskip(NEXT) | instid1(VALU_DEP_3)
	v_lshlrev_b64 v[3:4], 3, v[3:4]
	v_add_nc_u32_e32 v11, s5, v7
	s_delay_alu instid0(VALU_DEP_3)
	v_lshlrev_b64 v[5:6], 3, v[5:6]
	v_ashrrev_i32_e32 v8, 31, v7
	s_waitcnt lgkmcnt(0)
	s_add_u32 s2, s2, s8
	v_add_nc_u32_e32 v19, s5, v11
	s_addc_u32 s3, s3, s9
	v_add_co_u32 v21, vcc_lo, s2, v9
	v_add_co_ci_u32_e32 v22, vcc_lo, s3, v10, vcc_lo
	v_add_co_u32 v17, vcc_lo, s2, v3
	v_add_nc_u32_e32 v23, s5, v19
	v_ashrrev_i32_e32 v12, 31, v11
	v_add_co_u32 v31, s4, s2, v111
	s_ashr_i32 s7, s5, 31
	v_add_co_ci_u32_e32 v18, vcc_lo, s3, v4, vcc_lo
	v_lshlrev_b64 v[7:8], 3, v[7:8]
	v_add_co_ci_u32_e64 v32, null, s3, 0, s4
	v_add_co_u32 v13, vcc_lo, s2, v5
	s_lshl_b64 s[6:7], s[6:7], 3
	v_ashrrev_i32_e32 v20, 31, v19
	v_add_co_ci_u32_e32 v14, vcc_lo, s3, v6, vcc_lo
	v_add_nc_u32_e32 v33, s5, v23
	v_add_co_u32 v29, vcc_lo, v31, s6
	v_lshlrev_b64 v[3:4], 3, v[11:12]
	v_ashrrev_i32_e32 v24, 31, v23
	v_add_co_ci_u32_e32 v30, vcc_lo, s7, v32, vcc_lo
	v_add_co_u32 v15, vcc_lo, s2, v7
	v_lshlrev_b64 v[25:26], 3, v[19:20]
	v_ashrrev_i32_e32 v34, 31, v33
	v_add_co_ci_u32_e32 v16, vcc_lo, s3, v8, vcc_lo
	v_add_co_u32 v19, vcc_lo, s2, v3
	v_lshlrev_b64 v[27:28], 3, v[23:24]
	v_add_co_ci_u32_e32 v20, vcc_lo, s3, v4, vcc_lo
	v_add_co_u32 v23, vcc_lo, s2, v25
	v_lshlrev_b64 v[34:35], 3, v[33:34]
	v_add_co_ci_u32_e32 v24, vcc_lo, s3, v26, vcc_lo
	v_add_co_u32 v25, vcc_lo, s2, v27
	s_clause 0x5
	global_load_b64 v[1:2], v111, s[2:3]
	global_load_b64 v[7:8], v[15:16], off
	global_load_b64 v[3:4], v[29:30], off
	;; [unrolled: 1-line block ×5, first 2 shown]
	v_add_co_ci_u32_e32 v26, vcc_lo, s3, v28, vcc_lo
	v_add_co_u32 v27, vcc_lo, s2, v34
	v_add_co_ci_u32_e32 v28, vcc_lo, s3, v35, vcc_lo
	s_clause 0x3
	global_load_b64 v[112:113], v[19:20], off
	global_load_b64 v[114:115], v[23:24], off
	;; [unrolled: 1-line block ×4, first 2 shown]
	v_add_nc_u32_e32 v33, s5, v33
	s_cmpk_lg_i32 s1, 0x84
	s_delay_alu instid0(VALU_DEP_1) | instskip(SKIP_1) | instid1(VALU_DEP_2)
	v_add_nc_u32_e32 v35, s5, v33
	v_ashrrev_i32_e32 v34, 31, v33
	v_add_nc_u32_e32 v37, s5, v35
	v_ashrrev_i32_e32 v36, 31, v35
	s_delay_alu instid0(VALU_DEP_3) | instskip(NEXT) | instid1(VALU_DEP_3)
	v_lshlrev_b64 v[33:34], 3, v[33:34]
	v_ashrrev_i32_e32 v38, 31, v37
	v_add_nc_u32_e32 v39, s5, v37
	s_delay_alu instid0(VALU_DEP_4) | instskip(NEXT) | instid1(VALU_DEP_4)
	v_lshlrev_b64 v[35:36], 3, v[35:36]
	v_add_co_u32 v53, vcc_lo, s2, v33
	v_add_co_ci_u32_e32 v54, vcc_lo, s3, v34, vcc_lo
	v_lshlrev_b64 v[33:34], 3, v[37:38]
	v_ashrrev_i32_e32 v40, 31, v39
	v_add_nc_u32_e32 v37, s5, v39
	v_add_co_u32 v47, vcc_lo, s2, v35
	v_add_co_ci_u32_e32 v48, vcc_lo, s3, v36, vcc_lo
	s_delay_alu instid0(VALU_DEP_4) | instskip(NEXT) | instid1(VALU_DEP_4)
	v_lshlrev_b64 v[35:36], 3, v[39:40]
	v_ashrrev_i32_e32 v38, 31, v37
	v_add_nc_u32_e32 v39, s5, v37
	v_add_co_u32 v43, vcc_lo, s2, v33
	v_add_co_ci_u32_e32 v44, vcc_lo, s3, v34, vcc_lo
	s_delay_alu instid0(VALU_DEP_4) | instskip(NEXT) | instid1(VALU_DEP_4)
	;; [unrolled: 6-line block ×3, first 2 shown]
	v_lshlrev_b64 v[35:36], 3, v[39:40]
	v_add_nc_u32_e32 v39, s5, v37
	v_ashrrev_i32_e32 v38, 31, v37
	v_add_co_u32 v33, vcc_lo, s2, v33
	v_add_co_ci_u32_e32 v34, vcc_lo, s3, v34, vcc_lo
	s_delay_alu instid0(VALU_DEP_4) | instskip(SKIP_3) | instid1(VALU_DEP_4)
	v_add_nc_u32_e32 v45, s5, v39
	v_ashrrev_i32_e32 v40, 31, v39
	v_lshlrev_b64 v[37:38], 3, v[37:38]
	v_add_co_u32 v35, vcc_lo, s2, v35
	v_add_nc_u32_e32 v49, s5, v45
	v_ashrrev_i32_e32 v46, 31, v45
	v_lshlrev_b64 v[39:40], 3, v[39:40]
	v_add_co_ci_u32_e32 v36, vcc_lo, s3, v36, vcc_lo
	s_delay_alu instid0(VALU_DEP_4) | instskip(SKIP_3) | instid1(VALU_DEP_4)
	v_add_nc_u32_e32 v51, s5, v49
	v_ashrrev_i32_e32 v50, 31, v49
	v_add_co_u32 v37, vcc_lo, s2, v37
	v_lshlrev_b64 v[45:46], 3, v[45:46]
	v_add_nc_u32_e32 v55, s5, v51
	v_ashrrev_i32_e32 v52, 31, v51
	v_add_co_ci_u32_e32 v38, vcc_lo, s3, v38, vcc_lo
	v_add_co_u32 v39, vcc_lo, s2, v39
	s_delay_alu instid0(VALU_DEP_4) | instskip(SKIP_3) | instid1(VALU_DEP_4)
	v_add_nc_u32_e32 v57, s5, v55
	v_lshlrev_b64 v[49:50], 3, v[49:50]
	v_ashrrev_i32_e32 v56, 31, v55
	v_add_co_ci_u32_e32 v40, vcc_lo, s3, v40, vcc_lo
	v_add_nc_u32_e32 v59, s5, v57
	v_add_co_u32 v45, vcc_lo, s2, v45
	v_lshlrev_b64 v[51:52], 3, v[51:52]
	v_ashrrev_i32_e32 v58, 31, v57
	s_delay_alu instid0(VALU_DEP_4) | instskip(SKIP_2) | instid1(VALU_DEP_3)
	v_add_nc_u32_e32 v61, s5, v59
	v_add_co_ci_u32_e32 v46, vcc_lo, s3, v46, vcc_lo
	v_add_co_u32 v49, vcc_lo, s2, v49
	v_add_nc_u32_e32 v63, s5, v61
	v_lshlrev_b64 v[55:56], 3, v[55:56]
	v_ashrrev_i32_e32 v60, 31, v59
	v_add_co_ci_u32_e32 v50, vcc_lo, s3, v50, vcc_lo
	s_delay_alu instid0(VALU_DEP_4) | instskip(SKIP_3) | instid1(VALU_DEP_4)
	v_add_nc_u32_e32 v65, s5, v63
	v_add_co_u32 v51, vcc_lo, s2, v51
	v_lshlrev_b64 v[57:58], 3, v[57:58]
	v_ashrrev_i32_e32 v62, 31, v61
	v_add_nc_u32_e32 v67, s5, v65
	v_add_co_ci_u32_e32 v52, vcc_lo, s3, v52, vcc_lo
	v_add_co_u32 v55, vcc_lo, s2, v55
	v_lshlrev_b64 v[59:60], 3, v[59:60]
	v_ashrrev_i32_e32 v64, 31, v63
	v_add_co_ci_u32_e32 v56, vcc_lo, s3, v56, vcc_lo
	v_add_co_u32 v57, vcc_lo, s2, v57
	v_lshlrev_b64 v[61:62], 3, v[61:62]
	v_add_nc_u32_e32 v69, s5, v67
	v_ashrrev_i32_e32 v66, 31, v65
	v_add_co_ci_u32_e32 v58, vcc_lo, s3, v58, vcc_lo
	v_add_co_u32 v59, vcc_lo, s2, v59
	v_lshlrev_b64 v[63:64], 3, v[63:64]
	v_ashrrev_i32_e32 v68, 31, v67
	v_add_co_ci_u32_e32 v60, vcc_lo, s3, v60, vcc_lo
	v_add_nc_u32_e32 v71, s5, v69
	v_add_co_u32 v61, vcc_lo, s2, v61
	v_lshlrev_b64 v[65:66], 3, v[65:66]
	v_ashrrev_i32_e32 v70, 31, v69
	v_add_co_ci_u32_e32 v62, vcc_lo, s3, v62, vcc_lo
	v_add_co_u32 v63, vcc_lo, s2, v63
	v_lshlrev_b64 v[67:68], 3, v[67:68]
	v_ashrrev_i32_e32 v72, 31, v71
	v_add_co_ci_u32_e32 v64, vcc_lo, s3, v64, vcc_lo
	v_add_co_u32 v65, vcc_lo, s2, v65
	v_lshlrev_b64 v[69:70], 3, v[69:70]
	v_add_co_ci_u32_e32 v66, vcc_lo, s3, v66, vcc_lo
	v_add_nc_u32_e32 v73, s5, v71
	v_add_co_u32 v67, vcc_lo, s2, v67
	v_lshlrev_b64 v[71:72], 3, v[71:72]
	s_clause 0x2
	global_load_b64 v[120:121], v[53:54], off
	global_load_b64 v[122:123], v[47:48], off
	;; [unrolled: 1-line block ×3, first 2 shown]
	v_add_co_ci_u32_e32 v68, vcc_lo, s3, v68, vcc_lo
	s_clause 0x3
	global_load_b64 v[126:127], v[41:42], off
	global_load_b64 v[128:129], v[33:34], off
	;; [unrolled: 1-line block ×4, first 2 shown]
	v_add_co_u32 v69, vcc_lo, s2, v69
	global_load_b64 v[134:135], v[39:40], off
	v_add_co_ci_u32_e32 v70, vcc_lo, s3, v70, vcc_lo
	v_add_co_u32 v71, vcc_lo, s2, v71
	v_add_co_ci_u32_e32 v72, vcc_lo, s3, v72, vcc_lo
	v_add_nc_u32_e32 v75, s5, v73
	v_ashrrev_i32_e32 v74, 31, v73
	s_delay_alu instid0(VALU_DEP_2) | instskip(SKIP_1) | instid1(VALU_DEP_3)
	v_add_nc_u32_e32 v77, s5, v75
	v_ashrrev_i32_e32 v76, 31, v75
	v_lshlrev_b64 v[73:74], 3, v[73:74]
	s_delay_alu instid0(VALU_DEP_3) | instskip(SKIP_1) | instid1(VALU_DEP_4)
	v_add_nc_u32_e32 v79, s5, v77
	v_ashrrev_i32_e32 v78, 31, v77
	v_lshlrev_b64 v[75:76], 3, v[75:76]
	s_delay_alu instid0(VALU_DEP_4) | instskip(NEXT) | instid1(VALU_DEP_4)
	v_add_co_u32 v73, vcc_lo, s2, v73
	v_add_nc_u32_e32 v81, s5, v79
	v_ashrrev_i32_e32 v80, 31, v79
	v_lshlrev_b64 v[77:78], 3, v[77:78]
	v_add_co_ci_u32_e32 v74, vcc_lo, s3, v74, vcc_lo
	s_delay_alu instid0(VALU_DEP_4) | instskip(SKIP_3) | instid1(VALU_DEP_4)
	v_add_nc_u32_e32 v83, s5, v81
	v_ashrrev_i32_e32 v82, 31, v81
	v_add_co_u32 v75, vcc_lo, s2, v75
	v_lshlrev_b64 v[79:80], 3, v[79:80]
	v_add_nc_u32_e32 v85, s5, v83
	v_ashrrev_i32_e32 v84, 31, v83
	v_add_co_ci_u32_e32 v76, vcc_lo, s3, v76, vcc_lo
	v_add_co_u32 v77, vcc_lo, s2, v77
	s_delay_alu instid0(VALU_DEP_4) | instskip(SKIP_3) | instid1(VALU_DEP_4)
	v_add_nc_u32_e32 v87, s5, v85
	v_lshlrev_b64 v[81:82], 3, v[81:82]
	v_ashrrev_i32_e32 v86, 31, v85
	v_add_co_ci_u32_e32 v78, vcc_lo, s3, v78, vcc_lo
	v_add_nc_u32_e32 v89, s5, v87
	v_add_co_u32 v79, vcc_lo, s2, v79
	v_lshlrev_b64 v[83:84], 3, v[83:84]
	v_ashrrev_i32_e32 v88, 31, v87
	s_delay_alu instid0(VALU_DEP_4) | instskip(SKIP_2) | instid1(VALU_DEP_3)
	v_add_nc_u32_e32 v91, s5, v89
	v_add_co_ci_u32_e32 v80, vcc_lo, s3, v80, vcc_lo
	v_add_co_u32 v81, vcc_lo, s2, v81
	v_add_nc_u32_e32 v93, s5, v91
	v_lshlrev_b64 v[85:86], 3, v[85:86]
	v_ashrrev_i32_e32 v90, 31, v89
	v_add_co_ci_u32_e32 v82, vcc_lo, s3, v82, vcc_lo
	s_delay_alu instid0(VALU_DEP_4) | instskip(SKIP_3) | instid1(VALU_DEP_4)
	v_add_nc_u32_e32 v95, s5, v93
	v_add_co_u32 v83, vcc_lo, s2, v83
	v_lshlrev_b64 v[87:88], 3, v[87:88]
	v_ashrrev_i32_e32 v92, 31, v91
	v_add_nc_u32_e32 v97, s5, v95
	v_add_co_ci_u32_e32 v84, vcc_lo, s3, v84, vcc_lo
	v_add_co_u32 v85, vcc_lo, s2, v85
	s_delay_alu instid0(VALU_DEP_3) | instskip(SKIP_3) | instid1(VALU_DEP_4)
	v_add_nc_u32_e32 v99, s5, v97
	v_lshlrev_b64 v[89:90], 3, v[89:90]
	v_ashrrev_i32_e32 v94, 31, v93
	v_add_co_ci_u32_e32 v86, vcc_lo, s3, v86, vcc_lo
	v_add_nc_u32_e32 v101, s5, v99
	v_add_co_u32 v87, vcc_lo, s2, v87
	v_lshlrev_b64 v[91:92], 3, v[91:92]
	v_ashrrev_i32_e32 v96, 31, v95
	v_add_co_ci_u32_e32 v88, vcc_lo, s3, v88, vcc_lo
	v_add_nc_u32_e32 v103, s5, v101
	v_add_co_u32 v89, vcc_lo, s2, v89
	v_lshlrev_b64 v[93:94], 3, v[93:94]
	v_ashrrev_i32_e32 v98, 31, v97
	v_add_co_ci_u32_e32 v90, vcc_lo, s3, v90, vcc_lo
	v_add_co_u32 v91, vcc_lo, s2, v91
	v_lshlrev_b64 v[95:96], 3, v[95:96]
	v_ashrrev_i32_e32 v100, 31, v99
	v_add_nc_u32_e32 v105, s5, v103
	v_add_co_ci_u32_e32 v92, vcc_lo, s3, v92, vcc_lo
	v_add_co_u32 v93, vcc_lo, s2, v93
	v_lshlrev_b64 v[97:98], 3, v[97:98]
	v_ashrrev_i32_e32 v102, 31, v101
	v_add_co_ci_u32_e32 v94, vcc_lo, s3, v94, vcc_lo
	v_add_co_u32 v95, vcc_lo, s2, v95
	v_lshlrev_b64 v[99:100], 3, v[99:100]
	v_add_nc_u32_e32 v107, s5, v105
	v_ashrrev_i32_e32 v104, 31, v103
	v_add_co_ci_u32_e32 v96, vcc_lo, s3, v96, vcc_lo
	v_add_co_u32 v97, vcc_lo, s2, v97
	v_lshlrev_b64 v[101:102], 3, v[101:102]
	v_ashrrev_i32_e32 v106, 31, v105
	v_add_co_ci_u32_e32 v98, vcc_lo, s3, v98, vcc_lo
	v_add_nc_u32_e32 v109, s5, v107
	v_add_co_u32 v99, vcc_lo, s2, v99
	v_lshlrev_b64 v[103:104], 3, v[103:104]
	v_ashrrev_i32_e32 v108, 31, v107
	v_add_co_ci_u32_e32 v100, vcc_lo, s3, v100, vcc_lo
	v_add_co_u32 v101, vcc_lo, s2, v101
	v_lshlrev_b64 v[105:106], 3, v[105:106]
	v_ashrrev_i32_e32 v110, 31, v109
	v_add_co_ci_u32_e32 v102, vcc_lo, s3, v102, vcc_lo
	v_add_co_u32 v103, vcc_lo, s2, v103
	v_lshlrev_b64 v[107:108], 3, v[107:108]
	v_add_co_ci_u32_e32 v104, vcc_lo, s3, v104, vcc_lo
	v_add_co_u32 v105, vcc_lo, s2, v105
	v_lshlrev_b64 v[109:110], 3, v[109:110]
	v_add_co_ci_u32_e32 v106, vcc_lo, s3, v106, vcc_lo
	v_add_co_u32 v107, vcc_lo, s2, v107
	v_add_co_ci_u32_e32 v108, vcc_lo, s3, v108, vcc_lo
	s_delay_alu instid0(VALU_DEP_4)
	v_add_co_u32 v109, vcc_lo, s2, v109
	v_add_co_ci_u32_e32 v110, vcc_lo, s3, v110, vcc_lo
	s_cselect_b32 s3, -1, 0
	s_cmpk_eq_i32 s1, 0x84
	s_waitcnt vmcnt(15)
	scratch_store_b128 off, v[1:4], off
	s_clause 0x3
	global_load_b64 v[1:2], v[45:46], off
	global_load_b64 v[3:4], v[49:50], off
	global_load_b64 v[136:137], v[51:52], off
	global_load_b64 v[138:139], v[55:56], off
	s_waitcnt vmcnt(17)
	scratch_store_b128 off, v[9:12], off offset:16
	s_waitcnt vmcnt(16)
	scratch_store_b128 off, v[5:8], off offset:32
	s_clause 0x3
	global_load_b64 v[5:6], v[57:58], off
	global_load_b64 v[7:8], v[59:60], off
	global_load_b64 v[9:10], v[61:62], off
	global_load_b64 v[11:12], v[63:64], off
	s_waitcnt vmcnt(18)
	scratch_store_b128 off, v[112:115], off offset:48
	s_waitcnt vmcnt(16)
	scratch_store_b128 off, v[116:119], off offset:64
	;; [unrolled: 9-line block ×3, first 2 shown]
	s_clause 0x2
	global_load_b64 v[120:121], v[73:74], off
	global_load_b64 v[122:123], v[75:76], off
	global_load_b64 v[124:125], v[77:78], off
	s_waitcnt vmcnt(17)
	scratch_store_b128 off, v[128:131], off offset:112
	s_waitcnt vmcnt(15)
	scratch_store_b128 off, v[132:135], off offset:128
	s_clause 0x3
	global_load_b64 v[126:127], v[79:80], off
	global_load_b64 v[128:129], v[81:82], off
	global_load_b64 v[130:131], v[83:84], off
	global_load_b64 v[132:133], v[85:86], off
	s_waitcnt vmcnt(17)
	scratch_store_b128 off, v[1:4], off offset:144
	s_waitcnt vmcnt(15)
	scratch_store_b128 off, v[136:139], off offset:160
	s_clause 0x3
	global_load_b64 v[134:135], v[87:88], off
	;; [unrolled: 9-line block ×4, first 2 shown]
	global_load_b64 v[112:113], v[105:106], off
	global_load_b64 v[114:115], v[107:108], off
	;; [unrolled: 1-line block ×3, first 2 shown]
	s_waitcnt vmcnt(17)
	scratch_store_b128 off, v[120:123], off offset:240
	s_waitcnt vmcnt(15)
	scratch_store_b128 off, v[124:127], off offset:256
	;; [unrolled: 2-line block ×7, first 2 shown]
	v_mov_b32_e32 v1, 0
	v_mov_b32_e32 v2, 0xbff00000
	s_waitcnt vmcnt(3)
	scratch_store_b128 off, v[9:12], off offset:352
	s_waitcnt vmcnt(1)
	scratch_store_b128 off, v[112:115], off offset:368
	s_waitcnt vmcnt(0)
	scratch_store_b64 off, v[116:117], off offset:384
	s_cbranch_scc1 .LBB112_3
; %bb.2:
	scratch_load_b64 v[1:2], v111, off
	s_waitcnt vmcnt(0)
	v_div_scale_f64 v[3:4], null, v[1:2], v[1:2], 1.0
	v_div_scale_f64 v[9:10], vcc_lo, 1.0, v[1:2], 1.0
	s_delay_alu instid0(VALU_DEP_2) | instskip(SKIP_2) | instid1(VALU_DEP_1)
	v_rcp_f64_e32 v[5:6], v[3:4]
	s_waitcnt_depctr 0xfff
	v_fma_f64 v[7:8], -v[3:4], v[5:6], 1.0
	v_fma_f64 v[5:6], v[5:6], v[7:8], v[5:6]
	s_delay_alu instid0(VALU_DEP_1) | instskip(NEXT) | instid1(VALU_DEP_1)
	v_fma_f64 v[7:8], -v[3:4], v[5:6], 1.0
	v_fma_f64 v[5:6], v[5:6], v[7:8], v[5:6]
	s_delay_alu instid0(VALU_DEP_1) | instskip(NEXT) | instid1(VALU_DEP_1)
	v_mul_f64 v[7:8], v[9:10], v[5:6]
	v_fma_f64 v[3:4], -v[3:4], v[7:8], v[9:10]
	s_delay_alu instid0(VALU_DEP_1) | instskip(NEXT) | instid1(VALU_DEP_1)
	v_div_fmas_f64 v[3:4], v[3:4], v[5:6], v[7:8]
	v_div_fixup_f64 v[1:2], v[3:4], v[1:2], 1.0
	scratch_store_b64 v111, v[1:2], off
	v_xor_b32_e32 v2, 0x80000000, v2
.LBB112_3:
	v_add_nc_u32_e32 v3, 0x190, v111
	v_add_nc_u32_e32 v4, 0, v111
	s_cmpk_eq_i32 s0, 0x79
	s_mov_b32 s0, -1
	ds_store_b64 v111, v[1:2]
	s_cbranch_scc1 .LBB112_479
; %bb.4:
	scratch_load_b64 v[1:2], off, off offset:376
	v_cmp_eq_u32_e64 s0, 48, v0
	s_movk_i32 s1, 0x50
	s_movk_i32 s2, 0x60
	;; [unrolled: 1-line block ×19, first 2 shown]
	s_waitcnt vmcnt(0)
	ds_store_b64 v3, v[1:2]
	s_waitcnt lgkmcnt(0)
	s_waitcnt_vscnt null, 0x0
	s_barrier
	buffer_gl0_inv
	s_and_saveexec_b32 s21, s0
	s_cbranch_execz .LBB112_10
; %bb.5:
	s_and_b32 vcc_lo, exec_lo, s3
	s_cbranch_vccz .LBB112_7
; %bb.6:
	scratch_load_b64 v[1:2], v4, off
	ds_load_b64 v[5:6], v3
	s_waitcnt vmcnt(0) lgkmcnt(0)
	v_mul_f64 v[1:2], v[1:2], v[5:6]
	s_cbranch_execz .LBB112_8
	s_branch .LBB112_9
.LBB112_7:
                                        ; implicit-def: $vgpr1_vgpr2
.LBB112_8:
	ds_load_b64 v[1:2], v3
.LBB112_9:
	v_mov_b32_e32 v5, 0
	ds_load_b64 v[5:6], v5 offset:376
	s_waitcnt lgkmcnt(0)
	v_mul_f64 v[1:2], v[1:2], v[5:6]
	scratch_store_b64 off, v[1:2], off offset:376
.LBB112_10:
	s_or_b32 exec_lo, exec_lo, s21
	scratch_load_b64 v[1:2], off, off offset:368
	v_add_nc_u32_e64 v5, 0, 16
	v_add_nc_u32_e64 v6, 0, 32
	;; [unrolled: 1-line block ×23, first 2 shown]
	v_cmp_lt_u32_e64 s2, 46, v0
	s_waitcnt vmcnt(0)
	ds_store_b64 v3, v[1:2]
	s_waitcnt lgkmcnt(0)
	s_waitcnt_vscnt null, 0x0
	s_barrier
	buffer_gl0_inv
	s_and_saveexec_b32 s1, s2
	s_cbranch_execz .LBB112_18
; %bb.11:
	s_and_not1_b32 vcc_lo, exec_lo, s3
	s_cbranch_vccnz .LBB112_13
; %bb.12:
	scratch_load_b64 v[1:2], v4, off
	ds_load_b64 v[127:128], v3
	s_waitcnt vmcnt(0) lgkmcnt(0)
	v_mul_f64 v[1:2], v[1:2], v[127:128]
	s_cbranch_execz .LBB112_14
	s_branch .LBB112_15
.LBB112_13:
                                        ; implicit-def: $vgpr1_vgpr2
.LBB112_14:
	ds_load_b64 v[1:2], v3
.LBB112_15:
	s_and_saveexec_b32 s4, s0
	s_cbranch_execz .LBB112_17
; %bb.16:
	scratch_load_b64 v[127:128], off, off offset:376
	v_mov_b32_e32 v129, 0
	ds_load_b64 v[129:130], v129 offset:776
	s_waitcnt vmcnt(0) lgkmcnt(0)
	v_fma_f64 v[1:2], v[127:128], v[129:130], v[1:2]
.LBB112_17:
	s_or_b32 exec_lo, exec_lo, s4
	v_mov_b32_e32 v127, 0
	ds_load_b64 v[127:128], v127 offset:368
	s_waitcnt lgkmcnt(0)
	v_mul_f64 v[1:2], v[1:2], v[127:128]
	scratch_store_b64 off, v[1:2], off offset:368
.LBB112_18:
	s_or_b32 exec_lo, exec_lo, s1
	scratch_load_b64 v[1:2], off, off offset:360
	v_cmp_lt_u32_e64 s1, 45, v0
	s_waitcnt vmcnt(0)
	ds_store_b64 v3, v[1:2]
	s_waitcnt lgkmcnt(0)
	s_waitcnt_vscnt null, 0x0
	s_barrier
	buffer_gl0_inv
	s_and_saveexec_b32 s0, s1
	s_cbranch_execz .LBB112_28
; %bb.19:
	s_and_not1_b32 vcc_lo, exec_lo, s3
	s_cbranch_vccnz .LBB112_21
; %bb.20:
	scratch_load_b64 v[1:2], v4, off
	ds_load_b64 v[127:128], v3
	s_waitcnt vmcnt(0) lgkmcnt(0)
	v_mul_f64 v[1:2], v[1:2], v[127:128]
	s_cbranch_execz .LBB112_22
	s_branch .LBB112_23
.LBB112_21:
                                        ; implicit-def: $vgpr1_vgpr2
.LBB112_22:
	ds_load_b64 v[1:2], v3
.LBB112_23:
	s_and_saveexec_b32 s4, s2
	s_cbranch_execz .LBB112_27
; %bb.24:
	v_subrev_nc_u32_e32 v127, 46, v0
	s_movk_i32 s5, 0x300
	s_mov_b32 s2, 0
.LBB112_25:                             ; =>This Inner Loop Header: Depth=1
	scratch_load_b64 v[128:129], v126, off
	v_dual_mov_b32 v130, s5 :: v_dual_add_nc_u32 v127, -1, v127
	v_add_nc_u32_e32 v126, 8, v126
	s_add_i32 s5, s5, 8
	ds_load_b64 v[130:131], v130
	v_cmp_eq_u32_e32 vcc_lo, 0, v127
	s_or_b32 s2, vcc_lo, s2
	s_waitcnt vmcnt(0) lgkmcnt(0)
	v_fma_f64 v[1:2], v[128:129], v[130:131], v[1:2]
	s_and_not1_b32 exec_lo, exec_lo, s2
	s_cbranch_execnz .LBB112_25
; %bb.26:
	s_or_b32 exec_lo, exec_lo, s2
.LBB112_27:
	s_delay_alu instid0(SALU_CYCLE_1)
	s_or_b32 exec_lo, exec_lo, s4
	v_mov_b32_e32 v126, 0
	ds_load_b64 v[126:127], v126 offset:360
	s_waitcnt lgkmcnt(0)
	v_mul_f64 v[1:2], v[1:2], v[126:127]
	scratch_store_b64 off, v[1:2], off offset:360
.LBB112_28:
	s_or_b32 exec_lo, exec_lo, s0
	scratch_load_b64 v[1:2], off, off offset:352
	v_cmp_lt_u32_e64 s0, 44, v0
	s_waitcnt vmcnt(0)
	ds_store_b64 v3, v[1:2]
	s_waitcnt lgkmcnt(0)
	s_waitcnt_vscnt null, 0x0
	s_barrier
	buffer_gl0_inv
	s_and_saveexec_b32 s2, s0
	s_cbranch_execz .LBB112_38
; %bb.29:
	s_and_not1_b32 vcc_lo, exec_lo, s3
	s_cbranch_vccnz .LBB112_31
; %bb.30:
	scratch_load_b64 v[1:2], v4, off
	ds_load_b64 v[126:127], v3
	s_waitcnt vmcnt(0) lgkmcnt(0)
	v_mul_f64 v[1:2], v[1:2], v[126:127]
	s_cbranch_execz .LBB112_32
	s_branch .LBB112_33
.LBB112_31:
                                        ; implicit-def: $vgpr1_vgpr2
.LBB112_32:
	ds_load_b64 v[1:2], v3
.LBB112_33:
	s_and_saveexec_b32 s4, s1
	s_cbranch_execz .LBB112_37
; %bb.34:
	v_mov_b32_e32 v126, 0
	v_subrev_nc_u32_e32 v127, 45, v0
	s_movk_i32 s5, 0x2f8
	s_mov_b32 s1, 0
	s_delay_alu instid0(VALU_DEP_2)
	v_add_nc_u32_e32 v126, 0x168, v126
.LBB112_35:                             ; =>This Inner Loop Header: Depth=1
	scratch_load_b64 v[128:129], v126, off
	v_dual_mov_b32 v130, s5 :: v_dual_add_nc_u32 v127, -1, v127
	v_add_nc_u32_e32 v126, 8, v126
	s_add_i32 s5, s5, 8
	ds_load_b64 v[130:131], v130
	v_cmp_eq_u32_e32 vcc_lo, 0, v127
	s_or_b32 s1, vcc_lo, s1
	s_waitcnt vmcnt(0) lgkmcnt(0)
	v_fma_f64 v[1:2], v[128:129], v[130:131], v[1:2]
	s_and_not1_b32 exec_lo, exec_lo, s1
	s_cbranch_execnz .LBB112_35
; %bb.36:
	s_or_b32 exec_lo, exec_lo, s1
.LBB112_37:
	s_delay_alu instid0(SALU_CYCLE_1)
	s_or_b32 exec_lo, exec_lo, s4
	v_mov_b32_e32 v126, 0
	ds_load_b64 v[126:127], v126 offset:352
	s_waitcnt lgkmcnt(0)
	v_mul_f64 v[1:2], v[1:2], v[126:127]
	scratch_store_b64 off, v[1:2], off offset:352
.LBB112_38:
	s_or_b32 exec_lo, exec_lo, s2
	scratch_load_b64 v[1:2], off, off offset:344
	v_cmp_lt_u32_e64 s1, 43, v0
	s_waitcnt vmcnt(0)
	ds_store_b64 v3, v[1:2]
	s_waitcnt lgkmcnt(0)
	s_waitcnt_vscnt null, 0x0
	s_barrier
	buffer_gl0_inv
	s_and_saveexec_b32 s2, s1
	s_cbranch_execz .LBB112_48
; %bb.39:
	s_and_not1_b32 vcc_lo, exec_lo, s3
	s_cbranch_vccnz .LBB112_41
; %bb.40:
	scratch_load_b64 v[1:2], v4, off
	ds_load_b64 v[126:127], v3
	s_waitcnt vmcnt(0) lgkmcnt(0)
	v_mul_f64 v[1:2], v[1:2], v[126:127]
	s_cbranch_execz .LBB112_42
	s_branch .LBB112_43
.LBB112_41:
                                        ; implicit-def: $vgpr1_vgpr2
.LBB112_42:
	ds_load_b64 v[1:2], v3
.LBB112_43:
	s_and_saveexec_b32 s4, s0
	s_cbranch_execz .LBB112_47
; %bb.44:
	v_subrev_nc_u32_e32 v126, 44, v0
	s_movk_i32 s5, 0x2f0
	s_mov_b32 s0, 0
.LBB112_45:                             ; =>This Inner Loop Header: Depth=1
	scratch_load_b64 v[127:128], v125, off
	v_dual_mov_b32 v129, s5 :: v_dual_add_nc_u32 v126, -1, v126
	v_add_nc_u32_e32 v125, 8, v125
	s_add_i32 s5, s5, 8
	ds_load_b64 v[129:130], v129
	v_cmp_eq_u32_e32 vcc_lo, 0, v126
	s_or_b32 s0, vcc_lo, s0
	s_waitcnt vmcnt(0) lgkmcnt(0)
	v_fma_f64 v[1:2], v[127:128], v[129:130], v[1:2]
	s_and_not1_b32 exec_lo, exec_lo, s0
	s_cbranch_execnz .LBB112_45
; %bb.46:
	s_or_b32 exec_lo, exec_lo, s0
.LBB112_47:
	s_delay_alu instid0(SALU_CYCLE_1)
	s_or_b32 exec_lo, exec_lo, s4
	v_mov_b32_e32 v125, 0
	ds_load_b64 v[125:126], v125 offset:344
	s_waitcnt lgkmcnt(0)
	v_mul_f64 v[1:2], v[1:2], v[125:126]
	scratch_store_b64 off, v[1:2], off offset:344
.LBB112_48:
	s_or_b32 exec_lo, exec_lo, s2
	scratch_load_b64 v[1:2], off, off offset:336
	v_cmp_lt_u32_e64 s0, 42, v0
	s_waitcnt vmcnt(0)
	ds_store_b64 v3, v[1:2]
	s_waitcnt lgkmcnt(0)
	s_waitcnt_vscnt null, 0x0
	s_barrier
	buffer_gl0_inv
	s_and_saveexec_b32 s2, s0
	s_cbranch_execz .LBB112_58
; %bb.49:
	s_and_not1_b32 vcc_lo, exec_lo, s3
	s_cbranch_vccnz .LBB112_51
; %bb.50:
	scratch_load_b64 v[1:2], v4, off
	ds_load_b64 v[125:126], v3
	s_waitcnt vmcnt(0) lgkmcnt(0)
	v_mul_f64 v[1:2], v[1:2], v[125:126]
	s_cbranch_execz .LBB112_52
	s_branch .LBB112_53
.LBB112_51:
                                        ; implicit-def: $vgpr1_vgpr2
.LBB112_52:
	ds_load_b64 v[1:2], v3
.LBB112_53:
	s_and_saveexec_b32 s4, s1
	s_cbranch_execz .LBB112_57
; %bb.54:
	v_mov_b32_e32 v125, 0
	v_subrev_nc_u32_e32 v126, 43, v0
	s_movk_i32 s5, 0x2e8
	s_mov_b32 s1, 0
	s_delay_alu instid0(VALU_DEP_2)
	v_add_nc_u32_e32 v125, 0x158, v125
.LBB112_55:                             ; =>This Inner Loop Header: Depth=1
	scratch_load_b64 v[127:128], v125, off
	v_dual_mov_b32 v129, s5 :: v_dual_add_nc_u32 v126, -1, v126
	v_add_nc_u32_e32 v125, 8, v125
	s_add_i32 s5, s5, 8
	ds_load_b64 v[129:130], v129
	v_cmp_eq_u32_e32 vcc_lo, 0, v126
	s_or_b32 s1, vcc_lo, s1
	s_waitcnt vmcnt(0) lgkmcnt(0)
	v_fma_f64 v[1:2], v[127:128], v[129:130], v[1:2]
	s_and_not1_b32 exec_lo, exec_lo, s1
	s_cbranch_execnz .LBB112_55
; %bb.56:
	s_or_b32 exec_lo, exec_lo, s1
.LBB112_57:
	s_delay_alu instid0(SALU_CYCLE_1)
	s_or_b32 exec_lo, exec_lo, s4
	v_mov_b32_e32 v125, 0
	ds_load_b64 v[125:126], v125 offset:336
	s_waitcnt lgkmcnt(0)
	v_mul_f64 v[1:2], v[1:2], v[125:126]
	scratch_store_b64 off, v[1:2], off offset:336
.LBB112_58:
	s_or_b32 exec_lo, exec_lo, s2
	scratch_load_b64 v[1:2], off, off offset:328
	v_cmp_lt_u32_e64 s1, 41, v0
	s_waitcnt vmcnt(0)
	ds_store_b64 v3, v[1:2]
	s_waitcnt lgkmcnt(0)
	s_waitcnt_vscnt null, 0x0
	s_barrier
	buffer_gl0_inv
	s_and_saveexec_b32 s2, s1
	s_cbranch_execz .LBB112_68
; %bb.59:
	s_and_not1_b32 vcc_lo, exec_lo, s3
	s_cbranch_vccnz .LBB112_61
; %bb.60:
	scratch_load_b64 v[1:2], v4, off
	ds_load_b64 v[125:126], v3
	s_waitcnt vmcnt(0) lgkmcnt(0)
	v_mul_f64 v[1:2], v[1:2], v[125:126]
	s_cbranch_execz .LBB112_62
	s_branch .LBB112_63
.LBB112_61:
                                        ; implicit-def: $vgpr1_vgpr2
.LBB112_62:
	ds_load_b64 v[1:2], v3
.LBB112_63:
	s_and_saveexec_b32 s4, s0
	s_cbranch_execz .LBB112_67
; %bb.64:
	v_subrev_nc_u32_e32 v125, 42, v0
	s_movk_i32 s5, 0x2e0
	s_mov_b32 s0, 0
.LBB112_65:                             ; =>This Inner Loop Header: Depth=1
	scratch_load_b64 v[126:127], v124, off
	v_dual_mov_b32 v128, s5 :: v_dual_add_nc_u32 v125, -1, v125
	v_add_nc_u32_e32 v124, 8, v124
	s_add_i32 s5, s5, 8
	ds_load_b64 v[128:129], v128
	v_cmp_eq_u32_e32 vcc_lo, 0, v125
	s_or_b32 s0, vcc_lo, s0
	s_waitcnt vmcnt(0) lgkmcnt(0)
	v_fma_f64 v[1:2], v[126:127], v[128:129], v[1:2]
	s_and_not1_b32 exec_lo, exec_lo, s0
	s_cbranch_execnz .LBB112_65
; %bb.66:
	s_or_b32 exec_lo, exec_lo, s0
.LBB112_67:
	s_delay_alu instid0(SALU_CYCLE_1)
	s_or_b32 exec_lo, exec_lo, s4
	v_mov_b32_e32 v124, 0
	ds_load_b64 v[124:125], v124 offset:328
	s_waitcnt lgkmcnt(0)
	v_mul_f64 v[1:2], v[1:2], v[124:125]
	scratch_store_b64 off, v[1:2], off offset:328
.LBB112_68:
	s_or_b32 exec_lo, exec_lo, s2
	scratch_load_b64 v[1:2], off, off offset:320
	v_cmp_lt_u32_e64 s0, 40, v0
	s_waitcnt vmcnt(0)
	ds_store_b64 v3, v[1:2]
	s_waitcnt lgkmcnt(0)
	s_waitcnt_vscnt null, 0x0
	s_barrier
	buffer_gl0_inv
	s_and_saveexec_b32 s2, s0
	s_cbranch_execz .LBB112_78
; %bb.69:
	s_and_not1_b32 vcc_lo, exec_lo, s3
	s_cbranch_vccnz .LBB112_71
; %bb.70:
	scratch_load_b64 v[1:2], v4, off
	ds_load_b64 v[124:125], v3
	s_waitcnt vmcnt(0) lgkmcnt(0)
	v_mul_f64 v[1:2], v[1:2], v[124:125]
	s_cbranch_execz .LBB112_72
	s_branch .LBB112_73
.LBB112_71:
                                        ; implicit-def: $vgpr1_vgpr2
.LBB112_72:
	ds_load_b64 v[1:2], v3
.LBB112_73:
	s_and_saveexec_b32 s4, s1
	s_cbranch_execz .LBB112_77
; %bb.74:
	v_mov_b32_e32 v124, 0
	v_subrev_nc_u32_e32 v125, 41, v0
	s_movk_i32 s5, 0x2d8
	s_mov_b32 s1, 0
	s_delay_alu instid0(VALU_DEP_2)
	v_add_nc_u32_e32 v124, 0x148, v124
.LBB112_75:                             ; =>This Inner Loop Header: Depth=1
	scratch_load_b64 v[126:127], v124, off
	v_dual_mov_b32 v128, s5 :: v_dual_add_nc_u32 v125, -1, v125
	v_add_nc_u32_e32 v124, 8, v124
	s_add_i32 s5, s5, 8
	ds_load_b64 v[128:129], v128
	v_cmp_eq_u32_e32 vcc_lo, 0, v125
	s_or_b32 s1, vcc_lo, s1
	s_waitcnt vmcnt(0) lgkmcnt(0)
	v_fma_f64 v[1:2], v[126:127], v[128:129], v[1:2]
	s_and_not1_b32 exec_lo, exec_lo, s1
	s_cbranch_execnz .LBB112_75
; %bb.76:
	s_or_b32 exec_lo, exec_lo, s1
.LBB112_77:
	s_delay_alu instid0(SALU_CYCLE_1)
	s_or_b32 exec_lo, exec_lo, s4
	v_mov_b32_e32 v124, 0
	ds_load_b64 v[124:125], v124 offset:320
	s_waitcnt lgkmcnt(0)
	v_mul_f64 v[1:2], v[1:2], v[124:125]
	scratch_store_b64 off, v[1:2], off offset:320
.LBB112_78:
	s_or_b32 exec_lo, exec_lo, s2
	scratch_load_b64 v[1:2], off, off offset:312
	v_cmp_lt_u32_e64 s1, 39, v0
	s_waitcnt vmcnt(0)
	ds_store_b64 v3, v[1:2]
	s_waitcnt lgkmcnt(0)
	s_waitcnt_vscnt null, 0x0
	s_barrier
	buffer_gl0_inv
	s_and_saveexec_b32 s2, s1
	s_cbranch_execz .LBB112_88
; %bb.79:
	s_and_not1_b32 vcc_lo, exec_lo, s3
	s_cbranch_vccnz .LBB112_81
; %bb.80:
	scratch_load_b64 v[1:2], v4, off
	ds_load_b64 v[124:125], v3
	s_waitcnt vmcnt(0) lgkmcnt(0)
	v_mul_f64 v[1:2], v[1:2], v[124:125]
	s_cbranch_execz .LBB112_82
	s_branch .LBB112_83
.LBB112_81:
                                        ; implicit-def: $vgpr1_vgpr2
.LBB112_82:
	ds_load_b64 v[1:2], v3
.LBB112_83:
	s_and_saveexec_b32 s4, s0
	s_cbranch_execz .LBB112_87
; %bb.84:
	v_subrev_nc_u32_e32 v124, 40, v0
	s_movk_i32 s5, 0x2d0
	s_mov_b32 s0, 0
.LBB112_85:                             ; =>This Inner Loop Header: Depth=1
	scratch_load_b64 v[125:126], v123, off
	v_dual_mov_b32 v127, s5 :: v_dual_add_nc_u32 v124, -1, v124
	v_add_nc_u32_e32 v123, 8, v123
	s_add_i32 s5, s5, 8
	ds_load_b64 v[127:128], v127
	v_cmp_eq_u32_e32 vcc_lo, 0, v124
	s_or_b32 s0, vcc_lo, s0
	s_waitcnt vmcnt(0) lgkmcnt(0)
	v_fma_f64 v[1:2], v[125:126], v[127:128], v[1:2]
	s_and_not1_b32 exec_lo, exec_lo, s0
	s_cbranch_execnz .LBB112_85
; %bb.86:
	s_or_b32 exec_lo, exec_lo, s0
.LBB112_87:
	s_delay_alu instid0(SALU_CYCLE_1)
	s_or_b32 exec_lo, exec_lo, s4
	v_mov_b32_e32 v123, 0
	ds_load_b64 v[123:124], v123 offset:312
	s_waitcnt lgkmcnt(0)
	v_mul_f64 v[1:2], v[1:2], v[123:124]
	scratch_store_b64 off, v[1:2], off offset:312
.LBB112_88:
	s_or_b32 exec_lo, exec_lo, s2
	scratch_load_b64 v[1:2], off, off offset:304
	v_cmp_lt_u32_e64 s0, 38, v0
	s_waitcnt vmcnt(0)
	ds_store_b64 v3, v[1:2]
	s_waitcnt lgkmcnt(0)
	s_waitcnt_vscnt null, 0x0
	s_barrier
	buffer_gl0_inv
	s_and_saveexec_b32 s2, s0
	s_cbranch_execz .LBB112_98
; %bb.89:
	s_and_not1_b32 vcc_lo, exec_lo, s3
	s_cbranch_vccnz .LBB112_91
; %bb.90:
	scratch_load_b64 v[1:2], v4, off
	ds_load_b64 v[123:124], v3
	s_waitcnt vmcnt(0) lgkmcnt(0)
	v_mul_f64 v[1:2], v[1:2], v[123:124]
	s_cbranch_execz .LBB112_92
	s_branch .LBB112_93
.LBB112_91:
                                        ; implicit-def: $vgpr1_vgpr2
.LBB112_92:
	ds_load_b64 v[1:2], v3
.LBB112_93:
	s_and_saveexec_b32 s4, s1
	s_cbranch_execz .LBB112_97
; %bb.94:
	v_mov_b32_e32 v123, 0
	v_subrev_nc_u32_e32 v124, 39, v0
	s_movk_i32 s5, 0x2c8
	s_mov_b32 s1, 0
	s_delay_alu instid0(VALU_DEP_2)
	v_add_nc_u32_e32 v123, 0x138, v123
.LBB112_95:                             ; =>This Inner Loop Header: Depth=1
	scratch_load_b64 v[125:126], v123, off
	v_dual_mov_b32 v127, s5 :: v_dual_add_nc_u32 v124, -1, v124
	v_add_nc_u32_e32 v123, 8, v123
	s_add_i32 s5, s5, 8
	ds_load_b64 v[127:128], v127
	v_cmp_eq_u32_e32 vcc_lo, 0, v124
	s_or_b32 s1, vcc_lo, s1
	s_waitcnt vmcnt(0) lgkmcnt(0)
	v_fma_f64 v[1:2], v[125:126], v[127:128], v[1:2]
	s_and_not1_b32 exec_lo, exec_lo, s1
	s_cbranch_execnz .LBB112_95
; %bb.96:
	s_or_b32 exec_lo, exec_lo, s1
.LBB112_97:
	s_delay_alu instid0(SALU_CYCLE_1)
	s_or_b32 exec_lo, exec_lo, s4
	v_mov_b32_e32 v123, 0
	ds_load_b64 v[123:124], v123 offset:304
	s_waitcnt lgkmcnt(0)
	v_mul_f64 v[1:2], v[1:2], v[123:124]
	scratch_store_b64 off, v[1:2], off offset:304
.LBB112_98:
	s_or_b32 exec_lo, exec_lo, s2
	scratch_load_b64 v[1:2], off, off offset:296
	v_cmp_lt_u32_e64 s1, 37, v0
	s_waitcnt vmcnt(0)
	ds_store_b64 v3, v[1:2]
	s_waitcnt lgkmcnt(0)
	s_waitcnt_vscnt null, 0x0
	s_barrier
	buffer_gl0_inv
	s_and_saveexec_b32 s2, s1
	s_cbranch_execz .LBB112_108
; %bb.99:
	s_and_not1_b32 vcc_lo, exec_lo, s3
	s_cbranch_vccnz .LBB112_101
; %bb.100:
	scratch_load_b64 v[1:2], v4, off
	ds_load_b64 v[123:124], v3
	s_waitcnt vmcnt(0) lgkmcnt(0)
	v_mul_f64 v[1:2], v[1:2], v[123:124]
	s_cbranch_execz .LBB112_102
	s_branch .LBB112_103
.LBB112_101:
                                        ; implicit-def: $vgpr1_vgpr2
.LBB112_102:
	ds_load_b64 v[1:2], v3
.LBB112_103:
	s_and_saveexec_b32 s4, s0
	s_cbranch_execz .LBB112_107
; %bb.104:
	v_subrev_nc_u32_e32 v123, 38, v0
	s_movk_i32 s5, 0x2c0
	s_mov_b32 s0, 0
.LBB112_105:                            ; =>This Inner Loop Header: Depth=1
	scratch_load_b64 v[124:125], v122, off
	v_dual_mov_b32 v126, s5 :: v_dual_add_nc_u32 v123, -1, v123
	v_add_nc_u32_e32 v122, 8, v122
	s_add_i32 s5, s5, 8
	ds_load_b64 v[126:127], v126
	v_cmp_eq_u32_e32 vcc_lo, 0, v123
	s_or_b32 s0, vcc_lo, s0
	s_waitcnt vmcnt(0) lgkmcnt(0)
	v_fma_f64 v[1:2], v[124:125], v[126:127], v[1:2]
	s_and_not1_b32 exec_lo, exec_lo, s0
	s_cbranch_execnz .LBB112_105
; %bb.106:
	s_or_b32 exec_lo, exec_lo, s0
.LBB112_107:
	s_delay_alu instid0(SALU_CYCLE_1)
	s_or_b32 exec_lo, exec_lo, s4
	v_mov_b32_e32 v122, 0
	ds_load_b64 v[122:123], v122 offset:296
	s_waitcnt lgkmcnt(0)
	v_mul_f64 v[1:2], v[1:2], v[122:123]
	scratch_store_b64 off, v[1:2], off offset:296
.LBB112_108:
	s_or_b32 exec_lo, exec_lo, s2
	scratch_load_b64 v[1:2], off, off offset:288
	v_cmp_lt_u32_e64 s0, 36, v0
	s_waitcnt vmcnt(0)
	ds_store_b64 v3, v[1:2]
	s_waitcnt lgkmcnt(0)
	s_waitcnt_vscnt null, 0x0
	s_barrier
	buffer_gl0_inv
	s_and_saveexec_b32 s2, s0
	s_cbranch_execz .LBB112_118
; %bb.109:
	s_and_not1_b32 vcc_lo, exec_lo, s3
	s_cbranch_vccnz .LBB112_111
; %bb.110:
	scratch_load_b64 v[1:2], v4, off
	ds_load_b64 v[122:123], v3
	s_waitcnt vmcnt(0) lgkmcnt(0)
	v_mul_f64 v[1:2], v[1:2], v[122:123]
	s_cbranch_execz .LBB112_112
	s_branch .LBB112_113
.LBB112_111:
                                        ; implicit-def: $vgpr1_vgpr2
.LBB112_112:
	ds_load_b64 v[1:2], v3
.LBB112_113:
	s_and_saveexec_b32 s4, s1
	s_cbranch_execz .LBB112_117
; %bb.114:
	v_mov_b32_e32 v122, 0
	v_subrev_nc_u32_e32 v123, 37, v0
	s_movk_i32 s5, 0x2b8
	s_mov_b32 s1, 0
	s_delay_alu instid0(VALU_DEP_2)
	v_add_nc_u32_e32 v122, 0x128, v122
.LBB112_115:                            ; =>This Inner Loop Header: Depth=1
	scratch_load_b64 v[124:125], v122, off
	v_dual_mov_b32 v126, s5 :: v_dual_add_nc_u32 v123, -1, v123
	v_add_nc_u32_e32 v122, 8, v122
	s_add_i32 s5, s5, 8
	ds_load_b64 v[126:127], v126
	v_cmp_eq_u32_e32 vcc_lo, 0, v123
	s_or_b32 s1, vcc_lo, s1
	s_waitcnt vmcnt(0) lgkmcnt(0)
	v_fma_f64 v[1:2], v[124:125], v[126:127], v[1:2]
	s_and_not1_b32 exec_lo, exec_lo, s1
	s_cbranch_execnz .LBB112_115
; %bb.116:
	s_or_b32 exec_lo, exec_lo, s1
.LBB112_117:
	s_delay_alu instid0(SALU_CYCLE_1)
	s_or_b32 exec_lo, exec_lo, s4
	v_mov_b32_e32 v122, 0
	ds_load_b64 v[122:123], v122 offset:288
	s_waitcnt lgkmcnt(0)
	v_mul_f64 v[1:2], v[1:2], v[122:123]
	scratch_store_b64 off, v[1:2], off offset:288
.LBB112_118:
	s_or_b32 exec_lo, exec_lo, s2
	scratch_load_b64 v[1:2], off, off offset:280
	v_cmp_lt_u32_e64 s1, 35, v0
	s_waitcnt vmcnt(0)
	ds_store_b64 v3, v[1:2]
	s_waitcnt lgkmcnt(0)
	s_waitcnt_vscnt null, 0x0
	s_barrier
	buffer_gl0_inv
	s_and_saveexec_b32 s2, s1
	s_cbranch_execz .LBB112_128
; %bb.119:
	s_and_not1_b32 vcc_lo, exec_lo, s3
	s_cbranch_vccnz .LBB112_121
; %bb.120:
	scratch_load_b64 v[1:2], v4, off
	ds_load_b64 v[122:123], v3
	s_waitcnt vmcnt(0) lgkmcnt(0)
	v_mul_f64 v[1:2], v[1:2], v[122:123]
	s_cbranch_execz .LBB112_122
	s_branch .LBB112_123
.LBB112_121:
                                        ; implicit-def: $vgpr1_vgpr2
.LBB112_122:
	ds_load_b64 v[1:2], v3
.LBB112_123:
	s_and_saveexec_b32 s4, s0
	s_cbranch_execz .LBB112_127
; %bb.124:
	v_subrev_nc_u32_e32 v122, 36, v0
	s_movk_i32 s5, 0x2b0
	s_mov_b32 s0, 0
.LBB112_125:                            ; =>This Inner Loop Header: Depth=1
	scratch_load_b64 v[123:124], v121, off
	v_dual_mov_b32 v125, s5 :: v_dual_add_nc_u32 v122, -1, v122
	v_add_nc_u32_e32 v121, 8, v121
	s_add_i32 s5, s5, 8
	ds_load_b64 v[125:126], v125
	v_cmp_eq_u32_e32 vcc_lo, 0, v122
	s_or_b32 s0, vcc_lo, s0
	s_waitcnt vmcnt(0) lgkmcnt(0)
	v_fma_f64 v[1:2], v[123:124], v[125:126], v[1:2]
	s_and_not1_b32 exec_lo, exec_lo, s0
	s_cbranch_execnz .LBB112_125
; %bb.126:
	s_or_b32 exec_lo, exec_lo, s0
.LBB112_127:
	s_delay_alu instid0(SALU_CYCLE_1)
	s_or_b32 exec_lo, exec_lo, s4
	v_mov_b32_e32 v121, 0
	ds_load_b64 v[121:122], v121 offset:280
	s_waitcnt lgkmcnt(0)
	v_mul_f64 v[1:2], v[1:2], v[121:122]
	scratch_store_b64 off, v[1:2], off offset:280
.LBB112_128:
	s_or_b32 exec_lo, exec_lo, s2
	scratch_load_b64 v[1:2], off, off offset:272
	v_cmp_lt_u32_e64 s0, 34, v0
	s_waitcnt vmcnt(0)
	ds_store_b64 v3, v[1:2]
	s_waitcnt lgkmcnt(0)
	s_waitcnt_vscnt null, 0x0
	s_barrier
	buffer_gl0_inv
	s_and_saveexec_b32 s2, s0
	s_cbranch_execz .LBB112_138
; %bb.129:
	s_and_not1_b32 vcc_lo, exec_lo, s3
	s_cbranch_vccnz .LBB112_131
; %bb.130:
	scratch_load_b64 v[1:2], v4, off
	ds_load_b64 v[121:122], v3
	s_waitcnt vmcnt(0) lgkmcnt(0)
	v_mul_f64 v[1:2], v[1:2], v[121:122]
	s_cbranch_execz .LBB112_132
	s_branch .LBB112_133
.LBB112_131:
                                        ; implicit-def: $vgpr1_vgpr2
.LBB112_132:
	ds_load_b64 v[1:2], v3
.LBB112_133:
	s_and_saveexec_b32 s4, s1
	s_cbranch_execz .LBB112_137
; %bb.134:
	v_mov_b32_e32 v121, 0
	v_subrev_nc_u32_e32 v122, 35, v0
	s_movk_i32 s5, 0x2a8
	s_mov_b32 s1, 0
	s_delay_alu instid0(VALU_DEP_2)
	v_add_nc_u32_e32 v121, 0x118, v121
.LBB112_135:                            ; =>This Inner Loop Header: Depth=1
	scratch_load_b64 v[123:124], v121, off
	v_dual_mov_b32 v125, s5 :: v_dual_add_nc_u32 v122, -1, v122
	v_add_nc_u32_e32 v121, 8, v121
	s_add_i32 s5, s5, 8
	ds_load_b64 v[125:126], v125
	v_cmp_eq_u32_e32 vcc_lo, 0, v122
	s_or_b32 s1, vcc_lo, s1
	s_waitcnt vmcnt(0) lgkmcnt(0)
	v_fma_f64 v[1:2], v[123:124], v[125:126], v[1:2]
	s_and_not1_b32 exec_lo, exec_lo, s1
	s_cbranch_execnz .LBB112_135
; %bb.136:
	s_or_b32 exec_lo, exec_lo, s1
.LBB112_137:
	s_delay_alu instid0(SALU_CYCLE_1)
	s_or_b32 exec_lo, exec_lo, s4
	v_mov_b32_e32 v121, 0
	ds_load_b64 v[121:122], v121 offset:272
	s_waitcnt lgkmcnt(0)
	v_mul_f64 v[1:2], v[1:2], v[121:122]
	scratch_store_b64 off, v[1:2], off offset:272
.LBB112_138:
	s_or_b32 exec_lo, exec_lo, s2
	scratch_load_b64 v[1:2], off, off offset:264
	v_cmp_lt_u32_e64 s1, 33, v0
	s_waitcnt vmcnt(0)
	ds_store_b64 v3, v[1:2]
	s_waitcnt lgkmcnt(0)
	s_waitcnt_vscnt null, 0x0
	s_barrier
	buffer_gl0_inv
	s_and_saveexec_b32 s2, s1
	s_cbranch_execz .LBB112_148
; %bb.139:
	s_and_not1_b32 vcc_lo, exec_lo, s3
	s_cbranch_vccnz .LBB112_141
; %bb.140:
	scratch_load_b64 v[1:2], v4, off
	ds_load_b64 v[121:122], v3
	s_waitcnt vmcnt(0) lgkmcnt(0)
	v_mul_f64 v[1:2], v[1:2], v[121:122]
	s_cbranch_execz .LBB112_142
	s_branch .LBB112_143
.LBB112_141:
                                        ; implicit-def: $vgpr1_vgpr2
.LBB112_142:
	ds_load_b64 v[1:2], v3
.LBB112_143:
	s_and_saveexec_b32 s4, s0
	s_cbranch_execz .LBB112_147
; %bb.144:
	v_subrev_nc_u32_e32 v121, 34, v0
	s_movk_i32 s5, 0x2a0
	s_mov_b32 s0, 0
.LBB112_145:                            ; =>This Inner Loop Header: Depth=1
	scratch_load_b64 v[122:123], v120, off
	v_dual_mov_b32 v124, s5 :: v_dual_add_nc_u32 v121, -1, v121
	v_add_nc_u32_e32 v120, 8, v120
	s_add_i32 s5, s5, 8
	ds_load_b64 v[124:125], v124
	v_cmp_eq_u32_e32 vcc_lo, 0, v121
	s_or_b32 s0, vcc_lo, s0
	s_waitcnt vmcnt(0) lgkmcnt(0)
	v_fma_f64 v[1:2], v[122:123], v[124:125], v[1:2]
	s_and_not1_b32 exec_lo, exec_lo, s0
	s_cbranch_execnz .LBB112_145
; %bb.146:
	s_or_b32 exec_lo, exec_lo, s0
.LBB112_147:
	s_delay_alu instid0(SALU_CYCLE_1)
	s_or_b32 exec_lo, exec_lo, s4
	v_mov_b32_e32 v120, 0
	ds_load_b64 v[120:121], v120 offset:264
	s_waitcnt lgkmcnt(0)
	v_mul_f64 v[1:2], v[1:2], v[120:121]
	scratch_store_b64 off, v[1:2], off offset:264
.LBB112_148:
	s_or_b32 exec_lo, exec_lo, s2
	scratch_load_b64 v[1:2], off, off offset:256
	v_cmp_lt_u32_e64 s0, 32, v0
	s_waitcnt vmcnt(0)
	ds_store_b64 v3, v[1:2]
	s_waitcnt lgkmcnt(0)
	s_waitcnt_vscnt null, 0x0
	s_barrier
	buffer_gl0_inv
	s_and_saveexec_b32 s2, s0
	s_cbranch_execz .LBB112_158
; %bb.149:
	s_and_not1_b32 vcc_lo, exec_lo, s3
	s_cbranch_vccnz .LBB112_151
; %bb.150:
	scratch_load_b64 v[1:2], v4, off
	ds_load_b64 v[120:121], v3
	s_waitcnt vmcnt(0) lgkmcnt(0)
	v_mul_f64 v[1:2], v[1:2], v[120:121]
	s_cbranch_execz .LBB112_152
	s_branch .LBB112_153
.LBB112_151:
                                        ; implicit-def: $vgpr1_vgpr2
.LBB112_152:
	ds_load_b64 v[1:2], v3
.LBB112_153:
	s_and_saveexec_b32 s4, s1
	s_cbranch_execz .LBB112_157
; %bb.154:
	v_mov_b32_e32 v120, 0
	v_subrev_nc_u32_e32 v121, 33, v0
	s_movk_i32 s5, 0x298
	s_mov_b32 s1, 0
	s_delay_alu instid0(VALU_DEP_2)
	v_add_nc_u32_e32 v120, 0x108, v120
.LBB112_155:                            ; =>This Inner Loop Header: Depth=1
	scratch_load_b64 v[122:123], v120, off
	v_dual_mov_b32 v124, s5 :: v_dual_add_nc_u32 v121, -1, v121
	v_add_nc_u32_e32 v120, 8, v120
	s_add_i32 s5, s5, 8
	ds_load_b64 v[124:125], v124
	v_cmp_eq_u32_e32 vcc_lo, 0, v121
	s_or_b32 s1, vcc_lo, s1
	s_waitcnt vmcnt(0) lgkmcnt(0)
	v_fma_f64 v[1:2], v[122:123], v[124:125], v[1:2]
	s_and_not1_b32 exec_lo, exec_lo, s1
	s_cbranch_execnz .LBB112_155
; %bb.156:
	s_or_b32 exec_lo, exec_lo, s1
.LBB112_157:
	s_delay_alu instid0(SALU_CYCLE_1)
	s_or_b32 exec_lo, exec_lo, s4
	v_mov_b32_e32 v120, 0
	ds_load_b64 v[120:121], v120 offset:256
	s_waitcnt lgkmcnt(0)
	v_mul_f64 v[1:2], v[1:2], v[120:121]
	scratch_store_b64 off, v[1:2], off offset:256
.LBB112_158:
	s_or_b32 exec_lo, exec_lo, s2
	scratch_load_b64 v[1:2], off, off offset:248
	v_cmp_lt_u32_e64 s1, 31, v0
	s_waitcnt vmcnt(0)
	ds_store_b64 v3, v[1:2]
	s_waitcnt lgkmcnt(0)
	s_waitcnt_vscnt null, 0x0
	s_barrier
	buffer_gl0_inv
	s_and_saveexec_b32 s2, s1
	s_cbranch_execz .LBB112_168
; %bb.159:
	s_and_not1_b32 vcc_lo, exec_lo, s3
	s_cbranch_vccnz .LBB112_161
; %bb.160:
	scratch_load_b64 v[1:2], v4, off
	ds_load_b64 v[120:121], v3
	s_waitcnt vmcnt(0) lgkmcnt(0)
	v_mul_f64 v[1:2], v[1:2], v[120:121]
	s_cbranch_execz .LBB112_162
	s_branch .LBB112_163
.LBB112_161:
                                        ; implicit-def: $vgpr1_vgpr2
.LBB112_162:
	ds_load_b64 v[1:2], v3
.LBB112_163:
	s_and_saveexec_b32 s4, s0
	s_cbranch_execz .LBB112_167
; %bb.164:
	v_subrev_nc_u32_e32 v120, 32, v0
	s_movk_i32 s5, 0x290
	s_mov_b32 s0, 0
.LBB112_165:                            ; =>This Inner Loop Header: Depth=1
	scratch_load_b64 v[121:122], v119, off
	v_dual_mov_b32 v123, s5 :: v_dual_add_nc_u32 v120, -1, v120
	v_add_nc_u32_e32 v119, 8, v119
	s_add_i32 s5, s5, 8
	ds_load_b64 v[123:124], v123
	v_cmp_eq_u32_e32 vcc_lo, 0, v120
	s_or_b32 s0, vcc_lo, s0
	s_waitcnt vmcnt(0) lgkmcnt(0)
	v_fma_f64 v[1:2], v[121:122], v[123:124], v[1:2]
	s_and_not1_b32 exec_lo, exec_lo, s0
	s_cbranch_execnz .LBB112_165
; %bb.166:
	s_or_b32 exec_lo, exec_lo, s0
.LBB112_167:
	s_delay_alu instid0(SALU_CYCLE_1)
	s_or_b32 exec_lo, exec_lo, s4
	v_mov_b32_e32 v119, 0
	ds_load_b64 v[119:120], v119 offset:248
	s_waitcnt lgkmcnt(0)
	v_mul_f64 v[1:2], v[1:2], v[119:120]
	scratch_store_b64 off, v[1:2], off offset:248
.LBB112_168:
	s_or_b32 exec_lo, exec_lo, s2
	scratch_load_b64 v[1:2], off, off offset:240
	v_cmp_lt_u32_e64 s0, 30, v0
	s_waitcnt vmcnt(0)
	ds_store_b64 v3, v[1:2]
	s_waitcnt lgkmcnt(0)
	s_waitcnt_vscnt null, 0x0
	s_barrier
	buffer_gl0_inv
	s_and_saveexec_b32 s2, s0
	s_cbranch_execz .LBB112_178
; %bb.169:
	s_and_not1_b32 vcc_lo, exec_lo, s3
	s_cbranch_vccnz .LBB112_171
; %bb.170:
	scratch_load_b64 v[1:2], v4, off
	ds_load_b64 v[119:120], v3
	s_waitcnt vmcnt(0) lgkmcnt(0)
	v_mul_f64 v[1:2], v[1:2], v[119:120]
	s_cbranch_execz .LBB112_172
	s_branch .LBB112_173
.LBB112_171:
                                        ; implicit-def: $vgpr1_vgpr2
.LBB112_172:
	ds_load_b64 v[1:2], v3
.LBB112_173:
	s_and_saveexec_b32 s4, s1
	s_cbranch_execz .LBB112_177
; %bb.174:
	v_mov_b32_e32 v119, 0
	v_subrev_nc_u32_e32 v120, 31, v0
	s_movk_i32 s5, 0x288
	s_mov_b32 s1, 0
	s_delay_alu instid0(VALU_DEP_2)
	v_add_nc_u32_e32 v119, 0xf8, v119
.LBB112_175:                            ; =>This Inner Loop Header: Depth=1
	scratch_load_b64 v[121:122], v119, off
	v_dual_mov_b32 v123, s5 :: v_dual_add_nc_u32 v120, -1, v120
	v_add_nc_u32_e32 v119, 8, v119
	s_add_i32 s5, s5, 8
	ds_load_b64 v[123:124], v123
	v_cmp_eq_u32_e32 vcc_lo, 0, v120
	s_or_b32 s1, vcc_lo, s1
	s_waitcnt vmcnt(0) lgkmcnt(0)
	v_fma_f64 v[1:2], v[121:122], v[123:124], v[1:2]
	s_and_not1_b32 exec_lo, exec_lo, s1
	s_cbranch_execnz .LBB112_175
; %bb.176:
	s_or_b32 exec_lo, exec_lo, s1
.LBB112_177:
	s_delay_alu instid0(SALU_CYCLE_1)
	s_or_b32 exec_lo, exec_lo, s4
	v_mov_b32_e32 v119, 0
	ds_load_b64 v[119:120], v119 offset:240
	s_waitcnt lgkmcnt(0)
	v_mul_f64 v[1:2], v[1:2], v[119:120]
	scratch_store_b64 off, v[1:2], off offset:240
.LBB112_178:
	s_or_b32 exec_lo, exec_lo, s2
	scratch_load_b64 v[1:2], off, off offset:232
	v_cmp_lt_u32_e64 s1, 29, v0
	s_waitcnt vmcnt(0)
	ds_store_b64 v3, v[1:2]
	s_waitcnt lgkmcnt(0)
	s_waitcnt_vscnt null, 0x0
	s_barrier
	buffer_gl0_inv
	s_and_saveexec_b32 s2, s1
	s_cbranch_execz .LBB112_188
; %bb.179:
	s_and_not1_b32 vcc_lo, exec_lo, s3
	s_cbranch_vccnz .LBB112_181
; %bb.180:
	scratch_load_b64 v[1:2], v4, off
	ds_load_b64 v[119:120], v3
	s_waitcnt vmcnt(0) lgkmcnt(0)
	v_mul_f64 v[1:2], v[1:2], v[119:120]
	s_cbranch_execz .LBB112_182
	s_branch .LBB112_183
.LBB112_181:
                                        ; implicit-def: $vgpr1_vgpr2
.LBB112_182:
	ds_load_b64 v[1:2], v3
.LBB112_183:
	s_and_saveexec_b32 s4, s0
	s_cbranch_execz .LBB112_187
; %bb.184:
	v_subrev_nc_u32_e32 v119, 30, v0
	s_movk_i32 s5, 0x280
	s_mov_b32 s0, 0
.LBB112_185:                            ; =>This Inner Loop Header: Depth=1
	scratch_load_b64 v[120:121], v118, off
	v_dual_mov_b32 v122, s5 :: v_dual_add_nc_u32 v119, -1, v119
	v_add_nc_u32_e32 v118, 8, v118
	s_add_i32 s5, s5, 8
	ds_load_b64 v[122:123], v122
	v_cmp_eq_u32_e32 vcc_lo, 0, v119
	s_or_b32 s0, vcc_lo, s0
	s_waitcnt vmcnt(0) lgkmcnt(0)
	v_fma_f64 v[1:2], v[120:121], v[122:123], v[1:2]
	s_and_not1_b32 exec_lo, exec_lo, s0
	s_cbranch_execnz .LBB112_185
; %bb.186:
	s_or_b32 exec_lo, exec_lo, s0
.LBB112_187:
	s_delay_alu instid0(SALU_CYCLE_1)
	s_or_b32 exec_lo, exec_lo, s4
	v_mov_b32_e32 v118, 0
	ds_load_b64 v[118:119], v118 offset:232
	s_waitcnt lgkmcnt(0)
	v_mul_f64 v[1:2], v[1:2], v[118:119]
	scratch_store_b64 off, v[1:2], off offset:232
.LBB112_188:
	s_or_b32 exec_lo, exec_lo, s2
	scratch_load_b64 v[1:2], off, off offset:224
	v_cmp_lt_u32_e64 s0, 28, v0
	s_waitcnt vmcnt(0)
	ds_store_b64 v3, v[1:2]
	s_waitcnt lgkmcnt(0)
	s_waitcnt_vscnt null, 0x0
	s_barrier
	buffer_gl0_inv
	s_and_saveexec_b32 s2, s0
	s_cbranch_execz .LBB112_198
; %bb.189:
	s_and_not1_b32 vcc_lo, exec_lo, s3
	s_cbranch_vccnz .LBB112_191
; %bb.190:
	scratch_load_b64 v[1:2], v4, off
	ds_load_b64 v[118:119], v3
	s_waitcnt vmcnt(0) lgkmcnt(0)
	v_mul_f64 v[1:2], v[1:2], v[118:119]
	s_cbranch_execz .LBB112_192
	s_branch .LBB112_193
.LBB112_191:
                                        ; implicit-def: $vgpr1_vgpr2
.LBB112_192:
	ds_load_b64 v[1:2], v3
.LBB112_193:
	s_and_saveexec_b32 s4, s1
	s_cbranch_execz .LBB112_197
; %bb.194:
	v_mov_b32_e32 v118, 0
	v_subrev_nc_u32_e32 v119, 29, v0
	s_movk_i32 s5, 0x278
	s_mov_b32 s1, 0
	s_delay_alu instid0(VALU_DEP_2)
	v_add_nc_u32_e32 v118, 0xe8, v118
.LBB112_195:                            ; =>This Inner Loop Header: Depth=1
	scratch_load_b64 v[120:121], v118, off
	v_dual_mov_b32 v122, s5 :: v_dual_add_nc_u32 v119, -1, v119
	v_add_nc_u32_e32 v118, 8, v118
	s_add_i32 s5, s5, 8
	ds_load_b64 v[122:123], v122
	v_cmp_eq_u32_e32 vcc_lo, 0, v119
	s_or_b32 s1, vcc_lo, s1
	s_waitcnt vmcnt(0) lgkmcnt(0)
	v_fma_f64 v[1:2], v[120:121], v[122:123], v[1:2]
	s_and_not1_b32 exec_lo, exec_lo, s1
	s_cbranch_execnz .LBB112_195
; %bb.196:
	s_or_b32 exec_lo, exec_lo, s1
.LBB112_197:
	s_delay_alu instid0(SALU_CYCLE_1)
	s_or_b32 exec_lo, exec_lo, s4
	v_mov_b32_e32 v118, 0
	ds_load_b64 v[118:119], v118 offset:224
	s_waitcnt lgkmcnt(0)
	v_mul_f64 v[1:2], v[1:2], v[118:119]
	scratch_store_b64 off, v[1:2], off offset:224
.LBB112_198:
	s_or_b32 exec_lo, exec_lo, s2
	scratch_load_b64 v[1:2], off, off offset:216
	v_cmp_lt_u32_e64 s1, 27, v0
	s_waitcnt vmcnt(0)
	ds_store_b64 v3, v[1:2]
	s_waitcnt lgkmcnt(0)
	s_waitcnt_vscnt null, 0x0
	s_barrier
	buffer_gl0_inv
	s_and_saveexec_b32 s2, s1
	s_cbranch_execz .LBB112_208
; %bb.199:
	s_and_not1_b32 vcc_lo, exec_lo, s3
	s_cbranch_vccnz .LBB112_201
; %bb.200:
	scratch_load_b64 v[1:2], v4, off
	ds_load_b64 v[118:119], v3
	s_waitcnt vmcnt(0) lgkmcnt(0)
	v_mul_f64 v[1:2], v[1:2], v[118:119]
	s_cbranch_execz .LBB112_202
	s_branch .LBB112_203
.LBB112_201:
                                        ; implicit-def: $vgpr1_vgpr2
.LBB112_202:
	ds_load_b64 v[1:2], v3
.LBB112_203:
	s_and_saveexec_b32 s4, s0
	s_cbranch_execz .LBB112_207
; %bb.204:
	v_subrev_nc_u32_e32 v118, 28, v0
	s_movk_i32 s5, 0x270
	s_mov_b32 s0, 0
.LBB112_205:                            ; =>This Inner Loop Header: Depth=1
	scratch_load_b64 v[119:120], v117, off
	v_dual_mov_b32 v121, s5 :: v_dual_add_nc_u32 v118, -1, v118
	v_add_nc_u32_e32 v117, 8, v117
	s_add_i32 s5, s5, 8
	ds_load_b64 v[121:122], v121
	v_cmp_eq_u32_e32 vcc_lo, 0, v118
	s_or_b32 s0, vcc_lo, s0
	s_waitcnt vmcnt(0) lgkmcnt(0)
	v_fma_f64 v[1:2], v[119:120], v[121:122], v[1:2]
	s_and_not1_b32 exec_lo, exec_lo, s0
	s_cbranch_execnz .LBB112_205
; %bb.206:
	s_or_b32 exec_lo, exec_lo, s0
.LBB112_207:
	s_delay_alu instid0(SALU_CYCLE_1)
	s_or_b32 exec_lo, exec_lo, s4
	v_mov_b32_e32 v117, 0
	ds_load_b64 v[117:118], v117 offset:216
	s_waitcnt lgkmcnt(0)
	v_mul_f64 v[1:2], v[1:2], v[117:118]
	scratch_store_b64 off, v[1:2], off offset:216
.LBB112_208:
	s_or_b32 exec_lo, exec_lo, s2
	scratch_load_b64 v[1:2], off, off offset:208
	v_cmp_lt_u32_e64 s0, 26, v0
	s_waitcnt vmcnt(0)
	ds_store_b64 v3, v[1:2]
	s_waitcnt lgkmcnt(0)
	s_waitcnt_vscnt null, 0x0
	s_barrier
	buffer_gl0_inv
	s_and_saveexec_b32 s2, s0
	s_cbranch_execz .LBB112_218
; %bb.209:
	s_and_not1_b32 vcc_lo, exec_lo, s3
	s_cbranch_vccnz .LBB112_211
; %bb.210:
	scratch_load_b64 v[1:2], v4, off
	ds_load_b64 v[117:118], v3
	s_waitcnt vmcnt(0) lgkmcnt(0)
	v_mul_f64 v[1:2], v[1:2], v[117:118]
	s_cbranch_execz .LBB112_212
	s_branch .LBB112_213
.LBB112_211:
                                        ; implicit-def: $vgpr1_vgpr2
.LBB112_212:
	ds_load_b64 v[1:2], v3
.LBB112_213:
	s_and_saveexec_b32 s4, s1
	s_cbranch_execz .LBB112_217
; %bb.214:
	v_mov_b32_e32 v117, 0
	v_subrev_nc_u32_e32 v118, 27, v0
	s_movk_i32 s5, 0x268
	s_mov_b32 s1, 0
	s_delay_alu instid0(VALU_DEP_2)
	v_add_nc_u32_e32 v117, 0xd8, v117
.LBB112_215:                            ; =>This Inner Loop Header: Depth=1
	scratch_load_b64 v[119:120], v117, off
	v_dual_mov_b32 v121, s5 :: v_dual_add_nc_u32 v118, -1, v118
	v_add_nc_u32_e32 v117, 8, v117
	s_add_i32 s5, s5, 8
	ds_load_b64 v[121:122], v121
	v_cmp_eq_u32_e32 vcc_lo, 0, v118
	s_or_b32 s1, vcc_lo, s1
	s_waitcnt vmcnt(0) lgkmcnt(0)
	v_fma_f64 v[1:2], v[119:120], v[121:122], v[1:2]
	s_and_not1_b32 exec_lo, exec_lo, s1
	s_cbranch_execnz .LBB112_215
; %bb.216:
	s_or_b32 exec_lo, exec_lo, s1
.LBB112_217:
	s_delay_alu instid0(SALU_CYCLE_1)
	s_or_b32 exec_lo, exec_lo, s4
	v_mov_b32_e32 v117, 0
	ds_load_b64 v[117:118], v117 offset:208
	s_waitcnt lgkmcnt(0)
	v_mul_f64 v[1:2], v[1:2], v[117:118]
	scratch_store_b64 off, v[1:2], off offset:208
.LBB112_218:
	s_or_b32 exec_lo, exec_lo, s2
	scratch_load_b64 v[1:2], off, off offset:200
	v_cmp_lt_u32_e64 s1, 25, v0
	s_waitcnt vmcnt(0)
	ds_store_b64 v3, v[1:2]
	s_waitcnt lgkmcnt(0)
	s_waitcnt_vscnt null, 0x0
	s_barrier
	buffer_gl0_inv
	s_and_saveexec_b32 s2, s1
	s_cbranch_execz .LBB112_228
; %bb.219:
	s_and_not1_b32 vcc_lo, exec_lo, s3
	s_cbranch_vccnz .LBB112_221
; %bb.220:
	scratch_load_b64 v[1:2], v4, off
	ds_load_b64 v[117:118], v3
	s_waitcnt vmcnt(0) lgkmcnt(0)
	v_mul_f64 v[1:2], v[1:2], v[117:118]
	s_cbranch_execz .LBB112_222
	s_branch .LBB112_223
.LBB112_221:
                                        ; implicit-def: $vgpr1_vgpr2
.LBB112_222:
	ds_load_b64 v[1:2], v3
.LBB112_223:
	s_and_saveexec_b32 s4, s0
	s_cbranch_execz .LBB112_227
; %bb.224:
	v_subrev_nc_u32_e32 v117, 26, v0
	s_movk_i32 s5, 0x260
	s_mov_b32 s0, 0
.LBB112_225:                            ; =>This Inner Loop Header: Depth=1
	scratch_load_b64 v[118:119], v116, off
	v_dual_mov_b32 v120, s5 :: v_dual_add_nc_u32 v117, -1, v117
	v_add_nc_u32_e32 v116, 8, v116
	s_add_i32 s5, s5, 8
	ds_load_b64 v[120:121], v120
	v_cmp_eq_u32_e32 vcc_lo, 0, v117
	s_or_b32 s0, vcc_lo, s0
	s_waitcnt vmcnt(0) lgkmcnt(0)
	v_fma_f64 v[1:2], v[118:119], v[120:121], v[1:2]
	s_and_not1_b32 exec_lo, exec_lo, s0
	s_cbranch_execnz .LBB112_225
; %bb.226:
	s_or_b32 exec_lo, exec_lo, s0
.LBB112_227:
	s_delay_alu instid0(SALU_CYCLE_1)
	s_or_b32 exec_lo, exec_lo, s4
	v_mov_b32_e32 v116, 0
	ds_load_b64 v[116:117], v116 offset:200
	s_waitcnt lgkmcnt(0)
	v_mul_f64 v[1:2], v[1:2], v[116:117]
	scratch_store_b64 off, v[1:2], off offset:200
.LBB112_228:
	s_or_b32 exec_lo, exec_lo, s2
	scratch_load_b64 v[1:2], off, off offset:192
	v_cmp_lt_u32_e64 s0, 24, v0
	s_waitcnt vmcnt(0)
	ds_store_b64 v3, v[1:2]
	s_waitcnt lgkmcnt(0)
	s_waitcnt_vscnt null, 0x0
	s_barrier
	buffer_gl0_inv
	s_and_saveexec_b32 s2, s0
	s_cbranch_execz .LBB112_238
; %bb.229:
	s_and_not1_b32 vcc_lo, exec_lo, s3
	s_cbranch_vccnz .LBB112_231
; %bb.230:
	scratch_load_b64 v[1:2], v4, off
	ds_load_b64 v[116:117], v3
	s_waitcnt vmcnt(0) lgkmcnt(0)
	v_mul_f64 v[1:2], v[1:2], v[116:117]
	s_cbranch_execz .LBB112_232
	s_branch .LBB112_233
.LBB112_231:
                                        ; implicit-def: $vgpr1_vgpr2
.LBB112_232:
	ds_load_b64 v[1:2], v3
.LBB112_233:
	s_and_saveexec_b32 s4, s1
	s_cbranch_execz .LBB112_237
; %bb.234:
	v_mov_b32_e32 v116, 0
	v_subrev_nc_u32_e32 v117, 25, v0
	s_movk_i32 s5, 0x258
	s_mov_b32 s1, 0
	s_delay_alu instid0(VALU_DEP_2)
	v_add_nc_u32_e32 v116, 0xc8, v116
.LBB112_235:                            ; =>This Inner Loop Header: Depth=1
	scratch_load_b64 v[118:119], v116, off
	v_dual_mov_b32 v120, s5 :: v_dual_add_nc_u32 v117, -1, v117
	v_add_nc_u32_e32 v116, 8, v116
	s_add_i32 s5, s5, 8
	ds_load_b64 v[120:121], v120
	v_cmp_eq_u32_e32 vcc_lo, 0, v117
	s_or_b32 s1, vcc_lo, s1
	s_waitcnt vmcnt(0) lgkmcnt(0)
	v_fma_f64 v[1:2], v[118:119], v[120:121], v[1:2]
	s_and_not1_b32 exec_lo, exec_lo, s1
	s_cbranch_execnz .LBB112_235
; %bb.236:
	s_or_b32 exec_lo, exec_lo, s1
.LBB112_237:
	s_delay_alu instid0(SALU_CYCLE_1)
	s_or_b32 exec_lo, exec_lo, s4
	v_mov_b32_e32 v116, 0
	ds_load_b64 v[116:117], v116 offset:192
	s_waitcnt lgkmcnt(0)
	v_mul_f64 v[1:2], v[1:2], v[116:117]
	scratch_store_b64 off, v[1:2], off offset:192
.LBB112_238:
	s_or_b32 exec_lo, exec_lo, s2
	scratch_load_b64 v[1:2], off, off offset:184
	v_cmp_lt_u32_e64 s1, 23, v0
	s_waitcnt vmcnt(0)
	ds_store_b64 v3, v[1:2]
	s_waitcnt lgkmcnt(0)
	s_waitcnt_vscnt null, 0x0
	s_barrier
	buffer_gl0_inv
	s_and_saveexec_b32 s2, s1
	s_cbranch_execz .LBB112_248
; %bb.239:
	s_and_not1_b32 vcc_lo, exec_lo, s3
	s_cbranch_vccnz .LBB112_241
; %bb.240:
	scratch_load_b64 v[1:2], v4, off
	ds_load_b64 v[116:117], v3
	s_waitcnt vmcnt(0) lgkmcnt(0)
	v_mul_f64 v[1:2], v[1:2], v[116:117]
	s_cbranch_execz .LBB112_242
	s_branch .LBB112_243
.LBB112_241:
                                        ; implicit-def: $vgpr1_vgpr2
.LBB112_242:
	ds_load_b64 v[1:2], v3
.LBB112_243:
	s_and_saveexec_b32 s4, s0
	s_cbranch_execz .LBB112_247
; %bb.244:
	v_subrev_nc_u32_e32 v116, 24, v0
	s_movk_i32 s5, 0x250
	s_mov_b32 s0, 0
.LBB112_245:                            ; =>This Inner Loop Header: Depth=1
	scratch_load_b64 v[117:118], v115, off
	v_dual_mov_b32 v119, s5 :: v_dual_add_nc_u32 v116, -1, v116
	v_add_nc_u32_e32 v115, 8, v115
	s_add_i32 s5, s5, 8
	ds_load_b64 v[119:120], v119
	v_cmp_eq_u32_e32 vcc_lo, 0, v116
	s_or_b32 s0, vcc_lo, s0
	s_waitcnt vmcnt(0) lgkmcnt(0)
	v_fma_f64 v[1:2], v[117:118], v[119:120], v[1:2]
	s_and_not1_b32 exec_lo, exec_lo, s0
	s_cbranch_execnz .LBB112_245
; %bb.246:
	s_or_b32 exec_lo, exec_lo, s0
.LBB112_247:
	s_delay_alu instid0(SALU_CYCLE_1)
	s_or_b32 exec_lo, exec_lo, s4
	v_mov_b32_e32 v115, 0
	ds_load_b64 v[115:116], v115 offset:184
	s_waitcnt lgkmcnt(0)
	v_mul_f64 v[1:2], v[1:2], v[115:116]
	scratch_store_b64 off, v[1:2], off offset:184
.LBB112_248:
	s_or_b32 exec_lo, exec_lo, s2
	scratch_load_b64 v[1:2], off, off offset:176
	v_cmp_lt_u32_e64 s0, 22, v0
	s_waitcnt vmcnt(0)
	ds_store_b64 v3, v[1:2]
	s_waitcnt lgkmcnt(0)
	s_waitcnt_vscnt null, 0x0
	s_barrier
	buffer_gl0_inv
	s_and_saveexec_b32 s2, s0
	s_cbranch_execz .LBB112_258
; %bb.249:
	s_and_not1_b32 vcc_lo, exec_lo, s3
	s_cbranch_vccnz .LBB112_251
; %bb.250:
	scratch_load_b64 v[1:2], v4, off
	ds_load_b64 v[115:116], v3
	s_waitcnt vmcnt(0) lgkmcnt(0)
	v_mul_f64 v[1:2], v[1:2], v[115:116]
	s_cbranch_execz .LBB112_252
	s_branch .LBB112_253
.LBB112_251:
                                        ; implicit-def: $vgpr1_vgpr2
.LBB112_252:
	ds_load_b64 v[1:2], v3
.LBB112_253:
	s_and_saveexec_b32 s4, s1
	s_cbranch_execz .LBB112_257
; %bb.254:
	v_mov_b32_e32 v115, 0
	v_subrev_nc_u32_e32 v116, 23, v0
	s_movk_i32 s5, 0x248
	s_mov_b32 s1, 0
	s_delay_alu instid0(VALU_DEP_2)
	v_add_nc_u32_e32 v115, 0xb8, v115
.LBB112_255:                            ; =>This Inner Loop Header: Depth=1
	scratch_load_b64 v[117:118], v115, off
	v_dual_mov_b32 v119, s5 :: v_dual_add_nc_u32 v116, -1, v116
	v_add_nc_u32_e32 v115, 8, v115
	s_add_i32 s5, s5, 8
	ds_load_b64 v[119:120], v119
	v_cmp_eq_u32_e32 vcc_lo, 0, v116
	s_or_b32 s1, vcc_lo, s1
	s_waitcnt vmcnt(0) lgkmcnt(0)
	v_fma_f64 v[1:2], v[117:118], v[119:120], v[1:2]
	s_and_not1_b32 exec_lo, exec_lo, s1
	s_cbranch_execnz .LBB112_255
; %bb.256:
	s_or_b32 exec_lo, exec_lo, s1
.LBB112_257:
	s_delay_alu instid0(SALU_CYCLE_1)
	s_or_b32 exec_lo, exec_lo, s4
	v_mov_b32_e32 v115, 0
	ds_load_b64 v[115:116], v115 offset:176
	s_waitcnt lgkmcnt(0)
	v_mul_f64 v[1:2], v[1:2], v[115:116]
	scratch_store_b64 off, v[1:2], off offset:176
.LBB112_258:
	s_or_b32 exec_lo, exec_lo, s2
	scratch_load_b64 v[1:2], off, off offset:168
	v_cmp_lt_u32_e64 s1, 21, v0
	s_waitcnt vmcnt(0)
	ds_store_b64 v3, v[1:2]
	s_waitcnt lgkmcnt(0)
	s_waitcnt_vscnt null, 0x0
	s_barrier
	buffer_gl0_inv
	s_and_saveexec_b32 s2, s1
	s_cbranch_execz .LBB112_268
; %bb.259:
	s_and_not1_b32 vcc_lo, exec_lo, s3
	s_cbranch_vccnz .LBB112_261
; %bb.260:
	scratch_load_b64 v[1:2], v4, off
	ds_load_b64 v[115:116], v3
	s_waitcnt vmcnt(0) lgkmcnt(0)
	v_mul_f64 v[1:2], v[1:2], v[115:116]
	s_cbranch_execz .LBB112_262
	s_branch .LBB112_263
.LBB112_261:
                                        ; implicit-def: $vgpr1_vgpr2
.LBB112_262:
	ds_load_b64 v[1:2], v3
.LBB112_263:
	s_and_saveexec_b32 s4, s0
	s_cbranch_execz .LBB112_267
; %bb.264:
	v_subrev_nc_u32_e32 v115, 22, v0
	s_movk_i32 s5, 0x240
	s_mov_b32 s0, 0
.LBB112_265:                            ; =>This Inner Loop Header: Depth=1
	scratch_load_b64 v[116:117], v114, off
	v_dual_mov_b32 v118, s5 :: v_dual_add_nc_u32 v115, -1, v115
	v_add_nc_u32_e32 v114, 8, v114
	s_add_i32 s5, s5, 8
	ds_load_b64 v[118:119], v118
	v_cmp_eq_u32_e32 vcc_lo, 0, v115
	s_or_b32 s0, vcc_lo, s0
	s_waitcnt vmcnt(0) lgkmcnt(0)
	v_fma_f64 v[1:2], v[116:117], v[118:119], v[1:2]
	s_and_not1_b32 exec_lo, exec_lo, s0
	s_cbranch_execnz .LBB112_265
; %bb.266:
	s_or_b32 exec_lo, exec_lo, s0
.LBB112_267:
	s_delay_alu instid0(SALU_CYCLE_1)
	s_or_b32 exec_lo, exec_lo, s4
	v_mov_b32_e32 v114, 0
	ds_load_b64 v[114:115], v114 offset:168
	s_waitcnt lgkmcnt(0)
	v_mul_f64 v[1:2], v[1:2], v[114:115]
	scratch_store_b64 off, v[1:2], off offset:168
.LBB112_268:
	s_or_b32 exec_lo, exec_lo, s2
	scratch_load_b64 v[1:2], off, off offset:160
	v_cmp_lt_u32_e64 s0, 20, v0
	s_waitcnt vmcnt(0)
	ds_store_b64 v3, v[1:2]
	s_waitcnt lgkmcnt(0)
	s_waitcnt_vscnt null, 0x0
	s_barrier
	buffer_gl0_inv
	s_and_saveexec_b32 s2, s0
	s_cbranch_execz .LBB112_278
; %bb.269:
	s_and_not1_b32 vcc_lo, exec_lo, s3
	s_cbranch_vccnz .LBB112_271
; %bb.270:
	scratch_load_b64 v[1:2], v4, off
	ds_load_b64 v[114:115], v3
	s_waitcnt vmcnt(0) lgkmcnt(0)
	v_mul_f64 v[1:2], v[1:2], v[114:115]
	s_cbranch_execz .LBB112_272
	s_branch .LBB112_273
.LBB112_271:
                                        ; implicit-def: $vgpr1_vgpr2
.LBB112_272:
	ds_load_b64 v[1:2], v3
.LBB112_273:
	s_and_saveexec_b32 s4, s1
	s_cbranch_execz .LBB112_277
; %bb.274:
	v_mov_b32_e32 v114, 0
	v_subrev_nc_u32_e32 v115, 21, v0
	s_movk_i32 s5, 0x238
	s_mov_b32 s1, 0
	s_delay_alu instid0(VALU_DEP_2)
	v_add_nc_u32_e32 v114, 0xa8, v114
.LBB112_275:                            ; =>This Inner Loop Header: Depth=1
	scratch_load_b64 v[116:117], v114, off
	v_dual_mov_b32 v118, s5 :: v_dual_add_nc_u32 v115, -1, v115
	v_add_nc_u32_e32 v114, 8, v114
	s_add_i32 s5, s5, 8
	ds_load_b64 v[118:119], v118
	v_cmp_eq_u32_e32 vcc_lo, 0, v115
	s_or_b32 s1, vcc_lo, s1
	s_waitcnt vmcnt(0) lgkmcnt(0)
	v_fma_f64 v[1:2], v[116:117], v[118:119], v[1:2]
	s_and_not1_b32 exec_lo, exec_lo, s1
	s_cbranch_execnz .LBB112_275
; %bb.276:
	s_or_b32 exec_lo, exec_lo, s1
.LBB112_277:
	s_delay_alu instid0(SALU_CYCLE_1)
	s_or_b32 exec_lo, exec_lo, s4
	v_mov_b32_e32 v114, 0
	ds_load_b64 v[114:115], v114 offset:160
	s_waitcnt lgkmcnt(0)
	v_mul_f64 v[1:2], v[1:2], v[114:115]
	scratch_store_b64 off, v[1:2], off offset:160
.LBB112_278:
	s_or_b32 exec_lo, exec_lo, s2
	scratch_load_b64 v[1:2], off, off offset:152
	v_cmp_lt_u32_e64 s1, 19, v0
	s_waitcnt vmcnt(0)
	ds_store_b64 v3, v[1:2]
	s_waitcnt lgkmcnt(0)
	s_waitcnt_vscnt null, 0x0
	s_barrier
	buffer_gl0_inv
	s_and_saveexec_b32 s2, s1
	s_cbranch_execz .LBB112_288
; %bb.279:
	s_and_not1_b32 vcc_lo, exec_lo, s3
	s_cbranch_vccnz .LBB112_281
; %bb.280:
	scratch_load_b64 v[1:2], v4, off
	ds_load_b64 v[114:115], v3
	s_waitcnt vmcnt(0) lgkmcnt(0)
	v_mul_f64 v[1:2], v[1:2], v[114:115]
	s_cbranch_execz .LBB112_282
	s_branch .LBB112_283
.LBB112_281:
                                        ; implicit-def: $vgpr1_vgpr2
.LBB112_282:
	ds_load_b64 v[1:2], v3
.LBB112_283:
	s_and_saveexec_b32 s4, s0
	s_cbranch_execz .LBB112_287
; %bb.284:
	v_subrev_nc_u32_e32 v114, 20, v0
	s_movk_i32 s5, 0x230
	s_mov_b32 s0, 0
.LBB112_285:                            ; =>This Inner Loop Header: Depth=1
	scratch_load_b64 v[115:116], v113, off
	v_dual_mov_b32 v117, s5 :: v_dual_add_nc_u32 v114, -1, v114
	v_add_nc_u32_e32 v113, 8, v113
	s_add_i32 s5, s5, 8
	ds_load_b64 v[117:118], v117
	v_cmp_eq_u32_e32 vcc_lo, 0, v114
	s_or_b32 s0, vcc_lo, s0
	s_waitcnt vmcnt(0) lgkmcnt(0)
	v_fma_f64 v[1:2], v[115:116], v[117:118], v[1:2]
	s_and_not1_b32 exec_lo, exec_lo, s0
	s_cbranch_execnz .LBB112_285
; %bb.286:
	s_or_b32 exec_lo, exec_lo, s0
.LBB112_287:
	s_delay_alu instid0(SALU_CYCLE_1)
	s_or_b32 exec_lo, exec_lo, s4
	v_mov_b32_e32 v113, 0
	ds_load_b64 v[113:114], v113 offset:152
	s_waitcnt lgkmcnt(0)
	v_mul_f64 v[1:2], v[1:2], v[113:114]
	scratch_store_b64 off, v[1:2], off offset:152
.LBB112_288:
	s_or_b32 exec_lo, exec_lo, s2
	scratch_load_b64 v[1:2], off, off offset:144
	v_cmp_lt_u32_e64 s0, 18, v0
	s_waitcnt vmcnt(0)
	ds_store_b64 v3, v[1:2]
	s_waitcnt lgkmcnt(0)
	s_waitcnt_vscnt null, 0x0
	s_barrier
	buffer_gl0_inv
	s_and_saveexec_b32 s2, s0
	s_cbranch_execz .LBB112_298
; %bb.289:
	s_and_not1_b32 vcc_lo, exec_lo, s3
	s_cbranch_vccnz .LBB112_291
; %bb.290:
	scratch_load_b64 v[1:2], v4, off
	ds_load_b64 v[113:114], v3
	s_waitcnt vmcnt(0) lgkmcnt(0)
	v_mul_f64 v[1:2], v[1:2], v[113:114]
	s_cbranch_execz .LBB112_292
	s_branch .LBB112_293
.LBB112_291:
                                        ; implicit-def: $vgpr1_vgpr2
.LBB112_292:
	ds_load_b64 v[1:2], v3
.LBB112_293:
	s_and_saveexec_b32 s4, s1
	s_cbranch_execz .LBB112_297
; %bb.294:
	v_mov_b32_e32 v113, 0
	v_subrev_nc_u32_e32 v114, 19, v0
	s_movk_i32 s5, 0x228
	s_mov_b32 s1, 0
	s_delay_alu instid0(VALU_DEP_2)
	v_add_nc_u32_e32 v113, 0x98, v113
.LBB112_295:                            ; =>This Inner Loop Header: Depth=1
	scratch_load_b64 v[115:116], v113, off
	v_dual_mov_b32 v117, s5 :: v_dual_add_nc_u32 v114, -1, v114
	v_add_nc_u32_e32 v113, 8, v113
	s_add_i32 s5, s5, 8
	ds_load_b64 v[117:118], v117
	v_cmp_eq_u32_e32 vcc_lo, 0, v114
	s_or_b32 s1, vcc_lo, s1
	s_waitcnt vmcnt(0) lgkmcnt(0)
	v_fma_f64 v[1:2], v[115:116], v[117:118], v[1:2]
	s_and_not1_b32 exec_lo, exec_lo, s1
	s_cbranch_execnz .LBB112_295
; %bb.296:
	s_or_b32 exec_lo, exec_lo, s1
.LBB112_297:
	s_delay_alu instid0(SALU_CYCLE_1)
	s_or_b32 exec_lo, exec_lo, s4
	v_mov_b32_e32 v113, 0
	ds_load_b64 v[113:114], v113 offset:144
	s_waitcnt lgkmcnt(0)
	v_mul_f64 v[1:2], v[1:2], v[113:114]
	scratch_store_b64 off, v[1:2], off offset:144
.LBB112_298:
	s_or_b32 exec_lo, exec_lo, s2
	scratch_load_b64 v[1:2], off, off offset:136
	v_cmp_lt_u32_e64 s1, 17, v0
	s_waitcnt vmcnt(0)
	ds_store_b64 v3, v[1:2]
	s_waitcnt lgkmcnt(0)
	s_waitcnt_vscnt null, 0x0
	s_barrier
	buffer_gl0_inv
	s_and_saveexec_b32 s2, s1
	s_cbranch_execz .LBB112_308
; %bb.299:
	s_and_not1_b32 vcc_lo, exec_lo, s3
	s_cbranch_vccnz .LBB112_301
; %bb.300:
	scratch_load_b64 v[1:2], v4, off
	ds_load_b64 v[113:114], v3
	s_waitcnt vmcnt(0) lgkmcnt(0)
	v_mul_f64 v[1:2], v[1:2], v[113:114]
	s_cbranch_execz .LBB112_302
	s_branch .LBB112_303
.LBB112_301:
                                        ; implicit-def: $vgpr1_vgpr2
.LBB112_302:
	ds_load_b64 v[1:2], v3
.LBB112_303:
	s_and_saveexec_b32 s4, s0
	s_cbranch_execz .LBB112_307
; %bb.304:
	v_subrev_nc_u32_e32 v113, 18, v0
	s_movk_i32 s5, 0x220
	s_mov_b32 s0, 0
.LBB112_305:                            ; =>This Inner Loop Header: Depth=1
	scratch_load_b64 v[114:115], v112, off
	v_dual_mov_b32 v116, s5 :: v_dual_add_nc_u32 v113, -1, v113
	v_add_nc_u32_e32 v112, 8, v112
	s_add_i32 s5, s5, 8
	ds_load_b64 v[116:117], v116
	v_cmp_eq_u32_e32 vcc_lo, 0, v113
	s_or_b32 s0, vcc_lo, s0
	s_waitcnt vmcnt(0) lgkmcnt(0)
	v_fma_f64 v[1:2], v[114:115], v[116:117], v[1:2]
	s_and_not1_b32 exec_lo, exec_lo, s0
	s_cbranch_execnz .LBB112_305
; %bb.306:
	s_or_b32 exec_lo, exec_lo, s0
.LBB112_307:
	s_delay_alu instid0(SALU_CYCLE_1)
	s_or_b32 exec_lo, exec_lo, s4
	v_mov_b32_e32 v112, 0
	ds_load_b64 v[112:113], v112 offset:136
	s_waitcnt lgkmcnt(0)
	v_mul_f64 v[1:2], v[1:2], v[112:113]
	scratch_store_b64 off, v[1:2], off offset:136
.LBB112_308:
	s_or_b32 exec_lo, exec_lo, s2
	scratch_load_b64 v[1:2], off, off offset:128
	v_cmp_lt_u32_e64 s0, 16, v0
	s_waitcnt vmcnt(0)
	ds_store_b64 v3, v[1:2]
	s_waitcnt lgkmcnt(0)
	s_waitcnt_vscnt null, 0x0
	s_barrier
	buffer_gl0_inv
	s_and_saveexec_b32 s2, s0
	s_cbranch_execz .LBB112_318
; %bb.309:
	s_and_not1_b32 vcc_lo, exec_lo, s3
	s_cbranch_vccnz .LBB112_311
; %bb.310:
	scratch_load_b64 v[1:2], v4, off
	ds_load_b64 v[112:113], v3
	s_waitcnt vmcnt(0) lgkmcnt(0)
	v_mul_f64 v[1:2], v[1:2], v[112:113]
	s_cbranch_execz .LBB112_312
	s_branch .LBB112_313
.LBB112_311:
                                        ; implicit-def: $vgpr1_vgpr2
.LBB112_312:
	ds_load_b64 v[1:2], v3
.LBB112_313:
	s_and_saveexec_b32 s4, s1
	s_cbranch_execz .LBB112_317
; %bb.314:
	v_mov_b32_e32 v112, 0
	v_subrev_nc_u32_e32 v113, 17, v0
	s_movk_i32 s5, 0x218
	s_mov_b32 s1, 0
	s_delay_alu instid0(VALU_DEP_2)
	v_add_nc_u32_e32 v112, 0x88, v112
.LBB112_315:                            ; =>This Inner Loop Header: Depth=1
	scratch_load_b64 v[114:115], v112, off
	v_dual_mov_b32 v116, s5 :: v_dual_add_nc_u32 v113, -1, v113
	v_add_nc_u32_e32 v112, 8, v112
	s_add_i32 s5, s5, 8
	ds_load_b64 v[116:117], v116
	v_cmp_eq_u32_e32 vcc_lo, 0, v113
	s_or_b32 s1, vcc_lo, s1
	s_waitcnt vmcnt(0) lgkmcnt(0)
	v_fma_f64 v[1:2], v[114:115], v[116:117], v[1:2]
	s_and_not1_b32 exec_lo, exec_lo, s1
	s_cbranch_execnz .LBB112_315
; %bb.316:
	s_or_b32 exec_lo, exec_lo, s1
.LBB112_317:
	s_delay_alu instid0(SALU_CYCLE_1)
	s_or_b32 exec_lo, exec_lo, s4
	v_mov_b32_e32 v112, 0
	ds_load_b64 v[112:113], v112 offset:128
	s_waitcnt lgkmcnt(0)
	v_mul_f64 v[1:2], v[1:2], v[112:113]
	scratch_store_b64 off, v[1:2], off offset:128
.LBB112_318:
	s_or_b32 exec_lo, exec_lo, s2
	scratch_load_b64 v[1:2], off, off offset:120
	v_cmp_lt_u32_e64 s1, 15, v0
	s_waitcnt vmcnt(0)
	ds_store_b64 v3, v[1:2]
	s_waitcnt lgkmcnt(0)
	s_waitcnt_vscnt null, 0x0
	s_barrier
	buffer_gl0_inv
	s_and_saveexec_b32 s2, s1
	s_cbranch_execz .LBB112_328
; %bb.319:
	s_and_not1_b32 vcc_lo, exec_lo, s3
	s_cbranch_vccnz .LBB112_321
; %bb.320:
	scratch_load_b64 v[1:2], v4, off
	ds_load_b64 v[112:113], v3
	s_waitcnt vmcnt(0) lgkmcnt(0)
	v_mul_f64 v[1:2], v[1:2], v[112:113]
	s_cbranch_execz .LBB112_322
	s_branch .LBB112_323
.LBB112_321:
                                        ; implicit-def: $vgpr1_vgpr2
.LBB112_322:
	ds_load_b64 v[1:2], v3
.LBB112_323:
	s_and_saveexec_b32 s4, s0
	s_cbranch_execz .LBB112_327
; %bb.324:
	v_add_nc_u32_e32 v112, -16, v0
	s_movk_i32 s5, 0x210
	s_mov_b32 s0, 0
.LBB112_325:                            ; =>This Inner Loop Header: Depth=1
	scratch_load_b64 v[113:114], v12, off
	v_dual_mov_b32 v115, s5 :: v_dual_add_nc_u32 v112, -1, v112
	v_add_nc_u32_e32 v12, 8, v12
	s_add_i32 s5, s5, 8
	ds_load_b64 v[115:116], v115
	v_cmp_eq_u32_e32 vcc_lo, 0, v112
	s_or_b32 s0, vcc_lo, s0
	s_waitcnt vmcnt(0) lgkmcnt(0)
	v_fma_f64 v[1:2], v[113:114], v[115:116], v[1:2]
	s_and_not1_b32 exec_lo, exec_lo, s0
	s_cbranch_execnz .LBB112_325
; %bb.326:
	s_or_b32 exec_lo, exec_lo, s0
.LBB112_327:
	s_delay_alu instid0(SALU_CYCLE_1)
	s_or_b32 exec_lo, exec_lo, s4
	v_mov_b32_e32 v12, 0
	ds_load_b64 v[112:113], v12 offset:120
	s_waitcnt lgkmcnt(0)
	v_mul_f64 v[1:2], v[1:2], v[112:113]
	scratch_store_b64 off, v[1:2], off offset:120
.LBB112_328:
	s_or_b32 exec_lo, exec_lo, s2
	scratch_load_b64 v[1:2], off, off offset:112
	v_cmp_lt_u32_e64 s0, 14, v0
	s_waitcnt vmcnt(0)
	ds_store_b64 v3, v[1:2]
	s_waitcnt lgkmcnt(0)
	s_waitcnt_vscnt null, 0x0
	s_barrier
	buffer_gl0_inv
	s_and_saveexec_b32 s2, s0
	s_cbranch_execz .LBB112_338
; %bb.329:
	s_and_not1_b32 vcc_lo, exec_lo, s3
	s_cbranch_vccnz .LBB112_331
; %bb.330:
	scratch_load_b64 v[1:2], v4, off
	ds_load_b64 v[112:113], v3
	s_waitcnt vmcnt(0) lgkmcnt(0)
	v_mul_f64 v[1:2], v[1:2], v[112:113]
	s_cbranch_execz .LBB112_332
	s_branch .LBB112_333
.LBB112_331:
                                        ; implicit-def: $vgpr1_vgpr2
.LBB112_332:
	ds_load_b64 v[1:2], v3
.LBB112_333:
	s_and_saveexec_b32 s4, s1
	s_cbranch_execz .LBB112_337
; %bb.334:
	v_mov_b32_e32 v12, 0
	v_add_nc_u32_e32 v112, -15, v0
	s_movk_i32 s5, 0x208
	s_mov_b32 s1, 0
	s_delay_alu instid0(VALU_DEP_2)
	v_add_nc_u32_e32 v12, 0x78, v12
.LBB112_335:                            ; =>This Inner Loop Header: Depth=1
	scratch_load_b64 v[113:114], v12, off
	v_dual_mov_b32 v115, s5 :: v_dual_add_nc_u32 v112, -1, v112
	v_add_nc_u32_e32 v12, 8, v12
	s_add_i32 s5, s5, 8
	ds_load_b64 v[115:116], v115
	v_cmp_eq_u32_e32 vcc_lo, 0, v112
	s_or_b32 s1, vcc_lo, s1
	s_waitcnt vmcnt(0) lgkmcnt(0)
	v_fma_f64 v[1:2], v[113:114], v[115:116], v[1:2]
	s_and_not1_b32 exec_lo, exec_lo, s1
	s_cbranch_execnz .LBB112_335
; %bb.336:
	s_or_b32 exec_lo, exec_lo, s1
.LBB112_337:
	s_delay_alu instid0(SALU_CYCLE_1)
	s_or_b32 exec_lo, exec_lo, s4
	v_mov_b32_e32 v12, 0
	ds_load_b64 v[112:113], v12 offset:112
	s_waitcnt lgkmcnt(0)
	v_mul_f64 v[1:2], v[1:2], v[112:113]
	scratch_store_b64 off, v[1:2], off offset:112
.LBB112_338:
	s_or_b32 exec_lo, exec_lo, s2
	scratch_load_b64 v[1:2], off, off offset:104
	v_cmp_lt_u32_e64 s1, 13, v0
	s_waitcnt vmcnt(0)
	ds_store_b64 v3, v[1:2]
	s_waitcnt lgkmcnt(0)
	s_waitcnt_vscnt null, 0x0
	s_barrier
	buffer_gl0_inv
	s_and_saveexec_b32 s2, s1
	s_cbranch_execz .LBB112_348
; %bb.339:
	s_and_not1_b32 vcc_lo, exec_lo, s3
	s_cbranch_vccnz .LBB112_341
; %bb.340:
	scratch_load_b64 v[1:2], v4, off
	ds_load_b64 v[112:113], v3
	s_waitcnt vmcnt(0) lgkmcnt(0)
	v_mul_f64 v[1:2], v[1:2], v[112:113]
	s_cbranch_execz .LBB112_342
	s_branch .LBB112_343
.LBB112_341:
                                        ; implicit-def: $vgpr1_vgpr2
.LBB112_342:
	ds_load_b64 v[1:2], v3
.LBB112_343:
	s_and_saveexec_b32 s4, s0
	s_cbranch_execz .LBB112_347
; %bb.344:
	v_add_nc_u32_e32 v12, -14, v0
	s_movk_i32 s5, 0x200
	s_mov_b32 s0, 0
.LBB112_345:                            ; =>This Inner Loop Header: Depth=1
	scratch_load_b64 v[112:113], v11, off
	v_dual_mov_b32 v114, s5 :: v_dual_add_nc_u32 v11, 8, v11
	v_add_nc_u32_e32 v12, -1, v12
	s_add_i32 s5, s5, 8
	ds_load_b64 v[114:115], v114
	v_cmp_eq_u32_e32 vcc_lo, 0, v12
	s_or_b32 s0, vcc_lo, s0
	s_waitcnt vmcnt(0) lgkmcnt(0)
	v_fma_f64 v[1:2], v[112:113], v[114:115], v[1:2]
	s_and_not1_b32 exec_lo, exec_lo, s0
	s_cbranch_execnz .LBB112_345
; %bb.346:
	s_or_b32 exec_lo, exec_lo, s0
.LBB112_347:
	s_delay_alu instid0(SALU_CYCLE_1)
	s_or_b32 exec_lo, exec_lo, s4
	v_mov_b32_e32 v11, 0
	ds_load_b64 v[11:12], v11 offset:104
	s_waitcnt lgkmcnt(0)
	v_mul_f64 v[1:2], v[1:2], v[11:12]
	scratch_store_b64 off, v[1:2], off offset:104
.LBB112_348:
	s_or_b32 exec_lo, exec_lo, s2
	scratch_load_b64 v[1:2], off, off offset:96
	v_cmp_lt_u32_e64 s0, 12, v0
	s_waitcnt vmcnt(0)
	ds_store_b64 v3, v[1:2]
	s_waitcnt lgkmcnt(0)
	s_waitcnt_vscnt null, 0x0
	s_barrier
	buffer_gl0_inv
	s_and_saveexec_b32 s2, s0
	s_cbranch_execz .LBB112_358
; %bb.349:
	s_and_not1_b32 vcc_lo, exec_lo, s3
	s_cbranch_vccnz .LBB112_351
; %bb.350:
	scratch_load_b64 v[1:2], v4, off
	ds_load_b64 v[11:12], v3
	s_waitcnt vmcnt(0) lgkmcnt(0)
	v_mul_f64 v[1:2], v[1:2], v[11:12]
	s_cbranch_execz .LBB112_352
	s_branch .LBB112_353
.LBB112_351:
                                        ; implicit-def: $vgpr1_vgpr2
.LBB112_352:
	ds_load_b64 v[1:2], v3
.LBB112_353:
	s_and_saveexec_b32 s4, s1
	s_cbranch_execz .LBB112_357
; %bb.354:
	v_dual_mov_b32 v11, 0 :: v_dual_add_nc_u32 v12, -13, v0
	s_movk_i32 s5, 0x1f8
	s_mov_b32 s1, 0
	s_delay_alu instid0(VALU_DEP_1)
	v_add_nc_u32_e32 v11, 0x68, v11
.LBB112_355:                            ; =>This Inner Loop Header: Depth=1
	scratch_load_b64 v[112:113], v11, off
	v_dual_mov_b32 v114, s5 :: v_dual_add_nc_u32 v11, 8, v11
	v_add_nc_u32_e32 v12, -1, v12
	s_add_i32 s5, s5, 8
	ds_load_b64 v[114:115], v114
	v_cmp_eq_u32_e32 vcc_lo, 0, v12
	s_or_b32 s1, vcc_lo, s1
	s_waitcnt vmcnt(0) lgkmcnt(0)
	v_fma_f64 v[1:2], v[112:113], v[114:115], v[1:2]
	s_and_not1_b32 exec_lo, exec_lo, s1
	s_cbranch_execnz .LBB112_355
; %bb.356:
	s_or_b32 exec_lo, exec_lo, s1
.LBB112_357:
	s_delay_alu instid0(SALU_CYCLE_1)
	s_or_b32 exec_lo, exec_lo, s4
	v_mov_b32_e32 v11, 0
	ds_load_b64 v[11:12], v11 offset:96
	s_waitcnt lgkmcnt(0)
	v_mul_f64 v[1:2], v[1:2], v[11:12]
	scratch_store_b64 off, v[1:2], off offset:96
.LBB112_358:
	s_or_b32 exec_lo, exec_lo, s2
	scratch_load_b64 v[1:2], off, off offset:88
	v_cmp_lt_u32_e64 s1, 11, v0
	s_waitcnt vmcnt(0)
	ds_store_b64 v3, v[1:2]
	s_waitcnt lgkmcnt(0)
	s_waitcnt_vscnt null, 0x0
	s_barrier
	buffer_gl0_inv
	s_and_saveexec_b32 s2, s1
	s_cbranch_execz .LBB112_368
; %bb.359:
	s_and_not1_b32 vcc_lo, exec_lo, s3
	s_cbranch_vccnz .LBB112_361
; %bb.360:
	scratch_load_b64 v[1:2], v4, off
	ds_load_b64 v[11:12], v3
	s_waitcnt vmcnt(0) lgkmcnt(0)
	v_mul_f64 v[1:2], v[1:2], v[11:12]
	s_cbranch_execz .LBB112_362
	s_branch .LBB112_363
.LBB112_361:
                                        ; implicit-def: $vgpr1_vgpr2
.LBB112_362:
	ds_load_b64 v[1:2], v3
.LBB112_363:
	s_and_saveexec_b32 s4, s0
	s_cbranch_execz .LBB112_367
; %bb.364:
	v_add_nc_u32_e32 v11, -12, v0
	s_movk_i32 s5, 0x1f0
	s_mov_b32 s0, 0
.LBB112_365:                            ; =>This Inner Loop Header: Depth=1
	scratch_load_b64 v[112:113], v10, off
	v_dual_mov_b32 v12, s5 :: v_dual_add_nc_u32 v11, -1, v11
	v_add_nc_u32_e32 v10, 8, v10
	s_add_i32 s5, s5, 8
	ds_load_b64 v[114:115], v12
	v_cmp_eq_u32_e32 vcc_lo, 0, v11
	s_or_b32 s0, vcc_lo, s0
	s_waitcnt vmcnt(0) lgkmcnt(0)
	v_fma_f64 v[1:2], v[112:113], v[114:115], v[1:2]
	s_and_not1_b32 exec_lo, exec_lo, s0
	s_cbranch_execnz .LBB112_365
; %bb.366:
	s_or_b32 exec_lo, exec_lo, s0
.LBB112_367:
	s_delay_alu instid0(SALU_CYCLE_1)
	s_or_b32 exec_lo, exec_lo, s4
	v_mov_b32_e32 v10, 0
	ds_load_b64 v[10:11], v10 offset:88
	s_waitcnt lgkmcnt(0)
	v_mul_f64 v[1:2], v[1:2], v[10:11]
	scratch_store_b64 off, v[1:2], off offset:88
.LBB112_368:
	s_or_b32 exec_lo, exec_lo, s2
	scratch_load_b64 v[1:2], off, off offset:80
	v_cmp_lt_u32_e64 s0, 10, v0
	s_waitcnt vmcnt(0)
	ds_store_b64 v3, v[1:2]
	s_waitcnt lgkmcnt(0)
	s_waitcnt_vscnt null, 0x0
	s_barrier
	buffer_gl0_inv
	s_and_saveexec_b32 s2, s0
	s_cbranch_execz .LBB112_378
; %bb.369:
	s_and_not1_b32 vcc_lo, exec_lo, s3
	s_cbranch_vccnz .LBB112_371
; %bb.370:
	scratch_load_b64 v[1:2], v4, off
	ds_load_b64 v[10:11], v3
	s_waitcnt vmcnt(0) lgkmcnt(0)
	v_mul_f64 v[1:2], v[1:2], v[10:11]
	s_cbranch_execz .LBB112_372
	s_branch .LBB112_373
.LBB112_371:
                                        ; implicit-def: $vgpr1_vgpr2
.LBB112_372:
	ds_load_b64 v[1:2], v3
.LBB112_373:
	s_and_saveexec_b32 s4, s1
	s_cbranch_execz .LBB112_377
; %bb.374:
	v_dual_mov_b32 v10, 0 :: v_dual_add_nc_u32 v11, -11, v0
	s_movk_i32 s5, 0x1e8
	s_mov_b32 s1, 0
	s_delay_alu instid0(VALU_DEP_1)
	v_add_nc_u32_e32 v10, 0x58, v10
.LBB112_375:                            ; =>This Inner Loop Header: Depth=1
	scratch_load_b64 v[112:113], v10, off
	v_dual_mov_b32 v12, s5 :: v_dual_add_nc_u32 v11, -1, v11
	v_add_nc_u32_e32 v10, 8, v10
	s_add_i32 s5, s5, 8
	ds_load_b64 v[114:115], v12
	v_cmp_eq_u32_e32 vcc_lo, 0, v11
	s_or_b32 s1, vcc_lo, s1
	s_waitcnt vmcnt(0) lgkmcnt(0)
	v_fma_f64 v[1:2], v[112:113], v[114:115], v[1:2]
	s_and_not1_b32 exec_lo, exec_lo, s1
	s_cbranch_execnz .LBB112_375
; %bb.376:
	s_or_b32 exec_lo, exec_lo, s1
.LBB112_377:
	s_delay_alu instid0(SALU_CYCLE_1)
	s_or_b32 exec_lo, exec_lo, s4
	v_mov_b32_e32 v10, 0
	ds_load_b64 v[10:11], v10 offset:80
	s_waitcnt lgkmcnt(0)
	v_mul_f64 v[1:2], v[1:2], v[10:11]
	scratch_store_b64 off, v[1:2], off offset:80
.LBB112_378:
	s_or_b32 exec_lo, exec_lo, s2
	scratch_load_b64 v[1:2], off, off offset:72
	v_cmp_lt_u32_e64 s1, 9, v0
	s_waitcnt vmcnt(0)
	ds_store_b64 v3, v[1:2]
	s_waitcnt lgkmcnt(0)
	s_waitcnt_vscnt null, 0x0
	s_barrier
	buffer_gl0_inv
	s_and_saveexec_b32 s2, s1
	s_cbranch_execz .LBB112_388
; %bb.379:
	s_and_not1_b32 vcc_lo, exec_lo, s3
	s_cbranch_vccnz .LBB112_381
; %bb.380:
	scratch_load_b64 v[1:2], v4, off
	ds_load_b64 v[10:11], v3
	s_waitcnt vmcnt(0) lgkmcnt(0)
	v_mul_f64 v[1:2], v[1:2], v[10:11]
	s_cbranch_execz .LBB112_382
	s_branch .LBB112_383
.LBB112_381:
                                        ; implicit-def: $vgpr1_vgpr2
.LBB112_382:
	ds_load_b64 v[1:2], v3
.LBB112_383:
	s_and_saveexec_b32 s4, s0
	s_cbranch_execz .LBB112_387
; %bb.384:
	v_add_nc_u32_e32 v10, -10, v0
	s_movk_i32 s5, 0x1e0
	s_mov_b32 s0, 0
.LBB112_385:                            ; =>This Inner Loop Header: Depth=1
	scratch_load_b64 v[11:12], v9, off
	v_dual_mov_b32 v112, s5 :: v_dual_add_nc_u32 v9, 8, v9
	v_add_nc_u32_e32 v10, -1, v10
	s_add_i32 s5, s5, 8
	ds_load_b64 v[112:113], v112
	v_cmp_eq_u32_e32 vcc_lo, 0, v10
	s_or_b32 s0, vcc_lo, s0
	s_waitcnt vmcnt(0) lgkmcnt(0)
	v_fma_f64 v[1:2], v[11:12], v[112:113], v[1:2]
	s_and_not1_b32 exec_lo, exec_lo, s0
	s_cbranch_execnz .LBB112_385
; %bb.386:
	s_or_b32 exec_lo, exec_lo, s0
.LBB112_387:
	s_delay_alu instid0(SALU_CYCLE_1)
	s_or_b32 exec_lo, exec_lo, s4
	v_mov_b32_e32 v9, 0
	ds_load_b64 v[9:10], v9 offset:72
	s_waitcnt lgkmcnt(0)
	v_mul_f64 v[1:2], v[1:2], v[9:10]
	scratch_store_b64 off, v[1:2], off offset:72
.LBB112_388:
	s_or_b32 exec_lo, exec_lo, s2
	scratch_load_b64 v[1:2], off, off offset:64
	v_cmp_lt_u32_e64 s0, 8, v0
	s_waitcnt vmcnt(0)
	ds_store_b64 v3, v[1:2]
	s_waitcnt lgkmcnt(0)
	s_waitcnt_vscnt null, 0x0
	s_barrier
	buffer_gl0_inv
	s_and_saveexec_b32 s2, s0
	s_cbranch_execz .LBB112_398
; %bb.389:
	s_and_not1_b32 vcc_lo, exec_lo, s3
	s_cbranch_vccnz .LBB112_391
; %bb.390:
	scratch_load_b64 v[1:2], v4, off
	ds_load_b64 v[9:10], v3
	s_waitcnt vmcnt(0) lgkmcnt(0)
	v_mul_f64 v[1:2], v[1:2], v[9:10]
	s_cbranch_execz .LBB112_392
	s_branch .LBB112_393
.LBB112_391:
                                        ; implicit-def: $vgpr1_vgpr2
.LBB112_392:
	ds_load_b64 v[1:2], v3
.LBB112_393:
	s_and_saveexec_b32 s4, s1
	s_cbranch_execz .LBB112_397
; %bb.394:
	v_dual_mov_b32 v9, 0 :: v_dual_add_nc_u32 v10, -9, v0
	s_movk_i32 s5, 0x1d8
	s_mov_b32 s1, 0
	s_delay_alu instid0(VALU_DEP_1)
	v_add_nc_u32_e32 v9, 0x48, v9
.LBB112_395:                            ; =>This Inner Loop Header: Depth=1
	scratch_load_b64 v[11:12], v9, off
	v_dual_mov_b32 v112, s5 :: v_dual_add_nc_u32 v9, 8, v9
	v_add_nc_u32_e32 v10, -1, v10
	s_add_i32 s5, s5, 8
	ds_load_b64 v[112:113], v112
	v_cmp_eq_u32_e32 vcc_lo, 0, v10
	s_or_b32 s1, vcc_lo, s1
	s_waitcnt vmcnt(0) lgkmcnt(0)
	v_fma_f64 v[1:2], v[11:12], v[112:113], v[1:2]
	s_and_not1_b32 exec_lo, exec_lo, s1
	s_cbranch_execnz .LBB112_395
; %bb.396:
	s_or_b32 exec_lo, exec_lo, s1
.LBB112_397:
	s_delay_alu instid0(SALU_CYCLE_1)
	s_or_b32 exec_lo, exec_lo, s4
	v_mov_b32_e32 v9, 0
	ds_load_b64 v[9:10], v9 offset:64
	s_waitcnt lgkmcnt(0)
	v_mul_f64 v[1:2], v[1:2], v[9:10]
	scratch_store_b64 off, v[1:2], off offset:64
.LBB112_398:
	s_or_b32 exec_lo, exec_lo, s2
	scratch_load_b64 v[1:2], off, off offset:56
	v_cmp_lt_u32_e64 s1, 7, v0
	s_waitcnt vmcnt(0)
	ds_store_b64 v3, v[1:2]
	s_waitcnt lgkmcnt(0)
	s_waitcnt_vscnt null, 0x0
	s_barrier
	buffer_gl0_inv
	s_and_saveexec_b32 s2, s1
	s_cbranch_execz .LBB112_408
; %bb.399:
	s_and_not1_b32 vcc_lo, exec_lo, s3
	s_cbranch_vccnz .LBB112_401
; %bb.400:
	scratch_load_b64 v[1:2], v4, off
	ds_load_b64 v[9:10], v3
	s_waitcnt vmcnt(0) lgkmcnt(0)
	v_mul_f64 v[1:2], v[1:2], v[9:10]
	s_cbranch_execz .LBB112_402
	s_branch .LBB112_403
.LBB112_401:
                                        ; implicit-def: $vgpr1_vgpr2
.LBB112_402:
	ds_load_b64 v[1:2], v3
.LBB112_403:
	s_and_saveexec_b32 s4, s0
	s_cbranch_execz .LBB112_407
; %bb.404:
	v_add_nc_u32_e32 v9, -8, v0
	s_movk_i32 s5, 0x1d0
	s_mov_b32 s0, 0
.LBB112_405:                            ; =>This Inner Loop Header: Depth=1
	scratch_load_b64 v[10:11], v8, off
	v_dual_mov_b32 v12, s5 :: v_dual_add_nc_u32 v9, -1, v9
	v_add_nc_u32_e32 v8, 8, v8
	s_add_i32 s5, s5, 8
	ds_load_b64 v[112:113], v12
	v_cmp_eq_u32_e32 vcc_lo, 0, v9
	s_or_b32 s0, vcc_lo, s0
	s_waitcnt vmcnt(0) lgkmcnt(0)
	v_fma_f64 v[1:2], v[10:11], v[112:113], v[1:2]
	s_and_not1_b32 exec_lo, exec_lo, s0
	s_cbranch_execnz .LBB112_405
; %bb.406:
	s_or_b32 exec_lo, exec_lo, s0
.LBB112_407:
	s_delay_alu instid0(SALU_CYCLE_1)
	s_or_b32 exec_lo, exec_lo, s4
	v_mov_b32_e32 v8, 0
	ds_load_b64 v[8:9], v8 offset:56
	s_waitcnt lgkmcnt(0)
	v_mul_f64 v[1:2], v[1:2], v[8:9]
	scratch_store_b64 off, v[1:2], off offset:56
.LBB112_408:
	s_or_b32 exec_lo, exec_lo, s2
	scratch_load_b64 v[1:2], off, off offset:48
	v_cmp_lt_u32_e64 s0, 6, v0
	s_waitcnt vmcnt(0)
	ds_store_b64 v3, v[1:2]
	s_waitcnt lgkmcnt(0)
	s_waitcnt_vscnt null, 0x0
	s_barrier
	buffer_gl0_inv
	s_and_saveexec_b32 s2, s0
	s_cbranch_execz .LBB112_418
; %bb.409:
	s_and_not1_b32 vcc_lo, exec_lo, s3
	s_cbranch_vccnz .LBB112_411
; %bb.410:
	scratch_load_b64 v[1:2], v4, off
	ds_load_b64 v[8:9], v3
	s_waitcnt vmcnt(0) lgkmcnt(0)
	v_mul_f64 v[1:2], v[1:2], v[8:9]
	s_cbranch_execz .LBB112_412
	s_branch .LBB112_413
.LBB112_411:
                                        ; implicit-def: $vgpr1_vgpr2
.LBB112_412:
	ds_load_b64 v[1:2], v3
.LBB112_413:
	s_and_saveexec_b32 s4, s1
	s_cbranch_execz .LBB112_417
; %bb.414:
	v_add_nc_u32_e64 v8, 0, 56
	v_add_nc_u32_e32 v9, -7, v0
	s_movk_i32 s5, 0x1c8
	s_mov_b32 s1, 0
.LBB112_415:                            ; =>This Inner Loop Header: Depth=1
	scratch_load_b64 v[10:11], v8, off
	v_dual_mov_b32 v12, s5 :: v_dual_add_nc_u32 v9, -1, v9
	v_add_nc_u32_e32 v8, 8, v8
	s_add_i32 s5, s5, 8
	ds_load_b64 v[112:113], v12
	v_cmp_eq_u32_e32 vcc_lo, 0, v9
	s_or_b32 s1, vcc_lo, s1
	s_waitcnt vmcnt(0) lgkmcnt(0)
	v_fma_f64 v[1:2], v[10:11], v[112:113], v[1:2]
	s_and_not1_b32 exec_lo, exec_lo, s1
	s_cbranch_execnz .LBB112_415
; %bb.416:
	s_or_b32 exec_lo, exec_lo, s1
.LBB112_417:
	s_delay_alu instid0(SALU_CYCLE_1)
	s_or_b32 exec_lo, exec_lo, s4
	v_mov_b32_e32 v8, 0
	ds_load_b64 v[8:9], v8 offset:48
	s_waitcnt lgkmcnt(0)
	v_mul_f64 v[1:2], v[1:2], v[8:9]
	scratch_store_b64 off, v[1:2], off offset:48
.LBB112_418:
	s_or_b32 exec_lo, exec_lo, s2
	scratch_load_b64 v[1:2], off, off offset:40
	v_cmp_lt_u32_e64 s1, 5, v0
	s_waitcnt vmcnt(0)
	ds_store_b64 v3, v[1:2]
	s_waitcnt lgkmcnt(0)
	s_waitcnt_vscnt null, 0x0
	s_barrier
	buffer_gl0_inv
	s_and_saveexec_b32 s2, s1
	s_cbranch_execz .LBB112_428
; %bb.419:
	s_and_not1_b32 vcc_lo, exec_lo, s3
	s_cbranch_vccnz .LBB112_421
; %bb.420:
	scratch_load_b64 v[1:2], v4, off
	ds_load_b64 v[8:9], v3
	s_waitcnt vmcnt(0) lgkmcnt(0)
	v_mul_f64 v[1:2], v[1:2], v[8:9]
	s_cbranch_execz .LBB112_422
	s_branch .LBB112_423
.LBB112_421:
                                        ; implicit-def: $vgpr1_vgpr2
.LBB112_422:
	ds_load_b64 v[1:2], v3
.LBB112_423:
	s_and_saveexec_b32 s4, s0
	s_cbranch_execz .LBB112_427
; %bb.424:
	v_add_nc_u32_e32 v8, -6, v0
	s_movk_i32 s5, 0x1c0
	s_mov_b32 s0, 0
.LBB112_425:                            ; =>This Inner Loop Header: Depth=1
	scratch_load_b64 v[9:10], v7, off
	v_dual_mov_b32 v11, s5 :: v_dual_add_nc_u32 v8, -1, v8
	v_add_nc_u32_e32 v7, 8, v7
	s_add_i32 s5, s5, 8
	ds_load_b64 v[11:12], v11
	v_cmp_eq_u32_e32 vcc_lo, 0, v8
	s_or_b32 s0, vcc_lo, s0
	s_waitcnt vmcnt(0) lgkmcnt(0)
	v_fma_f64 v[1:2], v[9:10], v[11:12], v[1:2]
	s_and_not1_b32 exec_lo, exec_lo, s0
	s_cbranch_execnz .LBB112_425
; %bb.426:
	s_or_b32 exec_lo, exec_lo, s0
.LBB112_427:
	s_delay_alu instid0(SALU_CYCLE_1)
	s_or_b32 exec_lo, exec_lo, s4
	v_mov_b32_e32 v7, 0
	ds_load_b64 v[7:8], v7 offset:40
	s_waitcnt lgkmcnt(0)
	v_mul_f64 v[1:2], v[1:2], v[7:8]
	scratch_store_b64 off, v[1:2], off offset:40
.LBB112_428:
	s_or_b32 exec_lo, exec_lo, s2
	scratch_load_b64 v[1:2], off, off offset:32
	v_cmp_lt_u32_e64 s0, 4, v0
	s_waitcnt vmcnt(0)
	ds_store_b64 v3, v[1:2]
	s_waitcnt lgkmcnt(0)
	s_waitcnt_vscnt null, 0x0
	s_barrier
	buffer_gl0_inv
	s_and_saveexec_b32 s2, s0
	s_cbranch_execz .LBB112_438
; %bb.429:
	s_and_not1_b32 vcc_lo, exec_lo, s3
	s_cbranch_vccnz .LBB112_431
; %bb.430:
	scratch_load_b64 v[1:2], v4, off
	ds_load_b64 v[7:8], v3
	s_waitcnt vmcnt(0) lgkmcnt(0)
	v_mul_f64 v[1:2], v[1:2], v[7:8]
	s_cbranch_execz .LBB112_432
	s_branch .LBB112_433
.LBB112_431:
                                        ; implicit-def: $vgpr1_vgpr2
.LBB112_432:
	ds_load_b64 v[1:2], v3
.LBB112_433:
	s_and_saveexec_b32 s4, s1
	s_cbranch_execz .LBB112_437
; %bb.434:
	v_add_nc_u32_e64 v7, 0, 40
	v_add_nc_u32_e32 v8, -5, v0
	s_movk_i32 s5, 0x1b8
	s_mov_b32 s1, 0
.LBB112_435:                            ; =>This Inner Loop Header: Depth=1
	scratch_load_b64 v[9:10], v7, off
	v_dual_mov_b32 v11, s5 :: v_dual_add_nc_u32 v8, -1, v8
	v_add_nc_u32_e32 v7, 8, v7
	s_add_i32 s5, s5, 8
	ds_load_b64 v[11:12], v11
	v_cmp_eq_u32_e32 vcc_lo, 0, v8
	s_or_b32 s1, vcc_lo, s1
	s_waitcnt vmcnt(0) lgkmcnt(0)
	v_fma_f64 v[1:2], v[9:10], v[11:12], v[1:2]
	s_and_not1_b32 exec_lo, exec_lo, s1
	s_cbranch_execnz .LBB112_435
; %bb.436:
	s_or_b32 exec_lo, exec_lo, s1
.LBB112_437:
	s_delay_alu instid0(SALU_CYCLE_1)
	s_or_b32 exec_lo, exec_lo, s4
	v_mov_b32_e32 v7, 0
	ds_load_b64 v[7:8], v7 offset:32
	s_waitcnt lgkmcnt(0)
	v_mul_f64 v[1:2], v[1:2], v[7:8]
	scratch_store_b64 off, v[1:2], off offset:32
.LBB112_438:
	s_or_b32 exec_lo, exec_lo, s2
	scratch_load_b64 v[1:2], off, off offset:24
	v_cmp_lt_u32_e64 s1, 3, v0
	s_waitcnt vmcnt(0)
	ds_store_b64 v3, v[1:2]
	s_waitcnt lgkmcnt(0)
	s_waitcnt_vscnt null, 0x0
	s_barrier
	buffer_gl0_inv
	s_and_saveexec_b32 s2, s1
	s_cbranch_execz .LBB112_448
; %bb.439:
	s_and_not1_b32 vcc_lo, exec_lo, s3
	s_cbranch_vccnz .LBB112_441
; %bb.440:
	scratch_load_b64 v[1:2], v4, off
	ds_load_b64 v[7:8], v3
	s_waitcnt vmcnt(0) lgkmcnt(0)
	v_mul_f64 v[1:2], v[1:2], v[7:8]
	s_cbranch_execz .LBB112_442
	s_branch .LBB112_443
.LBB112_441:
                                        ; implicit-def: $vgpr1_vgpr2
.LBB112_442:
	ds_load_b64 v[1:2], v3
.LBB112_443:
	s_and_saveexec_b32 s4, s0
	s_cbranch_execz .LBB112_447
; %bb.444:
	v_add_nc_u32_e32 v7, -4, v0
	s_movk_i32 s5, 0x1b0
	s_mov_b32 s0, 0
.LBB112_445:                            ; =>This Inner Loop Header: Depth=1
	scratch_load_b64 v[8:9], v6, off
	v_dual_mov_b32 v10, s5 :: v_dual_add_nc_u32 v7, -1, v7
	v_add_nc_u32_e32 v6, 8, v6
	s_add_i32 s5, s5, 8
	ds_load_b64 v[10:11], v10
	v_cmp_eq_u32_e32 vcc_lo, 0, v7
	s_or_b32 s0, vcc_lo, s0
	s_waitcnt vmcnt(0) lgkmcnt(0)
	v_fma_f64 v[1:2], v[8:9], v[10:11], v[1:2]
	s_and_not1_b32 exec_lo, exec_lo, s0
	s_cbranch_execnz .LBB112_445
; %bb.446:
	s_or_b32 exec_lo, exec_lo, s0
.LBB112_447:
	s_delay_alu instid0(SALU_CYCLE_1)
	s_or_b32 exec_lo, exec_lo, s4
	v_mov_b32_e32 v6, 0
	ds_load_b64 v[6:7], v6 offset:24
	s_waitcnt lgkmcnt(0)
	v_mul_f64 v[1:2], v[1:2], v[6:7]
	scratch_store_b64 off, v[1:2], off offset:24
.LBB112_448:
	s_or_b32 exec_lo, exec_lo, s2
	scratch_load_b64 v[1:2], off, off offset:16
	v_cmp_lt_u32_e64 s0, 2, v0
	s_waitcnt vmcnt(0)
	ds_store_b64 v3, v[1:2]
	s_waitcnt lgkmcnt(0)
	s_waitcnt_vscnt null, 0x0
	s_barrier
	buffer_gl0_inv
	s_and_saveexec_b32 s2, s0
	s_cbranch_execz .LBB112_458
; %bb.449:
	s_and_not1_b32 vcc_lo, exec_lo, s3
	s_cbranch_vccnz .LBB112_451
; %bb.450:
	scratch_load_b64 v[1:2], v4, off
	ds_load_b64 v[6:7], v3
	s_waitcnt vmcnt(0) lgkmcnt(0)
	v_mul_f64 v[1:2], v[1:2], v[6:7]
	s_cbranch_execz .LBB112_452
	s_branch .LBB112_453
.LBB112_451:
                                        ; implicit-def: $vgpr1_vgpr2
.LBB112_452:
	ds_load_b64 v[1:2], v3
.LBB112_453:
	s_and_saveexec_b32 s4, s1
	s_cbranch_execz .LBB112_457
; %bb.454:
	v_add_nc_u32_e64 v6, 0, 24
	v_add_nc_u32_e32 v7, -3, v0
	s_movk_i32 s5, 0x1a8
	s_mov_b32 s1, 0
.LBB112_455:                            ; =>This Inner Loop Header: Depth=1
	scratch_load_b64 v[8:9], v6, off
	v_dual_mov_b32 v10, s5 :: v_dual_add_nc_u32 v7, -1, v7
	v_add_nc_u32_e32 v6, 8, v6
	s_add_i32 s5, s5, 8
	ds_load_b64 v[10:11], v10
	v_cmp_eq_u32_e32 vcc_lo, 0, v7
	s_or_b32 s1, vcc_lo, s1
	s_waitcnt vmcnt(0) lgkmcnt(0)
	v_fma_f64 v[1:2], v[8:9], v[10:11], v[1:2]
	s_and_not1_b32 exec_lo, exec_lo, s1
	s_cbranch_execnz .LBB112_455
; %bb.456:
	s_or_b32 exec_lo, exec_lo, s1
.LBB112_457:
	s_delay_alu instid0(SALU_CYCLE_1)
	s_or_b32 exec_lo, exec_lo, s4
	v_mov_b32_e32 v6, 0
	ds_load_b64 v[6:7], v6 offset:16
	s_waitcnt lgkmcnt(0)
	v_mul_f64 v[1:2], v[1:2], v[6:7]
	scratch_store_b64 off, v[1:2], off offset:16
.LBB112_458:
	s_or_b32 exec_lo, exec_lo, s2
	scratch_load_b64 v[1:2], off, off offset:8
	v_cmp_lt_u32_e64 s1, 1, v0
	s_waitcnt vmcnt(0)
	ds_store_b64 v3, v[1:2]
	s_waitcnt lgkmcnt(0)
	s_waitcnt_vscnt null, 0x0
	s_barrier
	buffer_gl0_inv
	s_and_saveexec_b32 s2, s1
	s_cbranch_execz .LBB112_468
; %bb.459:
	s_and_not1_b32 vcc_lo, exec_lo, s3
	s_cbranch_vccnz .LBB112_461
; %bb.460:
	scratch_load_b64 v[1:2], v4, off
	ds_load_b64 v[6:7], v3
	s_waitcnt vmcnt(0) lgkmcnt(0)
	v_mul_f64 v[1:2], v[1:2], v[6:7]
	s_cbranch_execz .LBB112_462
	s_branch .LBB112_463
.LBB112_461:
                                        ; implicit-def: $vgpr1_vgpr2
.LBB112_462:
	ds_load_b64 v[1:2], v3
.LBB112_463:
	s_and_saveexec_b32 s4, s0
	s_cbranch_execz .LBB112_467
; %bb.464:
	v_add_nc_u32_e32 v6, -2, v0
	s_movk_i32 s5, 0x1a0
	s_mov_b32 s0, 0
.LBB112_465:                            ; =>This Inner Loop Header: Depth=1
	scratch_load_b64 v[7:8], v5, off
	v_dual_mov_b32 v9, s5 :: v_dual_add_nc_u32 v6, -1, v6
	v_add_nc_u32_e32 v5, 8, v5
	s_add_i32 s5, s5, 8
	ds_load_b64 v[9:10], v9
	v_cmp_eq_u32_e32 vcc_lo, 0, v6
	s_or_b32 s0, vcc_lo, s0
	s_waitcnt vmcnt(0) lgkmcnt(0)
	v_fma_f64 v[1:2], v[7:8], v[9:10], v[1:2]
	s_and_not1_b32 exec_lo, exec_lo, s0
	s_cbranch_execnz .LBB112_465
; %bb.466:
	s_or_b32 exec_lo, exec_lo, s0
.LBB112_467:
	s_delay_alu instid0(SALU_CYCLE_1)
	s_or_b32 exec_lo, exec_lo, s4
	v_mov_b32_e32 v5, 0
	ds_load_b64 v[5:6], v5 offset:8
	s_waitcnt lgkmcnt(0)
	v_mul_f64 v[1:2], v[1:2], v[5:6]
	scratch_store_b64 off, v[1:2], off offset:8
.LBB112_468:
	s_or_b32 exec_lo, exec_lo, s2
	scratch_load_b64 v[1:2], off, off
	s_mov_b32 s0, 0
	s_mov_b32 s2, exec_lo
	s_waitcnt vmcnt(0)
	ds_store_b64 v3, v[1:2]
	s_waitcnt lgkmcnt(0)
	s_waitcnt_vscnt null, 0x0
	s_barrier
	buffer_gl0_inv
	v_cmpx_ne_u32_e32 0, v0
	s_cbranch_execz .LBB112_478
; %bb.469:
	s_and_not1_b32 vcc_lo, exec_lo, s3
	s_cbranch_vccnz .LBB112_471
; %bb.470:
	scratch_load_b64 v[1:2], v4, off
	ds_load_b64 v[5:6], v3
	s_waitcnt vmcnt(0) lgkmcnt(0)
	v_mul_f64 v[1:2], v[1:2], v[5:6]
	s_cbranch_execz .LBB112_472
	s_branch .LBB112_473
.LBB112_471:
                                        ; implicit-def: $vgpr1_vgpr2
.LBB112_472:
	ds_load_b64 v[1:2], v3
.LBB112_473:
	s_and_saveexec_b32 s4, s1
	s_cbranch_execz .LBB112_477
; %bb.474:
	v_or_b32_e64 v5, 0, 8
	v_add_nc_u32_e32 v6, -1, v0
	s_movk_i32 s5, 0x198
	s_mov_b32 s1, 0
.LBB112_475:                            ; =>This Inner Loop Header: Depth=1
	scratch_load_b64 v[7:8], v5, off
	v_dual_mov_b32 v9, s5 :: v_dual_add_nc_u32 v6, -1, v6
	v_add_nc_u32_e32 v5, 8, v5
	s_add_i32 s5, s5, 8
	ds_load_b64 v[9:10], v9
	v_cmp_eq_u32_e32 vcc_lo, 0, v6
	s_or_b32 s1, vcc_lo, s1
	s_waitcnt vmcnt(0) lgkmcnt(0)
	v_fma_f64 v[1:2], v[7:8], v[9:10], v[1:2]
	s_and_not1_b32 exec_lo, exec_lo, s1
	s_cbranch_execnz .LBB112_475
; %bb.476:
	s_or_b32 exec_lo, exec_lo, s1
.LBB112_477:
	s_delay_alu instid0(SALU_CYCLE_1)
	s_or_b32 exec_lo, exec_lo, s4
	v_mov_b32_e32 v5, 0
	ds_load_b64 v[5:6], v5
	s_waitcnt lgkmcnt(0)
	v_mul_f64 v[1:2], v[1:2], v[5:6]
	scratch_store_b64 off, v[1:2], off
.LBB112_478:
	s_or_b32 exec_lo, exec_lo, s2
.LBB112_479:
	s_delay_alu instid0(SALU_CYCLE_1)
	s_and_b32 vcc_lo, exec_lo, s0
	s_cbranch_vccz .LBB112_955
; %bb.480:
	scratch_load_b64 v[1:2], off, off offset:8
	v_cmp_eq_u32_e64 s0, 0, v0
	s_waitcnt vmcnt(0)
	ds_store_b64 v3, v[1:2]
	s_waitcnt lgkmcnt(0)
	s_waitcnt_vscnt null, 0x0
	s_barrier
	buffer_gl0_inv
	s_and_saveexec_b32 s1, s0
	s_cbranch_execz .LBB112_486
; %bb.481:
	s_and_b32 vcc_lo, exec_lo, s3
	s_cbranch_vccz .LBB112_483
; %bb.482:
	scratch_load_b64 v[1:2], v4, off
	ds_load_b64 v[5:6], v3
	s_waitcnt vmcnt(0) lgkmcnt(0)
	v_mul_f64 v[1:2], v[1:2], v[5:6]
	s_cbranch_execz .LBB112_484
	s_branch .LBB112_485
.LBB112_483:
                                        ; implicit-def: $vgpr1_vgpr2
.LBB112_484:
	ds_load_b64 v[1:2], v3
.LBB112_485:
	v_mov_b32_e32 v5, 0
	ds_load_b64 v[5:6], v5 offset:8
	s_waitcnt lgkmcnt(0)
	v_mul_f64 v[1:2], v[1:2], v[5:6]
	scratch_store_b64 off, v[1:2], off offset:8
.LBB112_486:
	s_or_b32 exec_lo, exec_lo, s1
	scratch_load_b64 v[1:2], off, off offset:16
	v_cndmask_b32_e64 v5, 0, 1, s3
	s_mov_b32 s1, exec_lo
	s_waitcnt vmcnt(0)
	ds_store_b64 v3, v[1:2]
	s_waitcnt lgkmcnt(0)
	s_waitcnt_vscnt null, 0x0
	s_barrier
	buffer_gl0_inv
	v_cmpx_gt_u32_e32 2, v0
	s_cbranch_execz .LBB112_494
; %bb.487:
	s_and_not1_b32 vcc_lo, exec_lo, s3
	s_cbranch_vccnz .LBB112_489
; %bb.488:
	scratch_load_b64 v[1:2], v4, off
	ds_load_b64 v[6:7], v3
	s_waitcnt vmcnt(0) lgkmcnt(0)
	v_mul_f64 v[1:2], v[1:2], v[6:7]
	s_cbranch_execz .LBB112_490
	s_branch .LBB112_491
.LBB112_489:
                                        ; implicit-def: $vgpr1_vgpr2
.LBB112_490:
	ds_load_b64 v[1:2], v3
.LBB112_491:
	s_and_saveexec_b32 s2, s0
	s_cbranch_execz .LBB112_493
; %bb.492:
	scratch_load_b64 v[6:7], v4, off offset:8
	ds_load_b64 v[8:9], v3 offset:8
	s_waitcnt vmcnt(0) lgkmcnt(0)
	v_fma_f64 v[1:2], v[6:7], v[8:9], v[1:2]
.LBB112_493:
	s_or_b32 exec_lo, exec_lo, s2
	v_mov_b32_e32 v6, 0
	ds_load_b64 v[6:7], v6 offset:16
	s_waitcnt lgkmcnt(0)
	v_mul_f64 v[1:2], v[1:2], v[6:7]
	scratch_store_b64 off, v[1:2], off offset:16
.LBB112_494:
	s_or_b32 exec_lo, exec_lo, s1
	scratch_load_b64 v[1:2], off, off offset:24
	s_mov_b32 s1, exec_lo
	s_waitcnt vmcnt(0)
	ds_store_b64 v3, v[1:2]
	s_waitcnt lgkmcnt(0)
	s_waitcnt_vscnt null, 0x0
	s_barrier
	buffer_gl0_inv
	v_cmpx_gt_u32_e32 3, v0
	s_cbranch_execz .LBB112_504
; %bb.495:
	v_cmp_ne_u32_e32 vcc_lo, 1, v5
	s_cbranch_vccnz .LBB112_497
; %bb.496:
	scratch_load_b64 v[1:2], v4, off
	ds_load_b64 v[6:7], v3
	s_waitcnt vmcnt(0) lgkmcnt(0)
	v_mul_f64 v[1:2], v[1:2], v[6:7]
	s_cbranch_execz .LBB112_498
	s_branch .LBB112_499
.LBB112_497:
                                        ; implicit-def: $vgpr1_vgpr2
.LBB112_498:
	ds_load_b64 v[1:2], v3
.LBB112_499:
	s_mov_b32 s2, exec_lo
	v_cmpx_ne_u32_e32 2, v0
	s_cbranch_execz .LBB112_503
; %bb.500:
	scratch_load_b64 v[6:7], v4, off offset:8
	ds_load_b64 v[8:9], v3 offset:8
	s_waitcnt vmcnt(0) lgkmcnt(0)
	v_fma_f64 v[1:2], v[6:7], v[8:9], v[1:2]
	s_and_saveexec_b32 s3, s0
	s_cbranch_execz .LBB112_502
; %bb.501:
	scratch_load_b64 v[6:7], off, off offset:16
	v_mov_b32_e32 v8, 0
	ds_load_b64 v[8:9], v8 offset:416
	s_waitcnt vmcnt(0) lgkmcnt(0)
	v_fma_f64 v[1:2], v[6:7], v[8:9], v[1:2]
.LBB112_502:
	s_or_b32 exec_lo, exec_lo, s3
.LBB112_503:
	s_delay_alu instid0(SALU_CYCLE_1)
	s_or_b32 exec_lo, exec_lo, s2
	v_mov_b32_e32 v6, 0
	ds_load_b64 v[6:7], v6 offset:24
	s_waitcnt lgkmcnt(0)
	v_mul_f64 v[1:2], v[1:2], v[6:7]
	scratch_store_b64 off, v[1:2], off offset:24
.LBB112_504:
	s_or_b32 exec_lo, exec_lo, s1
	scratch_load_b64 v[1:2], off, off offset:32
	s_mov_b32 s0, exec_lo
	s_waitcnt vmcnt(0)
	ds_store_b64 v3, v[1:2]
	s_waitcnt lgkmcnt(0)
	s_waitcnt_vscnt null, 0x0
	s_barrier
	buffer_gl0_inv
	v_cmpx_gt_u32_e32 4, v0
	s_cbranch_execz .LBB112_514
; %bb.505:
	v_cmp_ne_u32_e32 vcc_lo, 1, v5
	s_cbranch_vccnz .LBB112_507
; %bb.506:
	scratch_load_b64 v[1:2], v4, off
	ds_load_b64 v[6:7], v3
	s_waitcnt vmcnt(0) lgkmcnt(0)
	v_mul_f64 v[1:2], v[1:2], v[6:7]
	s_cbranch_execz .LBB112_508
	s_branch .LBB112_509
.LBB112_507:
                                        ; implicit-def: $vgpr1_vgpr2
.LBB112_508:
	ds_load_b64 v[1:2], v3
.LBB112_509:
	s_mov_b32 s1, exec_lo
	v_cmpx_ne_u32_e32 3, v0
	s_cbranch_execz .LBB112_513
; %bb.510:
	v_add_nc_u32_e32 v6, 0x198, v111
	v_add3_u32 v7, 0, v111, 8
	v_mov_b32_e32 v8, v0
	s_mov_b32 s2, 0
.LBB112_511:                            ; =>This Inner Loop Header: Depth=1
	scratch_load_b64 v[9:10], v7, off
	ds_load_b64 v[11:12], v6
	v_add_nc_u32_e32 v8, 1, v8
	v_add_nc_u32_e32 v6, 8, v6
	v_add_nc_u32_e32 v7, 8, v7
	s_delay_alu instid0(VALU_DEP_3)
	v_cmp_lt_u32_e32 vcc_lo, 2, v8
	s_or_b32 s2, vcc_lo, s2
	s_waitcnt vmcnt(0) lgkmcnt(0)
	v_fma_f64 v[1:2], v[9:10], v[11:12], v[1:2]
	s_and_not1_b32 exec_lo, exec_lo, s2
	s_cbranch_execnz .LBB112_511
; %bb.512:
	s_or_b32 exec_lo, exec_lo, s2
.LBB112_513:
	s_delay_alu instid0(SALU_CYCLE_1)
	s_or_b32 exec_lo, exec_lo, s1
	v_mov_b32_e32 v6, 0
	ds_load_b64 v[6:7], v6 offset:32
	s_waitcnt lgkmcnt(0)
	v_mul_f64 v[1:2], v[1:2], v[6:7]
	scratch_store_b64 off, v[1:2], off offset:32
.LBB112_514:
	s_or_b32 exec_lo, exec_lo, s0
	scratch_load_b64 v[1:2], off, off offset:40
	s_mov_b32 s0, exec_lo
	s_waitcnt vmcnt(0)
	ds_store_b64 v3, v[1:2]
	s_waitcnt lgkmcnt(0)
	s_waitcnt_vscnt null, 0x0
	s_barrier
	buffer_gl0_inv
	v_cmpx_gt_u32_e32 5, v0
	s_cbranch_execz .LBB112_524
; %bb.515:
	v_cmp_ne_u32_e32 vcc_lo, 1, v5
	s_cbranch_vccnz .LBB112_517
; %bb.516:
	scratch_load_b64 v[1:2], v4, off
	ds_load_b64 v[6:7], v3
	s_waitcnt vmcnt(0) lgkmcnt(0)
	v_mul_f64 v[1:2], v[1:2], v[6:7]
	s_cbranch_execz .LBB112_518
	s_branch .LBB112_519
.LBB112_517:
                                        ; implicit-def: $vgpr1_vgpr2
.LBB112_518:
	ds_load_b64 v[1:2], v3
.LBB112_519:
	s_mov_b32 s1, exec_lo
	v_cmpx_ne_u32_e32 4, v0
	s_cbranch_execz .LBB112_523
; %bb.520:
	v_add_nc_u32_e32 v6, 0x198, v111
	v_add3_u32 v7, 0, v111, 8
	v_mov_b32_e32 v8, v0
	s_mov_b32 s2, 0
.LBB112_521:                            ; =>This Inner Loop Header: Depth=1
	scratch_load_b64 v[9:10], v7, off
	ds_load_b64 v[11:12], v6
	v_add_nc_u32_e32 v8, 1, v8
	v_add_nc_u32_e32 v6, 8, v6
	v_add_nc_u32_e32 v7, 8, v7
	s_delay_alu instid0(VALU_DEP_3)
	v_cmp_lt_u32_e32 vcc_lo, 3, v8
	s_or_b32 s2, vcc_lo, s2
	s_waitcnt vmcnt(0) lgkmcnt(0)
	v_fma_f64 v[1:2], v[9:10], v[11:12], v[1:2]
	s_and_not1_b32 exec_lo, exec_lo, s2
	s_cbranch_execnz .LBB112_521
; %bb.522:
	s_or_b32 exec_lo, exec_lo, s2
.LBB112_523:
	s_delay_alu instid0(SALU_CYCLE_1)
	s_or_b32 exec_lo, exec_lo, s1
	v_mov_b32_e32 v6, 0
	ds_load_b64 v[6:7], v6 offset:40
	s_waitcnt lgkmcnt(0)
	v_mul_f64 v[1:2], v[1:2], v[6:7]
	scratch_store_b64 off, v[1:2], off offset:40
.LBB112_524:
	;; [unrolled: 58-line block ×43, first 2 shown]
	s_or_b32 exec_lo, exec_lo, s0
	scratch_load_b64 v[1:2], off, off offset:376
	v_cmp_gt_u32_e64 s0, 47, v0
	s_waitcnt vmcnt(0)
	ds_store_b64 v3, v[1:2]
	s_waitcnt lgkmcnt(0)
	s_waitcnt_vscnt null, 0x0
	s_barrier
	buffer_gl0_inv
	s_and_saveexec_b32 s1, s0
	s_cbranch_execz .LBB112_944
; %bb.935:
	v_cmp_ne_u32_e32 vcc_lo, 1, v5
	s_cbranch_vccnz .LBB112_937
; %bb.936:
	scratch_load_b64 v[1:2], v4, off
	ds_load_b64 v[6:7], v3
	s_waitcnt vmcnt(0) lgkmcnt(0)
	v_mul_f64 v[1:2], v[1:2], v[6:7]
	s_cbranch_execz .LBB112_938
	s_branch .LBB112_939
.LBB112_937:
                                        ; implicit-def: $vgpr1_vgpr2
.LBB112_938:
	ds_load_b64 v[1:2], v3
.LBB112_939:
	s_mov_b32 s2, exec_lo
	v_cmpx_ne_u32_e32 46, v0
	s_cbranch_execz .LBB112_943
; %bb.940:
	v_add_nc_u32_e32 v6, 0x198, v111
	v_add3_u32 v7, 0, v111, 8
	v_mov_b32_e32 v8, v0
	s_mov_b32 s3, 0
.LBB112_941:                            ; =>This Inner Loop Header: Depth=1
	scratch_load_b64 v[9:10], v7, off
	ds_load_b64 v[11:12], v6
	v_add_nc_u32_e32 v8, 1, v8
	v_add_nc_u32_e32 v6, 8, v6
	;; [unrolled: 1-line block ×3, first 2 shown]
	s_delay_alu instid0(VALU_DEP_3)
	v_cmp_lt_u32_e32 vcc_lo, 45, v8
	s_or_b32 s3, vcc_lo, s3
	s_waitcnt vmcnt(0) lgkmcnt(0)
	v_fma_f64 v[1:2], v[9:10], v[11:12], v[1:2]
	s_and_not1_b32 exec_lo, exec_lo, s3
	s_cbranch_execnz .LBB112_941
; %bb.942:
	s_or_b32 exec_lo, exec_lo, s3
.LBB112_943:
	s_delay_alu instid0(SALU_CYCLE_1)
	s_or_b32 exec_lo, exec_lo, s2
	v_mov_b32_e32 v6, 0
	ds_load_b64 v[6:7], v6 offset:376
	s_waitcnt lgkmcnt(0)
	v_mul_f64 v[1:2], v[1:2], v[6:7]
	scratch_store_b64 off, v[1:2], off offset:376
.LBB112_944:
	s_or_b32 exec_lo, exec_lo, s1
	scratch_load_b64 v[1:2], off, off offset:384
	s_mov_b32 s1, exec_lo
	s_waitcnt vmcnt(0)
	ds_store_b64 v3, v[1:2]
	s_waitcnt lgkmcnt(0)
	s_waitcnt_vscnt null, 0x0
	s_barrier
	buffer_gl0_inv
	v_cmpx_ne_u32_e32 48, v0
	s_cbranch_execz .LBB112_954
; %bb.945:
	v_cmp_ne_u32_e32 vcc_lo, 1, v5
	s_cbranch_vccnz .LBB112_947
; %bb.946:
	scratch_load_b64 v[1:2], v4, off
	ds_load_b64 v[4:5], v3
	s_waitcnt vmcnt(0) lgkmcnt(0)
	v_mul_f64 v[1:2], v[1:2], v[4:5]
	s_cbranch_execz .LBB112_948
	s_branch .LBB112_949
.LBB112_947:
                                        ; implicit-def: $vgpr1_vgpr2
.LBB112_948:
	ds_load_b64 v[1:2], v3
.LBB112_949:
	s_and_saveexec_b32 s2, s0
	s_cbranch_execz .LBB112_953
; %bb.950:
	v_add_nc_u32_e32 v3, 0x198, v111
	v_add3_u32 v4, 0, v111, 8
	s_mov_b32 s0, 0
.LBB112_951:                            ; =>This Inner Loop Header: Depth=1
	scratch_load_b64 v[5:6], v4, off
	ds_load_b64 v[7:8], v3
	v_add_nc_u32_e32 v0, 1, v0
	v_add_nc_u32_e32 v3, 8, v3
	;; [unrolled: 1-line block ×3, first 2 shown]
	s_delay_alu instid0(VALU_DEP_3)
	v_cmp_lt_u32_e32 vcc_lo, 46, v0
	s_or_b32 s0, vcc_lo, s0
	s_waitcnt vmcnt(0) lgkmcnt(0)
	v_fma_f64 v[1:2], v[5:6], v[7:8], v[1:2]
	s_and_not1_b32 exec_lo, exec_lo, s0
	s_cbranch_execnz .LBB112_951
; %bb.952:
	s_or_b32 exec_lo, exec_lo, s0
.LBB112_953:
	s_delay_alu instid0(SALU_CYCLE_1)
	s_or_b32 exec_lo, exec_lo, s2
	v_mov_b32_e32 v0, 0
	ds_load_b64 v[3:4], v0 offset:384
	s_waitcnt lgkmcnt(0)
	v_mul_f64 v[0:1], v[1:2], v[3:4]
	scratch_store_b64 off, v[0:1], off offset:384
.LBB112_954:
	s_or_b32 exec_lo, exec_lo, s1
.LBB112_955:
	s_clause 0xb
	scratch_load_b128 v[0:3], off, off
	scratch_load_b128 v[4:7], off, off offset:16
	scratch_load_b128 v[8:11], off, off offset:32
	;; [unrolled: 1-line block ×11, first 2 shown]
	s_waitcnt vmcnt(11)
	s_clause 0x1
	global_store_b64 v[31:32], v[0:1], off
	global_store_b64 v[29:30], v[2:3], off
	s_waitcnt vmcnt(10)
	s_clause 0x1
	global_store_b64 v[21:22], v[4:5], off
	global_store_b64 v[17:18], v[6:7], off
	;; [unrolled: 4-line block ×3, first 2 shown]
	scratch_load_b128 v[8:11], off, off offset:240
	s_waitcnt vmcnt(9)
	s_clause 0x1
	global_store_b64 v[19:20], v[111:112], off
	global_store_b64 v[23:24], v[113:114], off
	s_waitcnt vmcnt(8)
	s_clause 0x1
	global_store_b64 v[25:26], v[115:116], off
	global_store_b64 v[27:28], v[117:118], off
	;; [unrolled: 4-line block ×4, first 2 shown]
	s_clause 0xb
	scratch_load_b128 v[0:3], off, off offset:176
	scratch_load_b128 v[29:32], off, off offset:192
	;; [unrolled: 1-line block ×11, first 2 shown]
	scratch_load_b64 v[47:48], off, off offset:384
	s_waitcnt vmcnt(17)
	s_clause 0x1
	global_store_b64 v[33:34], v[127:128], off
	global_store_b64 v[35:36], v[129:130], off
	s_waitcnt vmcnt(16)
	s_clause 0x1
	global_store_b64 v[37:38], v[131:132], off
	global_store_b64 v[39:40], v[133:134], off
	;; [unrolled: 4-line block ×7, first 2 shown]
	global_store_b64 v[69:70], v[143:144], off
	global_store_b64 v[71:72], v[145:146], off
	;; [unrolled: 1-line block ×4, first 2 shown]
	s_waitcnt vmcnt(8)
	s_clause 0x1
	global_store_b64 v[77:78], v[12:13], off
	global_store_b64 v[79:80], v[14:15], off
	s_waitcnt vmcnt(7)
	s_clause 0x1
	global_store_b64 v[81:82], v[16:17], off
	global_store_b64 v[83:84], v[18:19], off
	;; [unrolled: 4-line block ×8, first 2 shown]
	s_waitcnt vmcnt(0)
	global_store_b64 v[109:110], v[47:48], off
.LBB112_956:
	s_endpgm
	.section	.rodata,"a",@progbits
	.p2align	6, 0x0
	.amdhsa_kernel _ZN9rocsolver6v33100L18trti2_kernel_smallILi49EdPKPdEEv13rocblas_fill_17rocblas_diagonal_T1_iil
		.amdhsa_group_segment_fixed_size 792
		.amdhsa_private_segment_fixed_size 400
		.amdhsa_kernarg_size 32
		.amdhsa_user_sgpr_count 15
		.amdhsa_user_sgpr_dispatch_ptr 0
		.amdhsa_user_sgpr_queue_ptr 0
		.amdhsa_user_sgpr_kernarg_segment_ptr 1
		.amdhsa_user_sgpr_dispatch_id 0
		.amdhsa_user_sgpr_private_segment_size 0
		.amdhsa_wavefront_size32 1
		.amdhsa_uses_dynamic_stack 0
		.amdhsa_enable_private_segment 1
		.amdhsa_system_sgpr_workgroup_id_x 1
		.amdhsa_system_sgpr_workgroup_id_y 0
		.amdhsa_system_sgpr_workgroup_id_z 0
		.amdhsa_system_sgpr_workgroup_info 0
		.amdhsa_system_vgpr_workitem_id 0
		.amdhsa_next_free_vgpr 147
		.amdhsa_next_free_sgpr 22
		.amdhsa_reserve_vcc 1
		.amdhsa_float_round_mode_32 0
		.amdhsa_float_round_mode_16_64 0
		.amdhsa_float_denorm_mode_32 3
		.amdhsa_float_denorm_mode_16_64 3
		.amdhsa_dx10_clamp 1
		.amdhsa_ieee_mode 1
		.amdhsa_fp16_overflow 0
		.amdhsa_workgroup_processor_mode 1
		.amdhsa_memory_ordered 1
		.amdhsa_forward_progress 0
		.amdhsa_shared_vgpr_count 0
		.amdhsa_exception_fp_ieee_invalid_op 0
		.amdhsa_exception_fp_denorm_src 0
		.amdhsa_exception_fp_ieee_div_zero 0
		.amdhsa_exception_fp_ieee_overflow 0
		.amdhsa_exception_fp_ieee_underflow 0
		.amdhsa_exception_fp_ieee_inexact 0
		.amdhsa_exception_int_div_zero 0
	.end_amdhsa_kernel
	.section	.text._ZN9rocsolver6v33100L18trti2_kernel_smallILi49EdPKPdEEv13rocblas_fill_17rocblas_diagonal_T1_iil,"axG",@progbits,_ZN9rocsolver6v33100L18trti2_kernel_smallILi49EdPKPdEEv13rocblas_fill_17rocblas_diagonal_T1_iil,comdat
.Lfunc_end112:
	.size	_ZN9rocsolver6v33100L18trti2_kernel_smallILi49EdPKPdEEv13rocblas_fill_17rocblas_diagonal_T1_iil, .Lfunc_end112-_ZN9rocsolver6v33100L18trti2_kernel_smallILi49EdPKPdEEv13rocblas_fill_17rocblas_diagonal_T1_iil
                                        ; -- End function
	.section	.AMDGPU.csdata,"",@progbits
; Kernel info:
; codeLenInByte = 26776
; NumSgprs: 24
; NumVgprs: 147
; ScratchSize: 400
; MemoryBound: 0
; FloatMode: 240
; IeeeMode: 1
; LDSByteSize: 792 bytes/workgroup (compile time only)
; SGPRBlocks: 2
; VGPRBlocks: 18
; NumSGPRsForWavesPerEU: 24
; NumVGPRsForWavesPerEU: 147
; Occupancy: 9
; WaveLimiterHint : 1
; COMPUTE_PGM_RSRC2:SCRATCH_EN: 1
; COMPUTE_PGM_RSRC2:USER_SGPR: 15
; COMPUTE_PGM_RSRC2:TRAP_HANDLER: 0
; COMPUTE_PGM_RSRC2:TGID_X_EN: 1
; COMPUTE_PGM_RSRC2:TGID_Y_EN: 0
; COMPUTE_PGM_RSRC2:TGID_Z_EN: 0
; COMPUTE_PGM_RSRC2:TIDIG_COMP_CNT: 0
	.section	.text._ZN9rocsolver6v33100L18trti2_kernel_smallILi50EdPKPdEEv13rocblas_fill_17rocblas_diagonal_T1_iil,"axG",@progbits,_ZN9rocsolver6v33100L18trti2_kernel_smallILi50EdPKPdEEv13rocblas_fill_17rocblas_diagonal_T1_iil,comdat
	.globl	_ZN9rocsolver6v33100L18trti2_kernel_smallILi50EdPKPdEEv13rocblas_fill_17rocblas_diagonal_T1_iil ; -- Begin function _ZN9rocsolver6v33100L18trti2_kernel_smallILi50EdPKPdEEv13rocblas_fill_17rocblas_diagonal_T1_iil
	.p2align	8
	.type	_ZN9rocsolver6v33100L18trti2_kernel_smallILi50EdPKPdEEv13rocblas_fill_17rocblas_diagonal_T1_iil,@function
_ZN9rocsolver6v33100L18trti2_kernel_smallILi50EdPKPdEEv13rocblas_fill_17rocblas_diagonal_T1_iil: ; @_ZN9rocsolver6v33100L18trti2_kernel_smallILi50EdPKPdEEv13rocblas_fill_17rocblas_diagonal_T1_iil
; %bb.0:
	s_mov_b32 s2, exec_lo
	v_cmpx_gt_u32_e32 50, v0
	s_cbranch_execz .LBB113_976
; %bb.1:
	s_clause 0x1
	s_load_b64 s[4:5], s[0:1], 0x10
	s_load_b128 s[0:3], s[0:1], 0x0
	s_mov_b32 s6, s15
	s_ashr_i32 s7, s15, 31
	v_lshlrev_b32_e32 v103, 3, v0
	s_lshl_b64 s[8:9], s[6:7], 3
	s_waitcnt lgkmcnt(0)
	s_ashr_i32 s7, s4, 31
	s_add_u32 s2, s2, s8
	s_addc_u32 s3, s3, s9
	v_add3_u32 v1, s5, s5, v0
	s_load_b64 s[2:3], s[2:3], 0x0
	s_mov_b32 s6, s4
	s_mov_b32 s8, s5
	s_lshl_b64 s[6:7], s[6:7], 3
	v_add_nc_u32_e32 v3, s5, v1
	v_ashrrev_i32_e32 v2, 31, v1
	s_delay_alu instid0(VALU_DEP_2) | instskip(SKIP_1) | instid1(VALU_DEP_3)
	v_add_nc_u32_e32 v5, s5, v3
	v_ashrrev_i32_e32 v4, 31, v3
	v_lshlrev_b64 v[1:2], 3, v[1:2]
	s_delay_alu instid0(VALU_DEP_3) | instskip(NEXT) | instid1(VALU_DEP_3)
	v_add_nc_u32_e32 v7, s5, v5
	v_lshlrev_b64 v[3:4], 3, v[3:4]
	v_ashrrev_i32_e32 v6, 31, v5
	s_delay_alu instid0(VALU_DEP_3)
	v_add_nc_u32_e32 v9, s5, v7
	s_waitcnt lgkmcnt(0)
	s_add_u32 s2, s2, s6
	s_addc_u32 s3, s3, s7
	v_add_co_u32 v27, s4, s2, v103
	s_ashr_i32 s9, s5, 31
	v_add_co_ci_u32_e64 v28, null, s3, 0, s4
	s_lshl_b64 s[6:7], s[8:9], 3
	v_ashrrev_i32_e32 v8, 31, v7
	v_add_co_u32 v29, vcc_lo, v27, s6
	s_delay_alu instid0(VALU_DEP_3) | instskip(SKIP_1) | instid1(VALU_DEP_4)
	v_add_co_ci_u32_e32 v30, vcc_lo, s7, v28, vcc_lo
	v_add_nc_u32_e32 v11, s5, v9
	v_lshlrev_b64 v[7:8], 3, v[7:8]
	v_add_co_u32 v31, vcc_lo, s2, v1
	v_add_co_ci_u32_e32 v32, vcc_lo, s3, v2, vcc_lo
	v_lshlrev_b64 v[5:6], 3, v[5:6]
	v_ashrrev_i32_e32 v10, 31, v9
	v_add_co_u32 v33, vcc_lo, s2, v3
	v_add_nc_u32_e32 v1, s5, v11
	v_add_co_ci_u32_e32 v34, vcc_lo, s3, v4, vcc_lo
	v_add_co_u32 v19, vcc_lo, s2, v7
	v_add_co_ci_u32_e32 v20, vcc_lo, s3, v8, vcc_lo
	v_lshlrev_b64 v[3:4], 3, v[9:10]
	v_ashrrev_i32_e32 v12, 31, v11
	v_add_co_u32 v23, vcc_lo, s2, v5
	v_add_nc_u32_e32 v5, s5, v1
	s_clause 0x1
	global_load_b64 v[39:40], v103, s[2:3]
	global_load_b64 v[41:42], v[29:30], off
	v_add_co_ci_u32_e32 v24, vcc_lo, s3, v6, vcc_lo
	v_lshlrev_b64 v[7:8], 3, v[11:12]
	v_ashrrev_i32_e32 v2, 31, v1
	v_add_co_u32 v17, vcc_lo, s2, v3
	v_add_nc_u32_e32 v3, s5, v5
	v_add_co_ci_u32_e32 v18, vcc_lo, s3, v4, vcc_lo
	s_delay_alu instid0(VALU_DEP_4) | instskip(SKIP_4) | instid1(VALU_DEP_4)
	v_lshlrev_b64 v[1:2], 3, v[1:2]
	v_ashrrev_i32_e32 v6, 31, v5
	v_add_co_u32 v25, vcc_lo, s2, v7
	v_add_nc_u32_e32 v7, s5, v3
	v_add_co_ci_u32_e32 v26, vcc_lo, s3, v8, vcc_lo
	v_lshlrev_b64 v[5:6], 3, v[5:6]
	v_add_co_u32 v11, vcc_lo, s2, v1
	s_delay_alu instid0(VALU_DEP_4)
	v_add_nc_u32_e32 v1, s5, v7
	v_ashrrev_i32_e32 v4, 31, v3
	s_clause 0x3
	global_load_b64 v[49:50], v[19:20], off
	global_load_b64 v[51:52], v[31:32], off
	;; [unrolled: 1-line block ×4, first 2 shown]
	v_add_co_ci_u32_e32 v12, vcc_lo, s3, v2, vcc_lo
	v_add_co_u32 v15, vcc_lo, s2, v5
	v_add_nc_u32_e32 v5, s5, v1
	v_ashrrev_i32_e32 v8, 31, v7
	v_lshlrev_b64 v[3:4], 3, v[3:4]
	v_add_co_ci_u32_e32 v16, vcc_lo, s3, v6, vcc_lo
	v_ashrrev_i32_e32 v2, 31, v1
	v_ashrrev_i32_e32 v6, 31, v5
	s_clause 0x3
	global_load_b64 v[55:56], v[17:18], off
	global_load_b64 v[57:58], v[25:26], off
	;; [unrolled: 1-line block ×4, first 2 shown]
	v_lshlrev_b64 v[7:8], 3, v[7:8]
	v_add_co_u32 v13, vcc_lo, s2, v3
	v_add_co_ci_u32_e32 v14, vcc_lo, s3, v4, vcc_lo
	v_lshlrev_b64 v[1:2], 3, v[1:2]
	v_lshlrev_b64 v[3:4], 3, v[5:6]
	v_add_nc_u32_e32 v5, s5, v5
	v_add_co_u32 v21, vcc_lo, s2, v7
	v_add_co_ci_u32_e32 v22, vcc_lo, s3, v8, vcc_lo
	s_delay_alu instid0(VALU_DEP_3)
	v_add_nc_u32_e32 v9, s5, v5
	v_add_co_u32 v1, vcc_lo, s2, v1
	v_ashrrev_i32_e32 v6, 31, v5
	v_add_co_ci_u32_e32 v2, vcc_lo, s3, v2, vcc_lo
	v_add_co_u32 v3, vcc_lo, s2, v3
	v_ashrrev_i32_e32 v10, 31, v9
	v_add_co_ci_u32_e32 v4, vcc_lo, s3, v4, vcc_lo
	v_lshlrev_b64 v[5:6], 3, v[5:6]
	s_clause 0x3
	global_load_b64 v[63:64], v[13:14], off
	global_load_b64 v[65:66], v[21:22], off
	;; [unrolled: 1-line block ×4, first 2 shown]
	v_lshlrev_b64 v[7:8], 3, v[9:10]
	v_add_nc_u32_e32 v9, s5, v9
	s_cmpk_lg_i32 s1, 0x84
	v_add_co_u32 v5, vcc_lo, s2, v5
	v_add_co_ci_u32_e32 v6, vcc_lo, s3, v6, vcc_lo
	s_delay_alu instid0(VALU_DEP_4)
	v_add_co_u32 v7, vcc_lo, s2, v7
	v_add_co_ci_u32_e32 v8, vcc_lo, s3, v8, vcc_lo
	s_clause 0x1
	global_load_b64 v[71:72], v[5:6], off
	global_load_b64 v[73:74], v[7:8], off
	v_add_nc_u32_e32 v35, s5, v9
	v_ashrrev_i32_e32 v10, 31, v9
	s_delay_alu instid0(VALU_DEP_2) | instskip(NEXT) | instid1(VALU_DEP_2)
	v_add_nc_u32_e32 v37, s5, v35
	v_lshlrev_b64 v[9:10], 3, v[9:10]
	v_ashrrev_i32_e32 v36, 31, v35
	s_delay_alu instid0(VALU_DEP_3) | instskip(SKIP_1) | instid1(VALU_DEP_3)
	v_add_nc_u32_e32 v43, s5, v37
	v_ashrrev_i32_e32 v38, 31, v37
	v_lshlrev_b64 v[77:78], 3, v[35:36]
	v_add_co_u32 v35, vcc_lo, s2, v9
	s_delay_alu instid0(VALU_DEP_4) | instskip(SKIP_3) | instid1(VALU_DEP_4)
	v_add_nc_u32_e32 v45, s5, v43
	v_ashrrev_i32_e32 v44, 31, v43
	v_add_co_ci_u32_e32 v36, vcc_lo, s3, v10, vcc_lo
	v_lshlrev_b64 v[82:83], 3, v[37:38]
	v_add_nc_u32_e32 v79, s5, v45
	v_ashrrev_i32_e32 v46, 31, v45
	s_delay_alu instid0(VALU_DEP_2) | instskip(SKIP_1) | instid1(VALU_DEP_2)
	v_add_nc_u32_e32 v81, s5, v79
	v_ashrrev_i32_e32 v80, 31, v79
	v_add_nc_u32_e32 v87, s5, v81
	s_delay_alu instid0(VALU_DEP_1) | instskip(SKIP_1) | instid1(VALU_DEP_2)
	v_add_nc_u32_e32 v89, s5, v87
	v_ashrrev_i32_e32 v88, 31, v87
	v_add_nc_u32_e32 v91, s5, v89
	v_ashrrev_i32_e32 v90, 31, v89
	s_delay_alu instid0(VALU_DEP_2) | instskip(NEXT) | instid1(VALU_DEP_1)
	v_add_nc_u32_e32 v95, s5, v91
	v_add_nc_u32_e32 v97, s5, v95
	v_ashrrev_i32_e32 v96, 31, v95
	s_delay_alu instid0(VALU_DEP_2) | instskip(SKIP_1) | instid1(VALU_DEP_2)
	v_add_nc_u32_e32 v99, s5, v97
	v_ashrrev_i32_e32 v98, 31, v97
	v_add_nc_u32_e32 v101, s5, v99
	v_ashrrev_i32_e32 v100, 31, v99
	s_delay_alu instid0(VALU_DEP_2) | instskip(SKIP_1) | instid1(VALU_DEP_2)
	v_add_nc_u32_e32 v104, s5, v101
	v_ashrrev_i32_e32 v102, 31, v101
	;; [unrolled: 5-line block ×11, first 2 shown]
	v_add_nc_u32_e32 v75, s5, v144
	v_ashrrev_i32_e32 v145, 31, v144
	s_delay_alu instid0(VALU_DEP_2) | instskip(NEXT) | instid1(VALU_DEP_1)
	v_ashrrev_i32_e32 v76, 31, v75
	v_lshlrev_b64 v[75:76], 3, v[75:76]
	s_delay_alu instid0(VALU_DEP_1) | instskip(NEXT) | instid1(VALU_DEP_2)
	v_add_co_u32 v9, vcc_lo, s2, v75
	v_add_co_ci_u32_e32 v10, vcc_lo, s3, v76, vcc_lo
	v_add_co_u32 v37, vcc_lo, s2, v77
	v_add_co_ci_u32_e32 v38, vcc_lo, s3, v78, vcc_lo
	s_clause 0x2
	global_load_b64 v[106:107], v[9:10], off
	global_load_b64 v[75:76], v[35:36], off
	;; [unrolled: 1-line block ×3, first 2 shown]
	s_waitcnt vmcnt(17)
	scratch_store_b128 off, v[39:42], off
	v_lshlrev_b64 v[41:42], 3, v[43:44]
	v_add_co_u32 v39, vcc_lo, s2, v82
	v_lshlrev_b64 v[43:44], 3, v[45:46]
	v_ashrrev_i32_e32 v82, 31, v81
	v_add_co_ci_u32_e32 v40, vcc_lo, s3, v83, vcc_lo
	v_add_co_u32 v41, vcc_lo, s2, v41
	v_lshlrev_b64 v[45:46], 3, v[79:80]
	v_add_co_ci_u32_e32 v42, vcc_lo, s3, v42, vcc_lo
	v_add_co_u32 v43, vcc_lo, s2, v43
	v_lshlrev_b64 v[92:93], 3, v[81:82]
	v_add_co_ci_u32_e32 v44, vcc_lo, s3, v44, vcc_lo
	v_add_co_u32 v45, vcc_lo, s2, v45
	v_add_co_ci_u32_e32 v46, vcc_lo, s3, v46, vcc_lo
	s_waitcnt vmcnt(14)
	scratch_store_b128 off, v[51:54], off offset:16
	s_waitcnt vmcnt(13)
	scratch_store_b128 off, v[47:50], off offset:32
	v_lshlrev_b64 v[49:50], 3, v[87:88]
	v_add_co_u32 v47, vcc_lo, s2, v92
	v_ashrrev_i32_e32 v92, 31, v91
	v_lshlrev_b64 v[51:52], 3, v[89:90]
	s_clause 0x3
	global_load_b64 v[79:80], v[39:40], off
	global_load_b64 v[81:82], v[41:42], off
	;; [unrolled: 1-line block ×4, first 2 shown]
	v_add_co_ci_u32_e32 v48, vcc_lo, s3, v93, vcc_lo
	v_add_co_u32 v49, vcc_lo, s2, v49
	v_lshlrev_b64 v[53:54], 3, v[91:92]
	v_add_co_ci_u32_e32 v50, vcc_lo, s3, v50, vcc_lo
	v_add_co_u32 v51, vcc_lo, s2, v51
	s_waitcnt vmcnt(15)
	scratch_store_b128 off, v[55:58], off offset:48
	s_waitcnt vmcnt(13)
	scratch_store_b128 off, v[59:62], off offset:64
	v_lshlrev_b64 v[55:56], 3, v[95:96]
	v_add_co_ci_u32_e32 v52, vcc_lo, s3, v52, vcc_lo
	v_add_co_u32 v53, vcc_lo, s2, v53
	v_lshlrev_b64 v[57:58], 3, v[97:98]
	v_add_co_ci_u32_e32 v54, vcc_lo, s3, v54, vcc_lo
	v_add_co_u32 v55, vcc_lo, s2, v55
	v_lshlrev_b64 v[59:60], 3, v[99:100]
	s_clause 0x3
	global_load_b64 v[87:88], v[47:48], off
	global_load_b64 v[89:90], v[49:50], off
	;; [unrolled: 1-line block ×4, first 2 shown]
	v_add_co_ci_u32_e32 v56, vcc_lo, s3, v56, vcc_lo
	v_add_co_u32 v57, vcc_lo, s2, v57
	v_lshlrev_b64 v[61:62], 3, v[101:102]
	v_add_co_ci_u32_e32 v58, vcc_lo, s3, v58, vcc_lo
	v_add_co_u32 v59, vcc_lo, s2, v59
	v_add_co_ci_u32_e32 v60, vcc_lo, s3, v60, vcc_lo
	s_delay_alu instid0(VALU_DEP_4)
	v_add_co_u32 v61, vcc_lo, s2, v61
	s_waitcnt vmcnt(15)
	scratch_store_b128 off, v[63:66], off offset:80
	s_waitcnt vmcnt(13)
	scratch_store_b128 off, v[67:70], off offset:96
	v_lshlrev_b64 v[63:64], 3, v[104:105]
	v_add_co_ci_u32_e32 v62, vcc_lo, s3, v62, vcc_lo
	s_clause 0x3
	global_load_b64 v[95:96], v[55:56], off
	global_load_b64 v[97:98], v[57:58], off
	;; [unrolled: 1-line block ×4, first 2 shown]
	v_lshlrev_b64 v[65:66], 3, v[108:109]
	v_lshlrev_b64 v[67:68], 3, v[112:113]
	v_add_co_u32 v63, vcc_lo, s2, v63
	v_add_co_ci_u32_e32 v64, vcc_lo, s3, v64, vcc_lo
	s_delay_alu instid0(VALU_DEP_4)
	v_add_co_u32 v65, vcc_lo, s2, v65
	v_add_co_ci_u32_e32 v66, vcc_lo, s3, v66, vcc_lo
	s_waitcnt vmcnt(15)
	scratch_store_b128 off, v[71:74], off offset:112
	s_clause 0x1
	global_load_b64 v[108:109], v[63:64], off
	global_load_b64 v[110:111], v[65:66], off
	v_lshlrev_b64 v[69:70], 3, v[114:115]
	v_add_co_u32 v67, vcc_lo, s2, v67
	v_lshlrev_b64 v[71:72], 3, v[116:117]
	v_add_co_ci_u32_e32 v68, vcc_lo, s3, v68, vcc_lo
	s_delay_alu instid0(VALU_DEP_4) | instskip(SKIP_4) | instid1(VALU_DEP_4)
	v_add_co_u32 v69, vcc_lo, s2, v69
	v_lshlrev_b64 v[73:74], 3, v[118:119]
	v_add_co_ci_u32_e32 v70, vcc_lo, s3, v70, vcc_lo
	v_add_co_u32 v71, vcc_lo, s2, v71
	v_add_co_ci_u32_e32 v72, vcc_lo, s3, v72, vcc_lo
	v_add_co_u32 v73, vcc_lo, s2, v73
	v_add_co_ci_u32_e32 v74, vcc_lo, s3, v74, vcc_lo
	v_lshlrev_b64 v[104:105], 3, v[124:125]
	global_load_b64 v[112:113], v[67:68], off
	s_waitcnt vmcnt(15)
	scratch_store_b128 off, v[75:78], off offset:128
	v_lshlrev_b64 v[75:76], 3, v[120:121]
	v_lshlrev_b64 v[77:78], 3, v[122:123]
	s_waitcnt vmcnt(13)
	scratch_store_b128 off, v[79:82], off offset:144
	s_waitcnt vmcnt(11)
	scratch_store_b128 off, v[83:86], off offset:160
	v_add_co_u32 v75, vcc_lo, s2, v75
	v_add_co_ci_u32_e32 v76, vcc_lo, s3, v76, vcc_lo
	v_add_co_u32 v77, vcc_lo, s2, v77
	v_lshlrev_b64 v[81:82], 3, v[126:127]
	v_add_co_ci_u32_e32 v78, vcc_lo, s3, v78, vcc_lo
	v_add_co_u32 v79, vcc_lo, s2, v104
	v_lshlrev_b64 v[83:84], 3, v[128:129]
	;; [unrolled: 3-line block ×4, first 2 shown]
	v_add_co_ci_u32_e32 v84, vcc_lo, s3, v84, vcc_lo
	s_clause 0x3
	global_load_b64 v[114:115], v[69:70], off
	global_load_b64 v[116:117], v[71:72], off
	;; [unrolled: 1-line block ×4, first 2 shown]
	s_waitcnt vmcnt(13)
	scratch_store_b128 off, v[87:90], off offset:176
	s_waitcnt vmcnt(11)
	scratch_store_b128 off, v[91:94], off offset:192
	v_add_co_u32 v85, vcc_lo, s2, v85
	v_lshlrev_b64 v[89:90], 3, v[134:135]
	v_add_co_ci_u32_e32 v86, vcc_lo, s3, v86, vcc_lo
	v_add_co_u32 v87, vcc_lo, s2, v104
	v_lshlrev_b64 v[91:92], 3, v[136:137]
	v_add_co_ci_u32_e32 v88, vcc_lo, s3, v105, vcc_lo
	;; [unrolled: 3-line block ×4, first 2 shown]
	s_clause 0x3
	global_load_b64 v[122:123], v[77:78], off
	global_load_b64 v[124:125], v[79:80], off
	;; [unrolled: 1-line block ×4, first 2 shown]
	s_waitcnt vmcnt(13)
	scratch_store_b128 off, v[95:98], off offset:208
	s_waitcnt vmcnt(11)
	scratch_store_b128 off, v[99:102], off offset:224
	v_add_co_u32 v93, vcc_lo, s2, v93
	v_lshlrev_b64 v[95:96], 3, v[142:143]
	v_add_co_ci_u32_e32 v94, vcc_lo, s3, v94, vcc_lo
	v_add_co_u32 v97, vcc_lo, s2, v104
	v_lshlrev_b64 v[101:102], 3, v[144:145]
	v_add_co_ci_u32_e32 v98, vcc_lo, s3, v105, vcc_lo
	v_add_co_u32 v99, vcc_lo, s2, v95
	v_add_co_ci_u32_e32 v100, vcc_lo, s3, v96, vcc_lo
	s_delay_alu instid0(VALU_DEP_4)
	v_add_co_u32 v95, vcc_lo, s2, v101
	v_add_co_ci_u32_e32 v96, vcc_lo, s3, v102, vcc_lo
	s_clause 0x3
	global_load_b64 v[130:131], v[85:86], off
	global_load_b64 v[132:133], v[87:88], off
	;; [unrolled: 1-line block ×4, first 2 shown]
	s_waitcnt vmcnt(13)
	scratch_store_b128 off, v[108:111], off offset:240
	s_clause 0x3
	global_load_b64 v[138:139], v[93:94], off
	global_load_b64 v[108:109], v[97:98], off
	global_load_b64 v[110:111], v[99:100], off
	global_load_b64 v[104:105], v[95:96], off
	v_mov_b32_e32 v101, 0
	v_mov_b32_e32 v102, 0xbff00000
	s_cselect_b32 s2, -1, 0
	s_cmpk_eq_i32 s1, 0x84
	s_waitcnt vmcnt(15)
	scratch_store_b128 off, v[112:115], off offset:256
	s_waitcnt vmcnt(13)
	scratch_store_b128 off, v[116:119], off offset:272
	;; [unrolled: 2-line block ×9, first 2 shown]
	s_cbranch_scc1 .LBB113_3
; %bb.2:
	scratch_load_b64 v[101:102], v103, off
	s_waitcnt vmcnt(0)
	v_div_scale_f64 v[104:105], null, v[101:102], v[101:102], 1.0
	v_div_scale_f64 v[110:111], vcc_lo, 1.0, v[101:102], 1.0
	s_delay_alu instid0(VALU_DEP_2) | instskip(SKIP_2) | instid1(VALU_DEP_1)
	v_rcp_f64_e32 v[106:107], v[104:105]
	s_waitcnt_depctr 0xfff
	v_fma_f64 v[108:109], -v[104:105], v[106:107], 1.0
	v_fma_f64 v[106:107], v[106:107], v[108:109], v[106:107]
	s_delay_alu instid0(VALU_DEP_1) | instskip(NEXT) | instid1(VALU_DEP_1)
	v_fma_f64 v[108:109], -v[104:105], v[106:107], 1.0
	v_fma_f64 v[106:107], v[106:107], v[108:109], v[106:107]
	s_delay_alu instid0(VALU_DEP_1) | instskip(NEXT) | instid1(VALU_DEP_1)
	v_mul_f64 v[108:109], v[110:111], v[106:107]
	v_fma_f64 v[104:105], -v[104:105], v[108:109], v[110:111]
	s_delay_alu instid0(VALU_DEP_1) | instskip(NEXT) | instid1(VALU_DEP_1)
	v_div_fmas_f64 v[104:105], v[104:105], v[106:107], v[108:109]
	v_div_fixup_f64 v[101:102], v[104:105], v[101:102], 1.0
	scratch_store_b64 v103, v[101:102], off
	v_xor_b32_e32 v102, 0x80000000, v102
.LBB113_3:
	v_add_nc_u32_e32 v104, 0x190, v103
	v_add_nc_u32_e32 v105, 0, v103
	s_cmpk_eq_i32 s0, 0x79
	s_mov_b32 s0, -1
	ds_store_b64 v103, v[101:102]
	s_cbranch_scc1 .LBB113_489
; %bb.4:
	scratch_load_b64 v[101:102], off, off offset:384
	v_cmp_eq_u32_e64 s0, 49, v0
	s_movk_i32 s1, 0x50
	s_movk_i32 s3, 0x60
	;; [unrolled: 1-line block ×19, first 2 shown]
	s_waitcnt vmcnt(0)
	ds_store_b64 v104, v[101:102]
	s_waitcnt lgkmcnt(0)
	s_waitcnt_vscnt null, 0x0
	s_barrier
	buffer_gl0_inv
	s_and_saveexec_b32 s21, s0
	s_cbranch_execz .LBB113_10
; %bb.5:
	s_and_b32 vcc_lo, exec_lo, s2
	s_cbranch_vccz .LBB113_7
; %bb.6:
	scratch_load_b64 v[101:102], v105, off
	ds_load_b64 v[106:107], v104
	s_waitcnt vmcnt(0) lgkmcnt(0)
	v_mul_f64 v[101:102], v[101:102], v[106:107]
	s_cbranch_execz .LBB113_8
	s_branch .LBB113_9
.LBB113_7:
                                        ; implicit-def: $vgpr101_vgpr102
.LBB113_8:
	ds_load_b64 v[101:102], v104
.LBB113_9:
	v_mov_b32_e32 v106, 0
	ds_load_b64 v[106:107], v106 offset:384
	s_waitcnt lgkmcnt(0)
	v_mul_f64 v[101:102], v[101:102], v[106:107]
	scratch_store_b64 off, v[101:102], off offset:384
.LBB113_10:
	s_or_b32 exec_lo, exec_lo, s21
	scratch_load_b64 v[101:102], off, off offset:376
	v_add_nc_u32_e64 v106, 0, 16
	v_add_nc_u32_e64 v107, 0, 32
	;; [unrolled: 1-line block ×23, first 2 shown]
	v_cmp_lt_u32_e64 s1, 47, v0
	s_waitcnt vmcnt(0)
	ds_store_b64 v104, v[101:102]
	s_waitcnt lgkmcnt(0)
	s_waitcnt_vscnt null, 0x0
	s_barrier
	buffer_gl0_inv
	s_and_saveexec_b32 s3, s1
	s_cbranch_execz .LBB113_18
; %bb.11:
	s_and_not1_b32 vcc_lo, exec_lo, s2
	s_cbranch_vccnz .LBB113_13
; %bb.12:
	scratch_load_b64 v[101:102], v105, off
	ds_load_b64 v[129:130], v104
	s_waitcnt vmcnt(0) lgkmcnt(0)
	v_mul_f64 v[101:102], v[101:102], v[129:130]
	s_cbranch_execz .LBB113_14
	s_branch .LBB113_15
.LBB113_13:
                                        ; implicit-def: $vgpr101_vgpr102
.LBB113_14:
	ds_load_b64 v[101:102], v104
.LBB113_15:
	s_and_saveexec_b32 s4, s0
	s_cbranch_execz .LBB113_17
; %bb.16:
	scratch_load_b64 v[129:130], off, off offset:384
	v_mov_b32_e32 v131, 0
	ds_load_b64 v[131:132], v131 offset:784
	s_waitcnt vmcnt(0) lgkmcnt(0)
	v_fma_f64 v[101:102], v[129:130], v[131:132], v[101:102]
.LBB113_17:
	s_or_b32 exec_lo, exec_lo, s4
	v_mov_b32_e32 v129, 0
	ds_load_b64 v[129:130], v129 offset:376
	s_waitcnt lgkmcnt(0)
	v_mul_f64 v[101:102], v[101:102], v[129:130]
	scratch_store_b64 off, v[101:102], off offset:376
.LBB113_18:
	s_or_b32 exec_lo, exec_lo, s3
	scratch_load_b64 v[101:102], off, off offset:368
	v_cmp_lt_u32_e64 s0, 46, v0
	s_waitcnt vmcnt(0)
	ds_store_b64 v104, v[101:102]
	s_waitcnt lgkmcnt(0)
	s_waitcnt_vscnt null, 0x0
	s_barrier
	buffer_gl0_inv
	s_and_saveexec_b32 s3, s0
	s_cbranch_execz .LBB113_28
; %bb.19:
	s_and_not1_b32 vcc_lo, exec_lo, s2
	s_cbranch_vccnz .LBB113_21
; %bb.20:
	scratch_load_b64 v[101:102], v105, off
	ds_load_b64 v[129:130], v104
	s_waitcnt vmcnt(0) lgkmcnt(0)
	v_mul_f64 v[101:102], v[101:102], v[129:130]
	s_cbranch_execz .LBB113_22
	s_branch .LBB113_23
.LBB113_21:
                                        ; implicit-def: $vgpr101_vgpr102
.LBB113_22:
	ds_load_b64 v[101:102], v104
.LBB113_23:
	s_and_saveexec_b32 s4, s1
	s_cbranch_execz .LBB113_27
; %bb.24:
	v_mov_b32_e32 v129, 0
	v_subrev_nc_u32_e32 v130, 47, v0
	s_movk_i32 s5, 0x308
	s_mov_b32 s1, 0
	s_delay_alu instid0(VALU_DEP_2)
	v_add_nc_u32_e32 v129, 0x178, v129
.LBB113_25:                             ; =>This Inner Loop Header: Depth=1
	scratch_load_b64 v[131:132], v129, off
	v_dual_mov_b32 v133, s5 :: v_dual_add_nc_u32 v130, -1, v130
	v_add_nc_u32_e32 v129, 8, v129
	s_add_i32 s5, s5, 8
	ds_load_b64 v[133:134], v133
	v_cmp_eq_u32_e32 vcc_lo, 0, v130
	s_or_b32 s1, vcc_lo, s1
	s_waitcnt vmcnt(0) lgkmcnt(0)
	v_fma_f64 v[101:102], v[131:132], v[133:134], v[101:102]
	s_and_not1_b32 exec_lo, exec_lo, s1
	s_cbranch_execnz .LBB113_25
; %bb.26:
	s_or_b32 exec_lo, exec_lo, s1
.LBB113_27:
	s_delay_alu instid0(SALU_CYCLE_1)
	s_or_b32 exec_lo, exec_lo, s4
	v_mov_b32_e32 v129, 0
	ds_load_b64 v[129:130], v129 offset:368
	s_waitcnt lgkmcnt(0)
	v_mul_f64 v[101:102], v[101:102], v[129:130]
	scratch_store_b64 off, v[101:102], off offset:368
.LBB113_28:
	s_or_b32 exec_lo, exec_lo, s3
	scratch_load_b64 v[101:102], off, off offset:360
	v_cmp_lt_u32_e64 s1, 45, v0
	s_waitcnt vmcnt(0)
	ds_store_b64 v104, v[101:102]
	s_waitcnt lgkmcnt(0)
	s_waitcnt_vscnt null, 0x0
	s_barrier
	buffer_gl0_inv
	s_and_saveexec_b32 s3, s1
	s_cbranch_execz .LBB113_38
; %bb.29:
	s_and_not1_b32 vcc_lo, exec_lo, s2
	s_cbranch_vccnz .LBB113_31
; %bb.30:
	scratch_load_b64 v[101:102], v105, off
	ds_load_b64 v[129:130], v104
	s_waitcnt vmcnt(0) lgkmcnt(0)
	v_mul_f64 v[101:102], v[101:102], v[129:130]
	s_cbranch_execz .LBB113_32
	s_branch .LBB113_33
.LBB113_31:
                                        ; implicit-def: $vgpr101_vgpr102
.LBB113_32:
	ds_load_b64 v[101:102], v104
.LBB113_33:
	s_and_saveexec_b32 s4, s0
	s_cbranch_execz .LBB113_37
; %bb.34:
	v_subrev_nc_u32_e32 v129, 46, v0
	s_movk_i32 s5, 0x300
	s_mov_b32 s0, 0
.LBB113_35:                             ; =>This Inner Loop Header: Depth=1
	scratch_load_b64 v[130:131], v128, off
	v_dual_mov_b32 v132, s5 :: v_dual_add_nc_u32 v129, -1, v129
	v_add_nc_u32_e32 v128, 8, v128
	s_add_i32 s5, s5, 8
	ds_load_b64 v[132:133], v132
	v_cmp_eq_u32_e32 vcc_lo, 0, v129
	s_or_b32 s0, vcc_lo, s0
	s_waitcnt vmcnt(0) lgkmcnt(0)
	v_fma_f64 v[101:102], v[130:131], v[132:133], v[101:102]
	s_and_not1_b32 exec_lo, exec_lo, s0
	s_cbranch_execnz .LBB113_35
; %bb.36:
	s_or_b32 exec_lo, exec_lo, s0
.LBB113_37:
	s_delay_alu instid0(SALU_CYCLE_1)
	s_or_b32 exec_lo, exec_lo, s4
	v_mov_b32_e32 v128, 0
	ds_load_b64 v[128:129], v128 offset:360
	s_waitcnt lgkmcnt(0)
	v_mul_f64 v[101:102], v[101:102], v[128:129]
	scratch_store_b64 off, v[101:102], off offset:360
.LBB113_38:
	s_or_b32 exec_lo, exec_lo, s3
	scratch_load_b64 v[101:102], off, off offset:352
	v_cmp_lt_u32_e64 s0, 44, v0
	s_waitcnt vmcnt(0)
	ds_store_b64 v104, v[101:102]
	s_waitcnt lgkmcnt(0)
	s_waitcnt_vscnt null, 0x0
	s_barrier
	buffer_gl0_inv
	s_and_saveexec_b32 s3, s0
	s_cbranch_execz .LBB113_48
; %bb.39:
	s_and_not1_b32 vcc_lo, exec_lo, s2
	s_cbranch_vccnz .LBB113_41
; %bb.40:
	scratch_load_b64 v[101:102], v105, off
	ds_load_b64 v[128:129], v104
	s_waitcnt vmcnt(0) lgkmcnt(0)
	v_mul_f64 v[101:102], v[101:102], v[128:129]
	s_cbranch_execz .LBB113_42
	s_branch .LBB113_43
.LBB113_41:
                                        ; implicit-def: $vgpr101_vgpr102
.LBB113_42:
	ds_load_b64 v[101:102], v104
.LBB113_43:
	s_and_saveexec_b32 s4, s1
	s_cbranch_execz .LBB113_47
; %bb.44:
	v_mov_b32_e32 v128, 0
	v_subrev_nc_u32_e32 v129, 45, v0
	s_movk_i32 s5, 0x2f8
	s_mov_b32 s1, 0
	s_delay_alu instid0(VALU_DEP_2)
	v_add_nc_u32_e32 v128, 0x168, v128
.LBB113_45:                             ; =>This Inner Loop Header: Depth=1
	scratch_load_b64 v[130:131], v128, off
	v_dual_mov_b32 v132, s5 :: v_dual_add_nc_u32 v129, -1, v129
	v_add_nc_u32_e32 v128, 8, v128
	s_add_i32 s5, s5, 8
	ds_load_b64 v[132:133], v132
	v_cmp_eq_u32_e32 vcc_lo, 0, v129
	s_or_b32 s1, vcc_lo, s1
	s_waitcnt vmcnt(0) lgkmcnt(0)
	v_fma_f64 v[101:102], v[130:131], v[132:133], v[101:102]
	s_and_not1_b32 exec_lo, exec_lo, s1
	s_cbranch_execnz .LBB113_45
; %bb.46:
	s_or_b32 exec_lo, exec_lo, s1
.LBB113_47:
	s_delay_alu instid0(SALU_CYCLE_1)
	s_or_b32 exec_lo, exec_lo, s4
	v_mov_b32_e32 v128, 0
	ds_load_b64 v[128:129], v128 offset:352
	s_waitcnt lgkmcnt(0)
	v_mul_f64 v[101:102], v[101:102], v[128:129]
	scratch_store_b64 off, v[101:102], off offset:352
.LBB113_48:
	s_or_b32 exec_lo, exec_lo, s3
	scratch_load_b64 v[101:102], off, off offset:344
	v_cmp_lt_u32_e64 s1, 43, v0
	s_waitcnt vmcnt(0)
	ds_store_b64 v104, v[101:102]
	s_waitcnt lgkmcnt(0)
	s_waitcnt_vscnt null, 0x0
	s_barrier
	buffer_gl0_inv
	s_and_saveexec_b32 s3, s1
	s_cbranch_execz .LBB113_58
; %bb.49:
	s_and_not1_b32 vcc_lo, exec_lo, s2
	s_cbranch_vccnz .LBB113_51
; %bb.50:
	scratch_load_b64 v[101:102], v105, off
	ds_load_b64 v[128:129], v104
	s_waitcnt vmcnt(0) lgkmcnt(0)
	v_mul_f64 v[101:102], v[101:102], v[128:129]
	s_cbranch_execz .LBB113_52
	s_branch .LBB113_53
.LBB113_51:
                                        ; implicit-def: $vgpr101_vgpr102
.LBB113_52:
	ds_load_b64 v[101:102], v104
.LBB113_53:
	s_and_saveexec_b32 s4, s0
	s_cbranch_execz .LBB113_57
; %bb.54:
	v_subrev_nc_u32_e32 v128, 44, v0
	s_movk_i32 s5, 0x2f0
	s_mov_b32 s0, 0
.LBB113_55:                             ; =>This Inner Loop Header: Depth=1
	scratch_load_b64 v[129:130], v127, off
	v_dual_mov_b32 v131, s5 :: v_dual_add_nc_u32 v128, -1, v128
	v_add_nc_u32_e32 v127, 8, v127
	s_add_i32 s5, s5, 8
	ds_load_b64 v[131:132], v131
	v_cmp_eq_u32_e32 vcc_lo, 0, v128
	s_or_b32 s0, vcc_lo, s0
	s_waitcnt vmcnt(0) lgkmcnt(0)
	v_fma_f64 v[101:102], v[129:130], v[131:132], v[101:102]
	s_and_not1_b32 exec_lo, exec_lo, s0
	s_cbranch_execnz .LBB113_55
; %bb.56:
	s_or_b32 exec_lo, exec_lo, s0
.LBB113_57:
	s_delay_alu instid0(SALU_CYCLE_1)
	s_or_b32 exec_lo, exec_lo, s4
	v_mov_b32_e32 v127, 0
	ds_load_b64 v[127:128], v127 offset:344
	s_waitcnt lgkmcnt(0)
	v_mul_f64 v[101:102], v[101:102], v[127:128]
	scratch_store_b64 off, v[101:102], off offset:344
.LBB113_58:
	s_or_b32 exec_lo, exec_lo, s3
	scratch_load_b64 v[101:102], off, off offset:336
	v_cmp_lt_u32_e64 s0, 42, v0
	s_waitcnt vmcnt(0)
	ds_store_b64 v104, v[101:102]
	s_waitcnt lgkmcnt(0)
	s_waitcnt_vscnt null, 0x0
	s_barrier
	buffer_gl0_inv
	s_and_saveexec_b32 s3, s0
	s_cbranch_execz .LBB113_68
; %bb.59:
	s_and_not1_b32 vcc_lo, exec_lo, s2
	s_cbranch_vccnz .LBB113_61
; %bb.60:
	scratch_load_b64 v[101:102], v105, off
	ds_load_b64 v[127:128], v104
	s_waitcnt vmcnt(0) lgkmcnt(0)
	v_mul_f64 v[101:102], v[101:102], v[127:128]
	s_cbranch_execz .LBB113_62
	s_branch .LBB113_63
.LBB113_61:
                                        ; implicit-def: $vgpr101_vgpr102
.LBB113_62:
	ds_load_b64 v[101:102], v104
.LBB113_63:
	s_and_saveexec_b32 s4, s1
	s_cbranch_execz .LBB113_67
; %bb.64:
	v_mov_b32_e32 v127, 0
	v_subrev_nc_u32_e32 v128, 43, v0
	s_movk_i32 s5, 0x2e8
	s_mov_b32 s1, 0
	s_delay_alu instid0(VALU_DEP_2)
	v_add_nc_u32_e32 v127, 0x158, v127
.LBB113_65:                             ; =>This Inner Loop Header: Depth=1
	scratch_load_b64 v[129:130], v127, off
	v_dual_mov_b32 v131, s5 :: v_dual_add_nc_u32 v128, -1, v128
	v_add_nc_u32_e32 v127, 8, v127
	s_add_i32 s5, s5, 8
	ds_load_b64 v[131:132], v131
	v_cmp_eq_u32_e32 vcc_lo, 0, v128
	s_or_b32 s1, vcc_lo, s1
	s_waitcnt vmcnt(0) lgkmcnt(0)
	v_fma_f64 v[101:102], v[129:130], v[131:132], v[101:102]
	s_and_not1_b32 exec_lo, exec_lo, s1
	s_cbranch_execnz .LBB113_65
; %bb.66:
	s_or_b32 exec_lo, exec_lo, s1
.LBB113_67:
	s_delay_alu instid0(SALU_CYCLE_1)
	s_or_b32 exec_lo, exec_lo, s4
	v_mov_b32_e32 v127, 0
	ds_load_b64 v[127:128], v127 offset:336
	s_waitcnt lgkmcnt(0)
	v_mul_f64 v[101:102], v[101:102], v[127:128]
	scratch_store_b64 off, v[101:102], off offset:336
.LBB113_68:
	s_or_b32 exec_lo, exec_lo, s3
	scratch_load_b64 v[101:102], off, off offset:328
	v_cmp_lt_u32_e64 s1, 41, v0
	s_waitcnt vmcnt(0)
	ds_store_b64 v104, v[101:102]
	s_waitcnt lgkmcnt(0)
	s_waitcnt_vscnt null, 0x0
	s_barrier
	buffer_gl0_inv
	s_and_saveexec_b32 s3, s1
	s_cbranch_execz .LBB113_78
; %bb.69:
	s_and_not1_b32 vcc_lo, exec_lo, s2
	s_cbranch_vccnz .LBB113_71
; %bb.70:
	scratch_load_b64 v[101:102], v105, off
	ds_load_b64 v[127:128], v104
	s_waitcnt vmcnt(0) lgkmcnt(0)
	v_mul_f64 v[101:102], v[101:102], v[127:128]
	s_cbranch_execz .LBB113_72
	s_branch .LBB113_73
.LBB113_71:
                                        ; implicit-def: $vgpr101_vgpr102
.LBB113_72:
	ds_load_b64 v[101:102], v104
.LBB113_73:
	s_and_saveexec_b32 s4, s0
	s_cbranch_execz .LBB113_77
; %bb.74:
	v_subrev_nc_u32_e32 v127, 42, v0
	s_movk_i32 s5, 0x2e0
	s_mov_b32 s0, 0
.LBB113_75:                             ; =>This Inner Loop Header: Depth=1
	scratch_load_b64 v[128:129], v126, off
	v_dual_mov_b32 v130, s5 :: v_dual_add_nc_u32 v127, -1, v127
	v_add_nc_u32_e32 v126, 8, v126
	s_add_i32 s5, s5, 8
	ds_load_b64 v[130:131], v130
	v_cmp_eq_u32_e32 vcc_lo, 0, v127
	s_or_b32 s0, vcc_lo, s0
	s_waitcnt vmcnt(0) lgkmcnt(0)
	v_fma_f64 v[101:102], v[128:129], v[130:131], v[101:102]
	s_and_not1_b32 exec_lo, exec_lo, s0
	s_cbranch_execnz .LBB113_75
; %bb.76:
	s_or_b32 exec_lo, exec_lo, s0
.LBB113_77:
	s_delay_alu instid0(SALU_CYCLE_1)
	s_or_b32 exec_lo, exec_lo, s4
	v_mov_b32_e32 v126, 0
	ds_load_b64 v[126:127], v126 offset:328
	s_waitcnt lgkmcnt(0)
	v_mul_f64 v[101:102], v[101:102], v[126:127]
	scratch_store_b64 off, v[101:102], off offset:328
.LBB113_78:
	s_or_b32 exec_lo, exec_lo, s3
	scratch_load_b64 v[101:102], off, off offset:320
	v_cmp_lt_u32_e64 s0, 40, v0
	s_waitcnt vmcnt(0)
	ds_store_b64 v104, v[101:102]
	s_waitcnt lgkmcnt(0)
	s_waitcnt_vscnt null, 0x0
	s_barrier
	buffer_gl0_inv
	s_and_saveexec_b32 s3, s0
	s_cbranch_execz .LBB113_88
; %bb.79:
	s_and_not1_b32 vcc_lo, exec_lo, s2
	s_cbranch_vccnz .LBB113_81
; %bb.80:
	scratch_load_b64 v[101:102], v105, off
	ds_load_b64 v[126:127], v104
	s_waitcnt vmcnt(0) lgkmcnt(0)
	v_mul_f64 v[101:102], v[101:102], v[126:127]
	s_cbranch_execz .LBB113_82
	s_branch .LBB113_83
.LBB113_81:
                                        ; implicit-def: $vgpr101_vgpr102
.LBB113_82:
	ds_load_b64 v[101:102], v104
.LBB113_83:
	s_and_saveexec_b32 s4, s1
	s_cbranch_execz .LBB113_87
; %bb.84:
	v_mov_b32_e32 v126, 0
	v_subrev_nc_u32_e32 v127, 41, v0
	s_movk_i32 s5, 0x2d8
	s_mov_b32 s1, 0
	s_delay_alu instid0(VALU_DEP_2)
	v_add_nc_u32_e32 v126, 0x148, v126
.LBB113_85:                             ; =>This Inner Loop Header: Depth=1
	scratch_load_b64 v[128:129], v126, off
	v_dual_mov_b32 v130, s5 :: v_dual_add_nc_u32 v127, -1, v127
	v_add_nc_u32_e32 v126, 8, v126
	s_add_i32 s5, s5, 8
	ds_load_b64 v[130:131], v130
	v_cmp_eq_u32_e32 vcc_lo, 0, v127
	s_or_b32 s1, vcc_lo, s1
	s_waitcnt vmcnt(0) lgkmcnt(0)
	v_fma_f64 v[101:102], v[128:129], v[130:131], v[101:102]
	s_and_not1_b32 exec_lo, exec_lo, s1
	s_cbranch_execnz .LBB113_85
; %bb.86:
	s_or_b32 exec_lo, exec_lo, s1
.LBB113_87:
	s_delay_alu instid0(SALU_CYCLE_1)
	s_or_b32 exec_lo, exec_lo, s4
	v_mov_b32_e32 v126, 0
	ds_load_b64 v[126:127], v126 offset:320
	s_waitcnt lgkmcnt(0)
	v_mul_f64 v[101:102], v[101:102], v[126:127]
	scratch_store_b64 off, v[101:102], off offset:320
.LBB113_88:
	s_or_b32 exec_lo, exec_lo, s3
	scratch_load_b64 v[101:102], off, off offset:312
	v_cmp_lt_u32_e64 s1, 39, v0
	s_waitcnt vmcnt(0)
	ds_store_b64 v104, v[101:102]
	s_waitcnt lgkmcnt(0)
	s_waitcnt_vscnt null, 0x0
	s_barrier
	buffer_gl0_inv
	s_and_saveexec_b32 s3, s1
	s_cbranch_execz .LBB113_98
; %bb.89:
	s_and_not1_b32 vcc_lo, exec_lo, s2
	s_cbranch_vccnz .LBB113_91
; %bb.90:
	scratch_load_b64 v[101:102], v105, off
	ds_load_b64 v[126:127], v104
	s_waitcnt vmcnt(0) lgkmcnt(0)
	v_mul_f64 v[101:102], v[101:102], v[126:127]
	s_cbranch_execz .LBB113_92
	s_branch .LBB113_93
.LBB113_91:
                                        ; implicit-def: $vgpr101_vgpr102
.LBB113_92:
	ds_load_b64 v[101:102], v104
.LBB113_93:
	s_and_saveexec_b32 s4, s0
	s_cbranch_execz .LBB113_97
; %bb.94:
	v_subrev_nc_u32_e32 v126, 40, v0
	s_movk_i32 s5, 0x2d0
	s_mov_b32 s0, 0
.LBB113_95:                             ; =>This Inner Loop Header: Depth=1
	scratch_load_b64 v[127:128], v125, off
	v_dual_mov_b32 v129, s5 :: v_dual_add_nc_u32 v126, -1, v126
	v_add_nc_u32_e32 v125, 8, v125
	s_add_i32 s5, s5, 8
	ds_load_b64 v[129:130], v129
	v_cmp_eq_u32_e32 vcc_lo, 0, v126
	s_or_b32 s0, vcc_lo, s0
	s_waitcnt vmcnt(0) lgkmcnt(0)
	v_fma_f64 v[101:102], v[127:128], v[129:130], v[101:102]
	s_and_not1_b32 exec_lo, exec_lo, s0
	s_cbranch_execnz .LBB113_95
; %bb.96:
	s_or_b32 exec_lo, exec_lo, s0
.LBB113_97:
	s_delay_alu instid0(SALU_CYCLE_1)
	s_or_b32 exec_lo, exec_lo, s4
	v_mov_b32_e32 v125, 0
	ds_load_b64 v[125:126], v125 offset:312
	s_waitcnt lgkmcnt(0)
	v_mul_f64 v[101:102], v[101:102], v[125:126]
	scratch_store_b64 off, v[101:102], off offset:312
.LBB113_98:
	s_or_b32 exec_lo, exec_lo, s3
	scratch_load_b64 v[101:102], off, off offset:304
	v_cmp_lt_u32_e64 s0, 38, v0
	s_waitcnt vmcnt(0)
	ds_store_b64 v104, v[101:102]
	s_waitcnt lgkmcnt(0)
	s_waitcnt_vscnt null, 0x0
	s_barrier
	buffer_gl0_inv
	s_and_saveexec_b32 s3, s0
	s_cbranch_execz .LBB113_108
; %bb.99:
	s_and_not1_b32 vcc_lo, exec_lo, s2
	s_cbranch_vccnz .LBB113_101
; %bb.100:
	scratch_load_b64 v[101:102], v105, off
	ds_load_b64 v[125:126], v104
	s_waitcnt vmcnt(0) lgkmcnt(0)
	v_mul_f64 v[101:102], v[101:102], v[125:126]
	s_cbranch_execz .LBB113_102
	s_branch .LBB113_103
.LBB113_101:
                                        ; implicit-def: $vgpr101_vgpr102
.LBB113_102:
	ds_load_b64 v[101:102], v104
.LBB113_103:
	s_and_saveexec_b32 s4, s1
	s_cbranch_execz .LBB113_107
; %bb.104:
	v_mov_b32_e32 v125, 0
	v_subrev_nc_u32_e32 v126, 39, v0
	s_movk_i32 s5, 0x2c8
	s_mov_b32 s1, 0
	s_delay_alu instid0(VALU_DEP_2)
	v_add_nc_u32_e32 v125, 0x138, v125
.LBB113_105:                            ; =>This Inner Loop Header: Depth=1
	scratch_load_b64 v[127:128], v125, off
	v_dual_mov_b32 v129, s5 :: v_dual_add_nc_u32 v126, -1, v126
	v_add_nc_u32_e32 v125, 8, v125
	s_add_i32 s5, s5, 8
	ds_load_b64 v[129:130], v129
	v_cmp_eq_u32_e32 vcc_lo, 0, v126
	s_or_b32 s1, vcc_lo, s1
	s_waitcnt vmcnt(0) lgkmcnt(0)
	v_fma_f64 v[101:102], v[127:128], v[129:130], v[101:102]
	s_and_not1_b32 exec_lo, exec_lo, s1
	s_cbranch_execnz .LBB113_105
; %bb.106:
	s_or_b32 exec_lo, exec_lo, s1
.LBB113_107:
	s_delay_alu instid0(SALU_CYCLE_1)
	s_or_b32 exec_lo, exec_lo, s4
	v_mov_b32_e32 v125, 0
	ds_load_b64 v[125:126], v125 offset:304
	s_waitcnt lgkmcnt(0)
	v_mul_f64 v[101:102], v[101:102], v[125:126]
	scratch_store_b64 off, v[101:102], off offset:304
.LBB113_108:
	s_or_b32 exec_lo, exec_lo, s3
	scratch_load_b64 v[101:102], off, off offset:296
	v_cmp_lt_u32_e64 s1, 37, v0
	s_waitcnt vmcnt(0)
	ds_store_b64 v104, v[101:102]
	s_waitcnt lgkmcnt(0)
	s_waitcnt_vscnt null, 0x0
	s_barrier
	buffer_gl0_inv
	s_and_saveexec_b32 s3, s1
	s_cbranch_execz .LBB113_118
; %bb.109:
	s_and_not1_b32 vcc_lo, exec_lo, s2
	s_cbranch_vccnz .LBB113_111
; %bb.110:
	scratch_load_b64 v[101:102], v105, off
	ds_load_b64 v[125:126], v104
	s_waitcnt vmcnt(0) lgkmcnt(0)
	v_mul_f64 v[101:102], v[101:102], v[125:126]
	s_cbranch_execz .LBB113_112
	s_branch .LBB113_113
.LBB113_111:
                                        ; implicit-def: $vgpr101_vgpr102
.LBB113_112:
	ds_load_b64 v[101:102], v104
.LBB113_113:
	s_and_saveexec_b32 s4, s0
	s_cbranch_execz .LBB113_117
; %bb.114:
	v_subrev_nc_u32_e32 v125, 38, v0
	s_movk_i32 s5, 0x2c0
	s_mov_b32 s0, 0
.LBB113_115:                            ; =>This Inner Loop Header: Depth=1
	scratch_load_b64 v[126:127], v124, off
	v_dual_mov_b32 v128, s5 :: v_dual_add_nc_u32 v125, -1, v125
	v_add_nc_u32_e32 v124, 8, v124
	s_add_i32 s5, s5, 8
	ds_load_b64 v[128:129], v128
	v_cmp_eq_u32_e32 vcc_lo, 0, v125
	s_or_b32 s0, vcc_lo, s0
	s_waitcnt vmcnt(0) lgkmcnt(0)
	v_fma_f64 v[101:102], v[126:127], v[128:129], v[101:102]
	s_and_not1_b32 exec_lo, exec_lo, s0
	s_cbranch_execnz .LBB113_115
; %bb.116:
	s_or_b32 exec_lo, exec_lo, s0
.LBB113_117:
	s_delay_alu instid0(SALU_CYCLE_1)
	s_or_b32 exec_lo, exec_lo, s4
	v_mov_b32_e32 v124, 0
	ds_load_b64 v[124:125], v124 offset:296
	s_waitcnt lgkmcnt(0)
	v_mul_f64 v[101:102], v[101:102], v[124:125]
	scratch_store_b64 off, v[101:102], off offset:296
.LBB113_118:
	s_or_b32 exec_lo, exec_lo, s3
	scratch_load_b64 v[101:102], off, off offset:288
	v_cmp_lt_u32_e64 s0, 36, v0
	s_waitcnt vmcnt(0)
	ds_store_b64 v104, v[101:102]
	s_waitcnt lgkmcnt(0)
	s_waitcnt_vscnt null, 0x0
	s_barrier
	buffer_gl0_inv
	s_and_saveexec_b32 s3, s0
	s_cbranch_execz .LBB113_128
; %bb.119:
	s_and_not1_b32 vcc_lo, exec_lo, s2
	s_cbranch_vccnz .LBB113_121
; %bb.120:
	scratch_load_b64 v[101:102], v105, off
	ds_load_b64 v[124:125], v104
	s_waitcnt vmcnt(0) lgkmcnt(0)
	v_mul_f64 v[101:102], v[101:102], v[124:125]
	s_cbranch_execz .LBB113_122
	s_branch .LBB113_123
.LBB113_121:
                                        ; implicit-def: $vgpr101_vgpr102
.LBB113_122:
	ds_load_b64 v[101:102], v104
.LBB113_123:
	s_and_saveexec_b32 s4, s1
	s_cbranch_execz .LBB113_127
; %bb.124:
	v_mov_b32_e32 v124, 0
	v_subrev_nc_u32_e32 v125, 37, v0
	s_movk_i32 s5, 0x2b8
	s_mov_b32 s1, 0
	s_delay_alu instid0(VALU_DEP_2)
	v_add_nc_u32_e32 v124, 0x128, v124
.LBB113_125:                            ; =>This Inner Loop Header: Depth=1
	scratch_load_b64 v[126:127], v124, off
	v_dual_mov_b32 v128, s5 :: v_dual_add_nc_u32 v125, -1, v125
	v_add_nc_u32_e32 v124, 8, v124
	s_add_i32 s5, s5, 8
	ds_load_b64 v[128:129], v128
	v_cmp_eq_u32_e32 vcc_lo, 0, v125
	s_or_b32 s1, vcc_lo, s1
	s_waitcnt vmcnt(0) lgkmcnt(0)
	v_fma_f64 v[101:102], v[126:127], v[128:129], v[101:102]
	s_and_not1_b32 exec_lo, exec_lo, s1
	s_cbranch_execnz .LBB113_125
; %bb.126:
	s_or_b32 exec_lo, exec_lo, s1
.LBB113_127:
	s_delay_alu instid0(SALU_CYCLE_1)
	s_or_b32 exec_lo, exec_lo, s4
	v_mov_b32_e32 v124, 0
	ds_load_b64 v[124:125], v124 offset:288
	s_waitcnt lgkmcnt(0)
	v_mul_f64 v[101:102], v[101:102], v[124:125]
	scratch_store_b64 off, v[101:102], off offset:288
.LBB113_128:
	s_or_b32 exec_lo, exec_lo, s3
	scratch_load_b64 v[101:102], off, off offset:280
	v_cmp_lt_u32_e64 s1, 35, v0
	s_waitcnt vmcnt(0)
	ds_store_b64 v104, v[101:102]
	s_waitcnt lgkmcnt(0)
	s_waitcnt_vscnt null, 0x0
	s_barrier
	buffer_gl0_inv
	s_and_saveexec_b32 s3, s1
	s_cbranch_execz .LBB113_138
; %bb.129:
	s_and_not1_b32 vcc_lo, exec_lo, s2
	s_cbranch_vccnz .LBB113_131
; %bb.130:
	scratch_load_b64 v[101:102], v105, off
	ds_load_b64 v[124:125], v104
	s_waitcnt vmcnt(0) lgkmcnt(0)
	v_mul_f64 v[101:102], v[101:102], v[124:125]
	s_cbranch_execz .LBB113_132
	s_branch .LBB113_133
.LBB113_131:
                                        ; implicit-def: $vgpr101_vgpr102
.LBB113_132:
	ds_load_b64 v[101:102], v104
.LBB113_133:
	s_and_saveexec_b32 s4, s0
	s_cbranch_execz .LBB113_137
; %bb.134:
	v_subrev_nc_u32_e32 v124, 36, v0
	s_movk_i32 s5, 0x2b0
	s_mov_b32 s0, 0
.LBB113_135:                            ; =>This Inner Loop Header: Depth=1
	scratch_load_b64 v[125:126], v123, off
	v_dual_mov_b32 v127, s5 :: v_dual_add_nc_u32 v124, -1, v124
	v_add_nc_u32_e32 v123, 8, v123
	s_add_i32 s5, s5, 8
	ds_load_b64 v[127:128], v127
	v_cmp_eq_u32_e32 vcc_lo, 0, v124
	s_or_b32 s0, vcc_lo, s0
	s_waitcnt vmcnt(0) lgkmcnt(0)
	v_fma_f64 v[101:102], v[125:126], v[127:128], v[101:102]
	s_and_not1_b32 exec_lo, exec_lo, s0
	s_cbranch_execnz .LBB113_135
; %bb.136:
	s_or_b32 exec_lo, exec_lo, s0
.LBB113_137:
	s_delay_alu instid0(SALU_CYCLE_1)
	s_or_b32 exec_lo, exec_lo, s4
	v_mov_b32_e32 v123, 0
	ds_load_b64 v[123:124], v123 offset:280
	s_waitcnt lgkmcnt(0)
	v_mul_f64 v[101:102], v[101:102], v[123:124]
	scratch_store_b64 off, v[101:102], off offset:280
.LBB113_138:
	s_or_b32 exec_lo, exec_lo, s3
	scratch_load_b64 v[101:102], off, off offset:272
	v_cmp_lt_u32_e64 s0, 34, v0
	s_waitcnt vmcnt(0)
	ds_store_b64 v104, v[101:102]
	s_waitcnt lgkmcnt(0)
	s_waitcnt_vscnt null, 0x0
	s_barrier
	buffer_gl0_inv
	s_and_saveexec_b32 s3, s0
	s_cbranch_execz .LBB113_148
; %bb.139:
	s_and_not1_b32 vcc_lo, exec_lo, s2
	s_cbranch_vccnz .LBB113_141
; %bb.140:
	scratch_load_b64 v[101:102], v105, off
	ds_load_b64 v[123:124], v104
	s_waitcnt vmcnt(0) lgkmcnt(0)
	v_mul_f64 v[101:102], v[101:102], v[123:124]
	s_cbranch_execz .LBB113_142
	s_branch .LBB113_143
.LBB113_141:
                                        ; implicit-def: $vgpr101_vgpr102
.LBB113_142:
	ds_load_b64 v[101:102], v104
.LBB113_143:
	s_and_saveexec_b32 s4, s1
	s_cbranch_execz .LBB113_147
; %bb.144:
	v_mov_b32_e32 v123, 0
	v_subrev_nc_u32_e32 v124, 35, v0
	s_movk_i32 s5, 0x2a8
	s_mov_b32 s1, 0
	s_delay_alu instid0(VALU_DEP_2)
	v_add_nc_u32_e32 v123, 0x118, v123
.LBB113_145:                            ; =>This Inner Loop Header: Depth=1
	scratch_load_b64 v[125:126], v123, off
	v_dual_mov_b32 v127, s5 :: v_dual_add_nc_u32 v124, -1, v124
	v_add_nc_u32_e32 v123, 8, v123
	s_add_i32 s5, s5, 8
	ds_load_b64 v[127:128], v127
	v_cmp_eq_u32_e32 vcc_lo, 0, v124
	s_or_b32 s1, vcc_lo, s1
	s_waitcnt vmcnt(0) lgkmcnt(0)
	v_fma_f64 v[101:102], v[125:126], v[127:128], v[101:102]
	s_and_not1_b32 exec_lo, exec_lo, s1
	s_cbranch_execnz .LBB113_145
; %bb.146:
	s_or_b32 exec_lo, exec_lo, s1
.LBB113_147:
	s_delay_alu instid0(SALU_CYCLE_1)
	s_or_b32 exec_lo, exec_lo, s4
	v_mov_b32_e32 v123, 0
	ds_load_b64 v[123:124], v123 offset:272
	s_waitcnt lgkmcnt(0)
	v_mul_f64 v[101:102], v[101:102], v[123:124]
	scratch_store_b64 off, v[101:102], off offset:272
.LBB113_148:
	s_or_b32 exec_lo, exec_lo, s3
	scratch_load_b64 v[101:102], off, off offset:264
	v_cmp_lt_u32_e64 s1, 33, v0
	s_waitcnt vmcnt(0)
	ds_store_b64 v104, v[101:102]
	s_waitcnt lgkmcnt(0)
	s_waitcnt_vscnt null, 0x0
	s_barrier
	buffer_gl0_inv
	s_and_saveexec_b32 s3, s1
	s_cbranch_execz .LBB113_158
; %bb.149:
	s_and_not1_b32 vcc_lo, exec_lo, s2
	s_cbranch_vccnz .LBB113_151
; %bb.150:
	scratch_load_b64 v[101:102], v105, off
	ds_load_b64 v[123:124], v104
	s_waitcnt vmcnt(0) lgkmcnt(0)
	v_mul_f64 v[101:102], v[101:102], v[123:124]
	s_cbranch_execz .LBB113_152
	s_branch .LBB113_153
.LBB113_151:
                                        ; implicit-def: $vgpr101_vgpr102
.LBB113_152:
	ds_load_b64 v[101:102], v104
.LBB113_153:
	s_and_saveexec_b32 s4, s0
	s_cbranch_execz .LBB113_157
; %bb.154:
	v_subrev_nc_u32_e32 v123, 34, v0
	s_movk_i32 s5, 0x2a0
	s_mov_b32 s0, 0
.LBB113_155:                            ; =>This Inner Loop Header: Depth=1
	scratch_load_b64 v[124:125], v122, off
	v_dual_mov_b32 v126, s5 :: v_dual_add_nc_u32 v123, -1, v123
	v_add_nc_u32_e32 v122, 8, v122
	s_add_i32 s5, s5, 8
	ds_load_b64 v[126:127], v126
	v_cmp_eq_u32_e32 vcc_lo, 0, v123
	s_or_b32 s0, vcc_lo, s0
	s_waitcnt vmcnt(0) lgkmcnt(0)
	v_fma_f64 v[101:102], v[124:125], v[126:127], v[101:102]
	s_and_not1_b32 exec_lo, exec_lo, s0
	s_cbranch_execnz .LBB113_155
; %bb.156:
	s_or_b32 exec_lo, exec_lo, s0
.LBB113_157:
	s_delay_alu instid0(SALU_CYCLE_1)
	s_or_b32 exec_lo, exec_lo, s4
	v_mov_b32_e32 v122, 0
	ds_load_b64 v[122:123], v122 offset:264
	s_waitcnt lgkmcnt(0)
	v_mul_f64 v[101:102], v[101:102], v[122:123]
	scratch_store_b64 off, v[101:102], off offset:264
.LBB113_158:
	s_or_b32 exec_lo, exec_lo, s3
	scratch_load_b64 v[101:102], off, off offset:256
	v_cmp_lt_u32_e64 s0, 32, v0
	s_waitcnt vmcnt(0)
	ds_store_b64 v104, v[101:102]
	s_waitcnt lgkmcnt(0)
	s_waitcnt_vscnt null, 0x0
	s_barrier
	buffer_gl0_inv
	s_and_saveexec_b32 s3, s0
	s_cbranch_execz .LBB113_168
; %bb.159:
	s_and_not1_b32 vcc_lo, exec_lo, s2
	s_cbranch_vccnz .LBB113_161
; %bb.160:
	scratch_load_b64 v[101:102], v105, off
	ds_load_b64 v[122:123], v104
	s_waitcnt vmcnt(0) lgkmcnt(0)
	v_mul_f64 v[101:102], v[101:102], v[122:123]
	s_cbranch_execz .LBB113_162
	s_branch .LBB113_163
.LBB113_161:
                                        ; implicit-def: $vgpr101_vgpr102
.LBB113_162:
	ds_load_b64 v[101:102], v104
.LBB113_163:
	s_and_saveexec_b32 s4, s1
	s_cbranch_execz .LBB113_167
; %bb.164:
	v_mov_b32_e32 v122, 0
	v_subrev_nc_u32_e32 v123, 33, v0
	s_movk_i32 s5, 0x298
	s_mov_b32 s1, 0
	s_delay_alu instid0(VALU_DEP_2)
	v_add_nc_u32_e32 v122, 0x108, v122
.LBB113_165:                            ; =>This Inner Loop Header: Depth=1
	scratch_load_b64 v[124:125], v122, off
	v_dual_mov_b32 v126, s5 :: v_dual_add_nc_u32 v123, -1, v123
	v_add_nc_u32_e32 v122, 8, v122
	s_add_i32 s5, s5, 8
	ds_load_b64 v[126:127], v126
	v_cmp_eq_u32_e32 vcc_lo, 0, v123
	s_or_b32 s1, vcc_lo, s1
	s_waitcnt vmcnt(0) lgkmcnt(0)
	v_fma_f64 v[101:102], v[124:125], v[126:127], v[101:102]
	s_and_not1_b32 exec_lo, exec_lo, s1
	s_cbranch_execnz .LBB113_165
; %bb.166:
	s_or_b32 exec_lo, exec_lo, s1
.LBB113_167:
	s_delay_alu instid0(SALU_CYCLE_1)
	s_or_b32 exec_lo, exec_lo, s4
	v_mov_b32_e32 v122, 0
	ds_load_b64 v[122:123], v122 offset:256
	s_waitcnt lgkmcnt(0)
	v_mul_f64 v[101:102], v[101:102], v[122:123]
	scratch_store_b64 off, v[101:102], off offset:256
.LBB113_168:
	s_or_b32 exec_lo, exec_lo, s3
	scratch_load_b64 v[101:102], off, off offset:248
	v_cmp_lt_u32_e64 s1, 31, v0
	s_waitcnt vmcnt(0)
	ds_store_b64 v104, v[101:102]
	s_waitcnt lgkmcnt(0)
	s_waitcnt_vscnt null, 0x0
	s_barrier
	buffer_gl0_inv
	s_and_saveexec_b32 s3, s1
	s_cbranch_execz .LBB113_178
; %bb.169:
	s_and_not1_b32 vcc_lo, exec_lo, s2
	s_cbranch_vccnz .LBB113_171
; %bb.170:
	scratch_load_b64 v[101:102], v105, off
	ds_load_b64 v[122:123], v104
	s_waitcnt vmcnt(0) lgkmcnt(0)
	v_mul_f64 v[101:102], v[101:102], v[122:123]
	s_cbranch_execz .LBB113_172
	s_branch .LBB113_173
.LBB113_171:
                                        ; implicit-def: $vgpr101_vgpr102
.LBB113_172:
	ds_load_b64 v[101:102], v104
.LBB113_173:
	s_and_saveexec_b32 s4, s0
	s_cbranch_execz .LBB113_177
; %bb.174:
	v_subrev_nc_u32_e32 v122, 32, v0
	s_movk_i32 s5, 0x290
	s_mov_b32 s0, 0
.LBB113_175:                            ; =>This Inner Loop Header: Depth=1
	scratch_load_b64 v[123:124], v121, off
	v_dual_mov_b32 v125, s5 :: v_dual_add_nc_u32 v122, -1, v122
	v_add_nc_u32_e32 v121, 8, v121
	s_add_i32 s5, s5, 8
	ds_load_b64 v[125:126], v125
	v_cmp_eq_u32_e32 vcc_lo, 0, v122
	s_or_b32 s0, vcc_lo, s0
	s_waitcnt vmcnt(0) lgkmcnt(0)
	v_fma_f64 v[101:102], v[123:124], v[125:126], v[101:102]
	s_and_not1_b32 exec_lo, exec_lo, s0
	s_cbranch_execnz .LBB113_175
; %bb.176:
	s_or_b32 exec_lo, exec_lo, s0
.LBB113_177:
	s_delay_alu instid0(SALU_CYCLE_1)
	s_or_b32 exec_lo, exec_lo, s4
	v_mov_b32_e32 v121, 0
	ds_load_b64 v[121:122], v121 offset:248
	s_waitcnt lgkmcnt(0)
	v_mul_f64 v[101:102], v[101:102], v[121:122]
	scratch_store_b64 off, v[101:102], off offset:248
.LBB113_178:
	s_or_b32 exec_lo, exec_lo, s3
	scratch_load_b64 v[101:102], off, off offset:240
	v_cmp_lt_u32_e64 s0, 30, v0
	s_waitcnt vmcnt(0)
	ds_store_b64 v104, v[101:102]
	s_waitcnt lgkmcnt(0)
	s_waitcnt_vscnt null, 0x0
	s_barrier
	buffer_gl0_inv
	s_and_saveexec_b32 s3, s0
	s_cbranch_execz .LBB113_188
; %bb.179:
	s_and_not1_b32 vcc_lo, exec_lo, s2
	s_cbranch_vccnz .LBB113_181
; %bb.180:
	scratch_load_b64 v[101:102], v105, off
	ds_load_b64 v[121:122], v104
	s_waitcnt vmcnt(0) lgkmcnt(0)
	v_mul_f64 v[101:102], v[101:102], v[121:122]
	s_cbranch_execz .LBB113_182
	s_branch .LBB113_183
.LBB113_181:
                                        ; implicit-def: $vgpr101_vgpr102
.LBB113_182:
	ds_load_b64 v[101:102], v104
.LBB113_183:
	s_and_saveexec_b32 s4, s1
	s_cbranch_execz .LBB113_187
; %bb.184:
	v_mov_b32_e32 v121, 0
	v_subrev_nc_u32_e32 v122, 31, v0
	s_movk_i32 s5, 0x288
	s_mov_b32 s1, 0
	s_delay_alu instid0(VALU_DEP_2)
	v_add_nc_u32_e32 v121, 0xf8, v121
.LBB113_185:                            ; =>This Inner Loop Header: Depth=1
	scratch_load_b64 v[123:124], v121, off
	v_dual_mov_b32 v125, s5 :: v_dual_add_nc_u32 v122, -1, v122
	v_add_nc_u32_e32 v121, 8, v121
	s_add_i32 s5, s5, 8
	ds_load_b64 v[125:126], v125
	v_cmp_eq_u32_e32 vcc_lo, 0, v122
	s_or_b32 s1, vcc_lo, s1
	s_waitcnt vmcnt(0) lgkmcnt(0)
	v_fma_f64 v[101:102], v[123:124], v[125:126], v[101:102]
	s_and_not1_b32 exec_lo, exec_lo, s1
	s_cbranch_execnz .LBB113_185
; %bb.186:
	s_or_b32 exec_lo, exec_lo, s1
.LBB113_187:
	s_delay_alu instid0(SALU_CYCLE_1)
	s_or_b32 exec_lo, exec_lo, s4
	v_mov_b32_e32 v121, 0
	ds_load_b64 v[121:122], v121 offset:240
	s_waitcnt lgkmcnt(0)
	v_mul_f64 v[101:102], v[101:102], v[121:122]
	scratch_store_b64 off, v[101:102], off offset:240
.LBB113_188:
	s_or_b32 exec_lo, exec_lo, s3
	scratch_load_b64 v[101:102], off, off offset:232
	v_cmp_lt_u32_e64 s1, 29, v0
	s_waitcnt vmcnt(0)
	ds_store_b64 v104, v[101:102]
	s_waitcnt lgkmcnt(0)
	s_waitcnt_vscnt null, 0x0
	s_barrier
	buffer_gl0_inv
	s_and_saveexec_b32 s3, s1
	s_cbranch_execz .LBB113_198
; %bb.189:
	s_and_not1_b32 vcc_lo, exec_lo, s2
	s_cbranch_vccnz .LBB113_191
; %bb.190:
	scratch_load_b64 v[101:102], v105, off
	ds_load_b64 v[121:122], v104
	s_waitcnt vmcnt(0) lgkmcnt(0)
	v_mul_f64 v[101:102], v[101:102], v[121:122]
	s_cbranch_execz .LBB113_192
	s_branch .LBB113_193
.LBB113_191:
                                        ; implicit-def: $vgpr101_vgpr102
.LBB113_192:
	ds_load_b64 v[101:102], v104
.LBB113_193:
	s_and_saveexec_b32 s4, s0
	s_cbranch_execz .LBB113_197
; %bb.194:
	v_subrev_nc_u32_e32 v121, 30, v0
	s_movk_i32 s5, 0x280
	s_mov_b32 s0, 0
.LBB113_195:                            ; =>This Inner Loop Header: Depth=1
	scratch_load_b64 v[122:123], v120, off
	v_dual_mov_b32 v124, s5 :: v_dual_add_nc_u32 v121, -1, v121
	v_add_nc_u32_e32 v120, 8, v120
	s_add_i32 s5, s5, 8
	ds_load_b64 v[124:125], v124
	v_cmp_eq_u32_e32 vcc_lo, 0, v121
	s_or_b32 s0, vcc_lo, s0
	s_waitcnt vmcnt(0) lgkmcnt(0)
	v_fma_f64 v[101:102], v[122:123], v[124:125], v[101:102]
	s_and_not1_b32 exec_lo, exec_lo, s0
	s_cbranch_execnz .LBB113_195
; %bb.196:
	s_or_b32 exec_lo, exec_lo, s0
.LBB113_197:
	s_delay_alu instid0(SALU_CYCLE_1)
	s_or_b32 exec_lo, exec_lo, s4
	v_mov_b32_e32 v120, 0
	ds_load_b64 v[120:121], v120 offset:232
	s_waitcnt lgkmcnt(0)
	v_mul_f64 v[101:102], v[101:102], v[120:121]
	scratch_store_b64 off, v[101:102], off offset:232
.LBB113_198:
	s_or_b32 exec_lo, exec_lo, s3
	scratch_load_b64 v[101:102], off, off offset:224
	v_cmp_lt_u32_e64 s0, 28, v0
	s_waitcnt vmcnt(0)
	ds_store_b64 v104, v[101:102]
	s_waitcnt lgkmcnt(0)
	s_waitcnt_vscnt null, 0x0
	s_barrier
	buffer_gl0_inv
	s_and_saveexec_b32 s3, s0
	s_cbranch_execz .LBB113_208
; %bb.199:
	s_and_not1_b32 vcc_lo, exec_lo, s2
	s_cbranch_vccnz .LBB113_201
; %bb.200:
	scratch_load_b64 v[101:102], v105, off
	ds_load_b64 v[120:121], v104
	s_waitcnt vmcnt(0) lgkmcnt(0)
	v_mul_f64 v[101:102], v[101:102], v[120:121]
	s_cbranch_execz .LBB113_202
	s_branch .LBB113_203
.LBB113_201:
                                        ; implicit-def: $vgpr101_vgpr102
.LBB113_202:
	ds_load_b64 v[101:102], v104
.LBB113_203:
	s_and_saveexec_b32 s4, s1
	s_cbranch_execz .LBB113_207
; %bb.204:
	v_mov_b32_e32 v120, 0
	v_subrev_nc_u32_e32 v121, 29, v0
	s_movk_i32 s5, 0x278
	s_mov_b32 s1, 0
	s_delay_alu instid0(VALU_DEP_2)
	v_add_nc_u32_e32 v120, 0xe8, v120
.LBB113_205:                            ; =>This Inner Loop Header: Depth=1
	scratch_load_b64 v[122:123], v120, off
	v_dual_mov_b32 v124, s5 :: v_dual_add_nc_u32 v121, -1, v121
	v_add_nc_u32_e32 v120, 8, v120
	s_add_i32 s5, s5, 8
	ds_load_b64 v[124:125], v124
	v_cmp_eq_u32_e32 vcc_lo, 0, v121
	s_or_b32 s1, vcc_lo, s1
	s_waitcnt vmcnt(0) lgkmcnt(0)
	v_fma_f64 v[101:102], v[122:123], v[124:125], v[101:102]
	s_and_not1_b32 exec_lo, exec_lo, s1
	s_cbranch_execnz .LBB113_205
; %bb.206:
	s_or_b32 exec_lo, exec_lo, s1
.LBB113_207:
	s_delay_alu instid0(SALU_CYCLE_1)
	s_or_b32 exec_lo, exec_lo, s4
	v_mov_b32_e32 v120, 0
	ds_load_b64 v[120:121], v120 offset:224
	s_waitcnt lgkmcnt(0)
	v_mul_f64 v[101:102], v[101:102], v[120:121]
	scratch_store_b64 off, v[101:102], off offset:224
.LBB113_208:
	s_or_b32 exec_lo, exec_lo, s3
	scratch_load_b64 v[101:102], off, off offset:216
	v_cmp_lt_u32_e64 s1, 27, v0
	s_waitcnt vmcnt(0)
	ds_store_b64 v104, v[101:102]
	s_waitcnt lgkmcnt(0)
	s_waitcnt_vscnt null, 0x0
	s_barrier
	buffer_gl0_inv
	s_and_saveexec_b32 s3, s1
	s_cbranch_execz .LBB113_218
; %bb.209:
	s_and_not1_b32 vcc_lo, exec_lo, s2
	s_cbranch_vccnz .LBB113_211
; %bb.210:
	scratch_load_b64 v[101:102], v105, off
	ds_load_b64 v[120:121], v104
	s_waitcnt vmcnt(0) lgkmcnt(0)
	v_mul_f64 v[101:102], v[101:102], v[120:121]
	s_cbranch_execz .LBB113_212
	s_branch .LBB113_213
.LBB113_211:
                                        ; implicit-def: $vgpr101_vgpr102
.LBB113_212:
	ds_load_b64 v[101:102], v104
.LBB113_213:
	s_and_saveexec_b32 s4, s0
	s_cbranch_execz .LBB113_217
; %bb.214:
	v_subrev_nc_u32_e32 v120, 28, v0
	s_movk_i32 s5, 0x270
	s_mov_b32 s0, 0
.LBB113_215:                            ; =>This Inner Loop Header: Depth=1
	scratch_load_b64 v[121:122], v119, off
	v_dual_mov_b32 v123, s5 :: v_dual_add_nc_u32 v120, -1, v120
	v_add_nc_u32_e32 v119, 8, v119
	s_add_i32 s5, s5, 8
	ds_load_b64 v[123:124], v123
	v_cmp_eq_u32_e32 vcc_lo, 0, v120
	s_or_b32 s0, vcc_lo, s0
	s_waitcnt vmcnt(0) lgkmcnt(0)
	v_fma_f64 v[101:102], v[121:122], v[123:124], v[101:102]
	s_and_not1_b32 exec_lo, exec_lo, s0
	s_cbranch_execnz .LBB113_215
; %bb.216:
	s_or_b32 exec_lo, exec_lo, s0
.LBB113_217:
	s_delay_alu instid0(SALU_CYCLE_1)
	s_or_b32 exec_lo, exec_lo, s4
	v_mov_b32_e32 v119, 0
	ds_load_b64 v[119:120], v119 offset:216
	s_waitcnt lgkmcnt(0)
	v_mul_f64 v[101:102], v[101:102], v[119:120]
	scratch_store_b64 off, v[101:102], off offset:216
.LBB113_218:
	s_or_b32 exec_lo, exec_lo, s3
	scratch_load_b64 v[101:102], off, off offset:208
	v_cmp_lt_u32_e64 s0, 26, v0
	s_waitcnt vmcnt(0)
	ds_store_b64 v104, v[101:102]
	s_waitcnt lgkmcnt(0)
	s_waitcnt_vscnt null, 0x0
	s_barrier
	buffer_gl0_inv
	s_and_saveexec_b32 s3, s0
	s_cbranch_execz .LBB113_228
; %bb.219:
	s_and_not1_b32 vcc_lo, exec_lo, s2
	s_cbranch_vccnz .LBB113_221
; %bb.220:
	scratch_load_b64 v[101:102], v105, off
	ds_load_b64 v[119:120], v104
	s_waitcnt vmcnt(0) lgkmcnt(0)
	v_mul_f64 v[101:102], v[101:102], v[119:120]
	s_cbranch_execz .LBB113_222
	s_branch .LBB113_223
.LBB113_221:
                                        ; implicit-def: $vgpr101_vgpr102
.LBB113_222:
	ds_load_b64 v[101:102], v104
.LBB113_223:
	s_and_saveexec_b32 s4, s1
	s_cbranch_execz .LBB113_227
; %bb.224:
	v_mov_b32_e32 v119, 0
	v_subrev_nc_u32_e32 v120, 27, v0
	s_movk_i32 s5, 0x268
	s_mov_b32 s1, 0
	s_delay_alu instid0(VALU_DEP_2)
	v_add_nc_u32_e32 v119, 0xd8, v119
.LBB113_225:                            ; =>This Inner Loop Header: Depth=1
	scratch_load_b64 v[121:122], v119, off
	v_dual_mov_b32 v123, s5 :: v_dual_add_nc_u32 v120, -1, v120
	v_add_nc_u32_e32 v119, 8, v119
	s_add_i32 s5, s5, 8
	ds_load_b64 v[123:124], v123
	v_cmp_eq_u32_e32 vcc_lo, 0, v120
	s_or_b32 s1, vcc_lo, s1
	s_waitcnt vmcnt(0) lgkmcnt(0)
	v_fma_f64 v[101:102], v[121:122], v[123:124], v[101:102]
	s_and_not1_b32 exec_lo, exec_lo, s1
	s_cbranch_execnz .LBB113_225
; %bb.226:
	s_or_b32 exec_lo, exec_lo, s1
.LBB113_227:
	s_delay_alu instid0(SALU_CYCLE_1)
	s_or_b32 exec_lo, exec_lo, s4
	v_mov_b32_e32 v119, 0
	ds_load_b64 v[119:120], v119 offset:208
	s_waitcnt lgkmcnt(0)
	v_mul_f64 v[101:102], v[101:102], v[119:120]
	scratch_store_b64 off, v[101:102], off offset:208
.LBB113_228:
	s_or_b32 exec_lo, exec_lo, s3
	scratch_load_b64 v[101:102], off, off offset:200
	v_cmp_lt_u32_e64 s1, 25, v0
	s_waitcnt vmcnt(0)
	ds_store_b64 v104, v[101:102]
	s_waitcnt lgkmcnt(0)
	s_waitcnt_vscnt null, 0x0
	s_barrier
	buffer_gl0_inv
	s_and_saveexec_b32 s3, s1
	s_cbranch_execz .LBB113_238
; %bb.229:
	s_and_not1_b32 vcc_lo, exec_lo, s2
	s_cbranch_vccnz .LBB113_231
; %bb.230:
	scratch_load_b64 v[101:102], v105, off
	ds_load_b64 v[119:120], v104
	s_waitcnt vmcnt(0) lgkmcnt(0)
	v_mul_f64 v[101:102], v[101:102], v[119:120]
	s_cbranch_execz .LBB113_232
	s_branch .LBB113_233
.LBB113_231:
                                        ; implicit-def: $vgpr101_vgpr102
.LBB113_232:
	ds_load_b64 v[101:102], v104
.LBB113_233:
	s_and_saveexec_b32 s4, s0
	s_cbranch_execz .LBB113_237
; %bb.234:
	v_subrev_nc_u32_e32 v119, 26, v0
	s_movk_i32 s5, 0x260
	s_mov_b32 s0, 0
.LBB113_235:                            ; =>This Inner Loop Header: Depth=1
	scratch_load_b64 v[120:121], v118, off
	v_dual_mov_b32 v122, s5 :: v_dual_add_nc_u32 v119, -1, v119
	v_add_nc_u32_e32 v118, 8, v118
	s_add_i32 s5, s5, 8
	ds_load_b64 v[122:123], v122
	v_cmp_eq_u32_e32 vcc_lo, 0, v119
	s_or_b32 s0, vcc_lo, s0
	s_waitcnt vmcnt(0) lgkmcnt(0)
	v_fma_f64 v[101:102], v[120:121], v[122:123], v[101:102]
	s_and_not1_b32 exec_lo, exec_lo, s0
	s_cbranch_execnz .LBB113_235
; %bb.236:
	s_or_b32 exec_lo, exec_lo, s0
.LBB113_237:
	s_delay_alu instid0(SALU_CYCLE_1)
	s_or_b32 exec_lo, exec_lo, s4
	v_mov_b32_e32 v118, 0
	ds_load_b64 v[118:119], v118 offset:200
	s_waitcnt lgkmcnt(0)
	v_mul_f64 v[101:102], v[101:102], v[118:119]
	scratch_store_b64 off, v[101:102], off offset:200
.LBB113_238:
	s_or_b32 exec_lo, exec_lo, s3
	scratch_load_b64 v[101:102], off, off offset:192
	v_cmp_lt_u32_e64 s0, 24, v0
	s_waitcnt vmcnt(0)
	ds_store_b64 v104, v[101:102]
	s_waitcnt lgkmcnt(0)
	s_waitcnt_vscnt null, 0x0
	s_barrier
	buffer_gl0_inv
	s_and_saveexec_b32 s3, s0
	s_cbranch_execz .LBB113_248
; %bb.239:
	s_and_not1_b32 vcc_lo, exec_lo, s2
	s_cbranch_vccnz .LBB113_241
; %bb.240:
	scratch_load_b64 v[101:102], v105, off
	ds_load_b64 v[118:119], v104
	s_waitcnt vmcnt(0) lgkmcnt(0)
	v_mul_f64 v[101:102], v[101:102], v[118:119]
	s_cbranch_execz .LBB113_242
	s_branch .LBB113_243
.LBB113_241:
                                        ; implicit-def: $vgpr101_vgpr102
.LBB113_242:
	ds_load_b64 v[101:102], v104
.LBB113_243:
	s_and_saveexec_b32 s4, s1
	s_cbranch_execz .LBB113_247
; %bb.244:
	v_mov_b32_e32 v118, 0
	v_subrev_nc_u32_e32 v119, 25, v0
	s_movk_i32 s5, 0x258
	s_mov_b32 s1, 0
	s_delay_alu instid0(VALU_DEP_2)
	v_add_nc_u32_e32 v118, 0xc8, v118
.LBB113_245:                            ; =>This Inner Loop Header: Depth=1
	scratch_load_b64 v[120:121], v118, off
	v_dual_mov_b32 v122, s5 :: v_dual_add_nc_u32 v119, -1, v119
	v_add_nc_u32_e32 v118, 8, v118
	s_add_i32 s5, s5, 8
	ds_load_b64 v[122:123], v122
	v_cmp_eq_u32_e32 vcc_lo, 0, v119
	s_or_b32 s1, vcc_lo, s1
	s_waitcnt vmcnt(0) lgkmcnt(0)
	v_fma_f64 v[101:102], v[120:121], v[122:123], v[101:102]
	s_and_not1_b32 exec_lo, exec_lo, s1
	s_cbranch_execnz .LBB113_245
; %bb.246:
	s_or_b32 exec_lo, exec_lo, s1
.LBB113_247:
	s_delay_alu instid0(SALU_CYCLE_1)
	s_or_b32 exec_lo, exec_lo, s4
	v_mov_b32_e32 v118, 0
	ds_load_b64 v[118:119], v118 offset:192
	s_waitcnt lgkmcnt(0)
	v_mul_f64 v[101:102], v[101:102], v[118:119]
	scratch_store_b64 off, v[101:102], off offset:192
.LBB113_248:
	s_or_b32 exec_lo, exec_lo, s3
	scratch_load_b64 v[101:102], off, off offset:184
	v_cmp_lt_u32_e64 s1, 23, v0
	s_waitcnt vmcnt(0)
	ds_store_b64 v104, v[101:102]
	s_waitcnt lgkmcnt(0)
	s_waitcnt_vscnt null, 0x0
	s_barrier
	buffer_gl0_inv
	s_and_saveexec_b32 s3, s1
	s_cbranch_execz .LBB113_258
; %bb.249:
	s_and_not1_b32 vcc_lo, exec_lo, s2
	s_cbranch_vccnz .LBB113_251
; %bb.250:
	scratch_load_b64 v[101:102], v105, off
	ds_load_b64 v[118:119], v104
	s_waitcnt vmcnt(0) lgkmcnt(0)
	v_mul_f64 v[101:102], v[101:102], v[118:119]
	s_cbranch_execz .LBB113_252
	s_branch .LBB113_253
.LBB113_251:
                                        ; implicit-def: $vgpr101_vgpr102
.LBB113_252:
	ds_load_b64 v[101:102], v104
.LBB113_253:
	s_and_saveexec_b32 s4, s0
	s_cbranch_execz .LBB113_257
; %bb.254:
	v_subrev_nc_u32_e32 v118, 24, v0
	s_movk_i32 s5, 0x250
	s_mov_b32 s0, 0
.LBB113_255:                            ; =>This Inner Loop Header: Depth=1
	scratch_load_b64 v[119:120], v117, off
	v_dual_mov_b32 v121, s5 :: v_dual_add_nc_u32 v118, -1, v118
	v_add_nc_u32_e32 v117, 8, v117
	s_add_i32 s5, s5, 8
	ds_load_b64 v[121:122], v121
	v_cmp_eq_u32_e32 vcc_lo, 0, v118
	s_or_b32 s0, vcc_lo, s0
	s_waitcnt vmcnt(0) lgkmcnt(0)
	v_fma_f64 v[101:102], v[119:120], v[121:122], v[101:102]
	s_and_not1_b32 exec_lo, exec_lo, s0
	s_cbranch_execnz .LBB113_255
; %bb.256:
	s_or_b32 exec_lo, exec_lo, s0
.LBB113_257:
	s_delay_alu instid0(SALU_CYCLE_1)
	s_or_b32 exec_lo, exec_lo, s4
	v_mov_b32_e32 v117, 0
	ds_load_b64 v[117:118], v117 offset:184
	s_waitcnt lgkmcnt(0)
	v_mul_f64 v[101:102], v[101:102], v[117:118]
	scratch_store_b64 off, v[101:102], off offset:184
.LBB113_258:
	s_or_b32 exec_lo, exec_lo, s3
	scratch_load_b64 v[101:102], off, off offset:176
	v_cmp_lt_u32_e64 s0, 22, v0
	s_waitcnt vmcnt(0)
	ds_store_b64 v104, v[101:102]
	s_waitcnt lgkmcnt(0)
	s_waitcnt_vscnt null, 0x0
	s_barrier
	buffer_gl0_inv
	s_and_saveexec_b32 s3, s0
	s_cbranch_execz .LBB113_268
; %bb.259:
	s_and_not1_b32 vcc_lo, exec_lo, s2
	s_cbranch_vccnz .LBB113_261
; %bb.260:
	scratch_load_b64 v[101:102], v105, off
	ds_load_b64 v[117:118], v104
	s_waitcnt vmcnt(0) lgkmcnt(0)
	v_mul_f64 v[101:102], v[101:102], v[117:118]
	s_cbranch_execz .LBB113_262
	s_branch .LBB113_263
.LBB113_261:
                                        ; implicit-def: $vgpr101_vgpr102
.LBB113_262:
	ds_load_b64 v[101:102], v104
.LBB113_263:
	s_and_saveexec_b32 s4, s1
	s_cbranch_execz .LBB113_267
; %bb.264:
	v_mov_b32_e32 v117, 0
	v_subrev_nc_u32_e32 v118, 23, v0
	s_movk_i32 s5, 0x248
	s_mov_b32 s1, 0
	s_delay_alu instid0(VALU_DEP_2)
	v_add_nc_u32_e32 v117, 0xb8, v117
.LBB113_265:                            ; =>This Inner Loop Header: Depth=1
	scratch_load_b64 v[119:120], v117, off
	v_dual_mov_b32 v121, s5 :: v_dual_add_nc_u32 v118, -1, v118
	v_add_nc_u32_e32 v117, 8, v117
	s_add_i32 s5, s5, 8
	ds_load_b64 v[121:122], v121
	v_cmp_eq_u32_e32 vcc_lo, 0, v118
	s_or_b32 s1, vcc_lo, s1
	s_waitcnt vmcnt(0) lgkmcnt(0)
	v_fma_f64 v[101:102], v[119:120], v[121:122], v[101:102]
	s_and_not1_b32 exec_lo, exec_lo, s1
	s_cbranch_execnz .LBB113_265
; %bb.266:
	s_or_b32 exec_lo, exec_lo, s1
.LBB113_267:
	s_delay_alu instid0(SALU_CYCLE_1)
	s_or_b32 exec_lo, exec_lo, s4
	v_mov_b32_e32 v117, 0
	ds_load_b64 v[117:118], v117 offset:176
	s_waitcnt lgkmcnt(0)
	v_mul_f64 v[101:102], v[101:102], v[117:118]
	scratch_store_b64 off, v[101:102], off offset:176
.LBB113_268:
	s_or_b32 exec_lo, exec_lo, s3
	scratch_load_b64 v[101:102], off, off offset:168
	v_cmp_lt_u32_e64 s1, 21, v0
	s_waitcnt vmcnt(0)
	ds_store_b64 v104, v[101:102]
	s_waitcnt lgkmcnt(0)
	s_waitcnt_vscnt null, 0x0
	s_barrier
	buffer_gl0_inv
	s_and_saveexec_b32 s3, s1
	s_cbranch_execz .LBB113_278
; %bb.269:
	s_and_not1_b32 vcc_lo, exec_lo, s2
	s_cbranch_vccnz .LBB113_271
; %bb.270:
	scratch_load_b64 v[101:102], v105, off
	ds_load_b64 v[117:118], v104
	s_waitcnt vmcnt(0) lgkmcnt(0)
	v_mul_f64 v[101:102], v[101:102], v[117:118]
	s_cbranch_execz .LBB113_272
	s_branch .LBB113_273
.LBB113_271:
                                        ; implicit-def: $vgpr101_vgpr102
.LBB113_272:
	ds_load_b64 v[101:102], v104
.LBB113_273:
	s_and_saveexec_b32 s4, s0
	s_cbranch_execz .LBB113_277
; %bb.274:
	v_subrev_nc_u32_e32 v117, 22, v0
	s_movk_i32 s5, 0x240
	s_mov_b32 s0, 0
.LBB113_275:                            ; =>This Inner Loop Header: Depth=1
	scratch_load_b64 v[118:119], v116, off
	v_dual_mov_b32 v120, s5 :: v_dual_add_nc_u32 v117, -1, v117
	v_add_nc_u32_e32 v116, 8, v116
	s_add_i32 s5, s5, 8
	ds_load_b64 v[120:121], v120
	v_cmp_eq_u32_e32 vcc_lo, 0, v117
	s_or_b32 s0, vcc_lo, s0
	s_waitcnt vmcnt(0) lgkmcnt(0)
	v_fma_f64 v[101:102], v[118:119], v[120:121], v[101:102]
	s_and_not1_b32 exec_lo, exec_lo, s0
	s_cbranch_execnz .LBB113_275
; %bb.276:
	s_or_b32 exec_lo, exec_lo, s0
.LBB113_277:
	s_delay_alu instid0(SALU_CYCLE_1)
	s_or_b32 exec_lo, exec_lo, s4
	v_mov_b32_e32 v116, 0
	ds_load_b64 v[116:117], v116 offset:168
	s_waitcnt lgkmcnt(0)
	v_mul_f64 v[101:102], v[101:102], v[116:117]
	scratch_store_b64 off, v[101:102], off offset:168
.LBB113_278:
	s_or_b32 exec_lo, exec_lo, s3
	scratch_load_b64 v[101:102], off, off offset:160
	v_cmp_lt_u32_e64 s0, 20, v0
	s_waitcnt vmcnt(0)
	ds_store_b64 v104, v[101:102]
	s_waitcnt lgkmcnt(0)
	s_waitcnt_vscnt null, 0x0
	s_barrier
	buffer_gl0_inv
	s_and_saveexec_b32 s3, s0
	s_cbranch_execz .LBB113_288
; %bb.279:
	s_and_not1_b32 vcc_lo, exec_lo, s2
	s_cbranch_vccnz .LBB113_281
; %bb.280:
	scratch_load_b64 v[101:102], v105, off
	ds_load_b64 v[116:117], v104
	s_waitcnt vmcnt(0) lgkmcnt(0)
	v_mul_f64 v[101:102], v[101:102], v[116:117]
	s_cbranch_execz .LBB113_282
	s_branch .LBB113_283
.LBB113_281:
                                        ; implicit-def: $vgpr101_vgpr102
.LBB113_282:
	ds_load_b64 v[101:102], v104
.LBB113_283:
	s_and_saveexec_b32 s4, s1
	s_cbranch_execz .LBB113_287
; %bb.284:
	v_mov_b32_e32 v116, 0
	v_subrev_nc_u32_e32 v117, 21, v0
	s_movk_i32 s5, 0x238
	s_mov_b32 s1, 0
	s_delay_alu instid0(VALU_DEP_2)
	v_add_nc_u32_e32 v116, 0xa8, v116
.LBB113_285:                            ; =>This Inner Loop Header: Depth=1
	scratch_load_b64 v[118:119], v116, off
	v_dual_mov_b32 v120, s5 :: v_dual_add_nc_u32 v117, -1, v117
	v_add_nc_u32_e32 v116, 8, v116
	s_add_i32 s5, s5, 8
	ds_load_b64 v[120:121], v120
	v_cmp_eq_u32_e32 vcc_lo, 0, v117
	s_or_b32 s1, vcc_lo, s1
	s_waitcnt vmcnt(0) lgkmcnt(0)
	v_fma_f64 v[101:102], v[118:119], v[120:121], v[101:102]
	s_and_not1_b32 exec_lo, exec_lo, s1
	s_cbranch_execnz .LBB113_285
; %bb.286:
	s_or_b32 exec_lo, exec_lo, s1
.LBB113_287:
	s_delay_alu instid0(SALU_CYCLE_1)
	s_or_b32 exec_lo, exec_lo, s4
	v_mov_b32_e32 v116, 0
	ds_load_b64 v[116:117], v116 offset:160
	s_waitcnt lgkmcnt(0)
	v_mul_f64 v[101:102], v[101:102], v[116:117]
	scratch_store_b64 off, v[101:102], off offset:160
.LBB113_288:
	s_or_b32 exec_lo, exec_lo, s3
	scratch_load_b64 v[101:102], off, off offset:152
	v_cmp_lt_u32_e64 s1, 19, v0
	s_waitcnt vmcnt(0)
	ds_store_b64 v104, v[101:102]
	s_waitcnt lgkmcnt(0)
	s_waitcnt_vscnt null, 0x0
	s_barrier
	buffer_gl0_inv
	s_and_saveexec_b32 s3, s1
	s_cbranch_execz .LBB113_298
; %bb.289:
	s_and_not1_b32 vcc_lo, exec_lo, s2
	s_cbranch_vccnz .LBB113_291
; %bb.290:
	scratch_load_b64 v[101:102], v105, off
	ds_load_b64 v[116:117], v104
	s_waitcnt vmcnt(0) lgkmcnt(0)
	v_mul_f64 v[101:102], v[101:102], v[116:117]
	s_cbranch_execz .LBB113_292
	s_branch .LBB113_293
.LBB113_291:
                                        ; implicit-def: $vgpr101_vgpr102
.LBB113_292:
	ds_load_b64 v[101:102], v104
.LBB113_293:
	s_and_saveexec_b32 s4, s0
	s_cbranch_execz .LBB113_297
; %bb.294:
	v_subrev_nc_u32_e32 v116, 20, v0
	s_movk_i32 s5, 0x230
	s_mov_b32 s0, 0
.LBB113_295:                            ; =>This Inner Loop Header: Depth=1
	scratch_load_b64 v[117:118], v115, off
	v_dual_mov_b32 v119, s5 :: v_dual_add_nc_u32 v116, -1, v116
	v_add_nc_u32_e32 v115, 8, v115
	s_add_i32 s5, s5, 8
	ds_load_b64 v[119:120], v119
	v_cmp_eq_u32_e32 vcc_lo, 0, v116
	s_or_b32 s0, vcc_lo, s0
	s_waitcnt vmcnt(0) lgkmcnt(0)
	v_fma_f64 v[101:102], v[117:118], v[119:120], v[101:102]
	s_and_not1_b32 exec_lo, exec_lo, s0
	s_cbranch_execnz .LBB113_295
; %bb.296:
	s_or_b32 exec_lo, exec_lo, s0
.LBB113_297:
	s_delay_alu instid0(SALU_CYCLE_1)
	s_or_b32 exec_lo, exec_lo, s4
	v_mov_b32_e32 v115, 0
	ds_load_b64 v[115:116], v115 offset:152
	s_waitcnt lgkmcnt(0)
	v_mul_f64 v[101:102], v[101:102], v[115:116]
	scratch_store_b64 off, v[101:102], off offset:152
.LBB113_298:
	s_or_b32 exec_lo, exec_lo, s3
	scratch_load_b64 v[101:102], off, off offset:144
	v_cmp_lt_u32_e64 s0, 18, v0
	s_waitcnt vmcnt(0)
	ds_store_b64 v104, v[101:102]
	s_waitcnt lgkmcnt(0)
	s_waitcnt_vscnt null, 0x0
	s_barrier
	buffer_gl0_inv
	s_and_saveexec_b32 s3, s0
	s_cbranch_execz .LBB113_308
; %bb.299:
	s_and_not1_b32 vcc_lo, exec_lo, s2
	s_cbranch_vccnz .LBB113_301
; %bb.300:
	scratch_load_b64 v[101:102], v105, off
	ds_load_b64 v[115:116], v104
	s_waitcnt vmcnt(0) lgkmcnt(0)
	v_mul_f64 v[101:102], v[101:102], v[115:116]
	s_cbranch_execz .LBB113_302
	s_branch .LBB113_303
.LBB113_301:
                                        ; implicit-def: $vgpr101_vgpr102
.LBB113_302:
	ds_load_b64 v[101:102], v104
.LBB113_303:
	s_and_saveexec_b32 s4, s1
	s_cbranch_execz .LBB113_307
; %bb.304:
	v_mov_b32_e32 v115, 0
	v_subrev_nc_u32_e32 v116, 19, v0
	s_movk_i32 s5, 0x228
	s_mov_b32 s1, 0
	s_delay_alu instid0(VALU_DEP_2)
	v_add_nc_u32_e32 v115, 0x98, v115
.LBB113_305:                            ; =>This Inner Loop Header: Depth=1
	scratch_load_b64 v[117:118], v115, off
	v_dual_mov_b32 v119, s5 :: v_dual_add_nc_u32 v116, -1, v116
	v_add_nc_u32_e32 v115, 8, v115
	s_add_i32 s5, s5, 8
	ds_load_b64 v[119:120], v119
	v_cmp_eq_u32_e32 vcc_lo, 0, v116
	s_or_b32 s1, vcc_lo, s1
	s_waitcnt vmcnt(0) lgkmcnt(0)
	v_fma_f64 v[101:102], v[117:118], v[119:120], v[101:102]
	s_and_not1_b32 exec_lo, exec_lo, s1
	s_cbranch_execnz .LBB113_305
; %bb.306:
	s_or_b32 exec_lo, exec_lo, s1
.LBB113_307:
	s_delay_alu instid0(SALU_CYCLE_1)
	s_or_b32 exec_lo, exec_lo, s4
	v_mov_b32_e32 v115, 0
	ds_load_b64 v[115:116], v115 offset:144
	s_waitcnt lgkmcnt(0)
	v_mul_f64 v[101:102], v[101:102], v[115:116]
	scratch_store_b64 off, v[101:102], off offset:144
.LBB113_308:
	s_or_b32 exec_lo, exec_lo, s3
	scratch_load_b64 v[101:102], off, off offset:136
	v_cmp_lt_u32_e64 s1, 17, v0
	s_waitcnt vmcnt(0)
	ds_store_b64 v104, v[101:102]
	s_waitcnt lgkmcnt(0)
	s_waitcnt_vscnt null, 0x0
	s_barrier
	buffer_gl0_inv
	s_and_saveexec_b32 s3, s1
	s_cbranch_execz .LBB113_318
; %bb.309:
	s_and_not1_b32 vcc_lo, exec_lo, s2
	s_cbranch_vccnz .LBB113_311
; %bb.310:
	scratch_load_b64 v[101:102], v105, off
	ds_load_b64 v[115:116], v104
	s_waitcnt vmcnt(0) lgkmcnt(0)
	v_mul_f64 v[101:102], v[101:102], v[115:116]
	s_cbranch_execz .LBB113_312
	s_branch .LBB113_313
.LBB113_311:
                                        ; implicit-def: $vgpr101_vgpr102
.LBB113_312:
	ds_load_b64 v[101:102], v104
.LBB113_313:
	s_and_saveexec_b32 s4, s0
	s_cbranch_execz .LBB113_317
; %bb.314:
	v_subrev_nc_u32_e32 v115, 18, v0
	s_movk_i32 s5, 0x220
	s_mov_b32 s0, 0
.LBB113_315:                            ; =>This Inner Loop Header: Depth=1
	scratch_load_b64 v[116:117], v114, off
	v_dual_mov_b32 v118, s5 :: v_dual_add_nc_u32 v115, -1, v115
	v_add_nc_u32_e32 v114, 8, v114
	s_add_i32 s5, s5, 8
	ds_load_b64 v[118:119], v118
	v_cmp_eq_u32_e32 vcc_lo, 0, v115
	s_or_b32 s0, vcc_lo, s0
	s_waitcnt vmcnt(0) lgkmcnt(0)
	v_fma_f64 v[101:102], v[116:117], v[118:119], v[101:102]
	s_and_not1_b32 exec_lo, exec_lo, s0
	s_cbranch_execnz .LBB113_315
; %bb.316:
	s_or_b32 exec_lo, exec_lo, s0
.LBB113_317:
	s_delay_alu instid0(SALU_CYCLE_1)
	s_or_b32 exec_lo, exec_lo, s4
	v_mov_b32_e32 v114, 0
	ds_load_b64 v[114:115], v114 offset:136
	s_waitcnt lgkmcnt(0)
	v_mul_f64 v[101:102], v[101:102], v[114:115]
	scratch_store_b64 off, v[101:102], off offset:136
.LBB113_318:
	s_or_b32 exec_lo, exec_lo, s3
	scratch_load_b64 v[101:102], off, off offset:128
	v_cmp_lt_u32_e64 s0, 16, v0
	s_waitcnt vmcnt(0)
	ds_store_b64 v104, v[101:102]
	s_waitcnt lgkmcnt(0)
	s_waitcnt_vscnt null, 0x0
	s_barrier
	buffer_gl0_inv
	s_and_saveexec_b32 s3, s0
	s_cbranch_execz .LBB113_328
; %bb.319:
	s_and_not1_b32 vcc_lo, exec_lo, s2
	s_cbranch_vccnz .LBB113_321
; %bb.320:
	scratch_load_b64 v[101:102], v105, off
	ds_load_b64 v[114:115], v104
	s_waitcnt vmcnt(0) lgkmcnt(0)
	v_mul_f64 v[101:102], v[101:102], v[114:115]
	s_cbranch_execz .LBB113_322
	s_branch .LBB113_323
.LBB113_321:
                                        ; implicit-def: $vgpr101_vgpr102
.LBB113_322:
	ds_load_b64 v[101:102], v104
.LBB113_323:
	s_and_saveexec_b32 s4, s1
	s_cbranch_execz .LBB113_327
; %bb.324:
	v_mov_b32_e32 v114, 0
	v_subrev_nc_u32_e32 v115, 17, v0
	s_movk_i32 s5, 0x218
	s_mov_b32 s1, 0
	s_delay_alu instid0(VALU_DEP_2)
	v_add_nc_u32_e32 v114, 0x88, v114
.LBB113_325:                            ; =>This Inner Loop Header: Depth=1
	scratch_load_b64 v[116:117], v114, off
	v_dual_mov_b32 v118, s5 :: v_dual_add_nc_u32 v115, -1, v115
	v_add_nc_u32_e32 v114, 8, v114
	s_add_i32 s5, s5, 8
	ds_load_b64 v[118:119], v118
	v_cmp_eq_u32_e32 vcc_lo, 0, v115
	s_or_b32 s1, vcc_lo, s1
	s_waitcnt vmcnt(0) lgkmcnt(0)
	v_fma_f64 v[101:102], v[116:117], v[118:119], v[101:102]
	s_and_not1_b32 exec_lo, exec_lo, s1
	s_cbranch_execnz .LBB113_325
; %bb.326:
	s_or_b32 exec_lo, exec_lo, s1
.LBB113_327:
	s_delay_alu instid0(SALU_CYCLE_1)
	s_or_b32 exec_lo, exec_lo, s4
	v_mov_b32_e32 v114, 0
	ds_load_b64 v[114:115], v114 offset:128
	s_waitcnt lgkmcnt(0)
	v_mul_f64 v[101:102], v[101:102], v[114:115]
	scratch_store_b64 off, v[101:102], off offset:128
.LBB113_328:
	s_or_b32 exec_lo, exec_lo, s3
	scratch_load_b64 v[101:102], off, off offset:120
	v_cmp_lt_u32_e64 s1, 15, v0
	s_waitcnt vmcnt(0)
	ds_store_b64 v104, v[101:102]
	s_waitcnt lgkmcnt(0)
	s_waitcnt_vscnt null, 0x0
	s_barrier
	buffer_gl0_inv
	s_and_saveexec_b32 s3, s1
	s_cbranch_execz .LBB113_338
; %bb.329:
	s_and_not1_b32 vcc_lo, exec_lo, s2
	s_cbranch_vccnz .LBB113_331
; %bb.330:
	scratch_load_b64 v[101:102], v105, off
	ds_load_b64 v[114:115], v104
	s_waitcnt vmcnt(0) lgkmcnt(0)
	v_mul_f64 v[101:102], v[101:102], v[114:115]
	s_cbranch_execz .LBB113_332
	s_branch .LBB113_333
.LBB113_331:
                                        ; implicit-def: $vgpr101_vgpr102
.LBB113_332:
	ds_load_b64 v[101:102], v104
.LBB113_333:
	s_and_saveexec_b32 s4, s0
	s_cbranch_execz .LBB113_337
; %bb.334:
	v_add_nc_u32_e32 v114, -16, v0
	s_movk_i32 s5, 0x210
	s_mov_b32 s0, 0
.LBB113_335:                            ; =>This Inner Loop Header: Depth=1
	scratch_load_b64 v[115:116], v113, off
	v_dual_mov_b32 v117, s5 :: v_dual_add_nc_u32 v114, -1, v114
	v_add_nc_u32_e32 v113, 8, v113
	s_add_i32 s5, s5, 8
	ds_load_b64 v[117:118], v117
	v_cmp_eq_u32_e32 vcc_lo, 0, v114
	s_or_b32 s0, vcc_lo, s0
	s_waitcnt vmcnt(0) lgkmcnt(0)
	v_fma_f64 v[101:102], v[115:116], v[117:118], v[101:102]
	s_and_not1_b32 exec_lo, exec_lo, s0
	s_cbranch_execnz .LBB113_335
; %bb.336:
	s_or_b32 exec_lo, exec_lo, s0
.LBB113_337:
	s_delay_alu instid0(SALU_CYCLE_1)
	s_or_b32 exec_lo, exec_lo, s4
	v_mov_b32_e32 v113, 0
	ds_load_b64 v[113:114], v113 offset:120
	s_waitcnt lgkmcnt(0)
	v_mul_f64 v[101:102], v[101:102], v[113:114]
	scratch_store_b64 off, v[101:102], off offset:120
.LBB113_338:
	s_or_b32 exec_lo, exec_lo, s3
	scratch_load_b64 v[101:102], off, off offset:112
	v_cmp_lt_u32_e64 s0, 14, v0
	s_waitcnt vmcnt(0)
	ds_store_b64 v104, v[101:102]
	s_waitcnt lgkmcnt(0)
	s_waitcnt_vscnt null, 0x0
	s_barrier
	buffer_gl0_inv
	s_and_saveexec_b32 s3, s0
	s_cbranch_execz .LBB113_348
; %bb.339:
	s_and_not1_b32 vcc_lo, exec_lo, s2
	s_cbranch_vccnz .LBB113_341
; %bb.340:
	scratch_load_b64 v[101:102], v105, off
	ds_load_b64 v[113:114], v104
	s_waitcnt vmcnt(0) lgkmcnt(0)
	v_mul_f64 v[101:102], v[101:102], v[113:114]
	s_cbranch_execz .LBB113_342
	s_branch .LBB113_343
.LBB113_341:
                                        ; implicit-def: $vgpr101_vgpr102
.LBB113_342:
	ds_load_b64 v[101:102], v104
.LBB113_343:
	s_and_saveexec_b32 s4, s1
	s_cbranch_execz .LBB113_347
; %bb.344:
	v_dual_mov_b32 v113, 0 :: v_dual_add_nc_u32 v114, -15, v0
	s_movk_i32 s5, 0x208
	s_mov_b32 s1, 0
	s_delay_alu instid0(VALU_DEP_1)
	v_add_nc_u32_e32 v113, 0x78, v113
.LBB113_345:                            ; =>This Inner Loop Header: Depth=1
	scratch_load_b64 v[115:116], v113, off
	v_dual_mov_b32 v117, s5 :: v_dual_add_nc_u32 v114, -1, v114
	v_add_nc_u32_e32 v113, 8, v113
	s_add_i32 s5, s5, 8
	ds_load_b64 v[117:118], v117
	v_cmp_eq_u32_e32 vcc_lo, 0, v114
	s_or_b32 s1, vcc_lo, s1
	s_waitcnt vmcnt(0) lgkmcnt(0)
	v_fma_f64 v[101:102], v[115:116], v[117:118], v[101:102]
	s_and_not1_b32 exec_lo, exec_lo, s1
	s_cbranch_execnz .LBB113_345
; %bb.346:
	s_or_b32 exec_lo, exec_lo, s1
.LBB113_347:
	s_delay_alu instid0(SALU_CYCLE_1)
	s_or_b32 exec_lo, exec_lo, s4
	v_mov_b32_e32 v113, 0
	ds_load_b64 v[113:114], v113 offset:112
	s_waitcnt lgkmcnt(0)
	v_mul_f64 v[101:102], v[101:102], v[113:114]
	scratch_store_b64 off, v[101:102], off offset:112
.LBB113_348:
	s_or_b32 exec_lo, exec_lo, s3
	scratch_load_b64 v[101:102], off, off offset:104
	v_cmp_lt_u32_e64 s1, 13, v0
	s_waitcnt vmcnt(0)
	ds_store_b64 v104, v[101:102]
	s_waitcnt lgkmcnt(0)
	s_waitcnt_vscnt null, 0x0
	s_barrier
	buffer_gl0_inv
	s_and_saveexec_b32 s3, s1
	s_cbranch_execz .LBB113_358
; %bb.349:
	s_and_not1_b32 vcc_lo, exec_lo, s2
	s_cbranch_vccnz .LBB113_351
; %bb.350:
	scratch_load_b64 v[101:102], v105, off
	ds_load_b64 v[113:114], v104
	s_waitcnt vmcnt(0) lgkmcnt(0)
	v_mul_f64 v[101:102], v[101:102], v[113:114]
	s_cbranch_execz .LBB113_352
	s_branch .LBB113_353
.LBB113_351:
                                        ; implicit-def: $vgpr101_vgpr102
.LBB113_352:
	ds_load_b64 v[101:102], v104
.LBB113_353:
	s_and_saveexec_b32 s4, s0
	s_cbranch_execz .LBB113_357
; %bb.354:
	v_add_nc_u32_e32 v113, -14, v0
	s_movk_i32 s5, 0x200
	s_mov_b32 s0, 0
.LBB113_355:                            ; =>This Inner Loop Header: Depth=1
	scratch_load_b64 v[114:115], v112, off
	v_dual_mov_b32 v116, s5 :: v_dual_add_nc_u32 v113, -1, v113
	v_add_nc_u32_e32 v112, 8, v112
	s_add_i32 s5, s5, 8
	ds_load_b64 v[116:117], v116
	v_cmp_eq_u32_e32 vcc_lo, 0, v113
	s_or_b32 s0, vcc_lo, s0
	s_waitcnt vmcnt(0) lgkmcnt(0)
	v_fma_f64 v[101:102], v[114:115], v[116:117], v[101:102]
	s_and_not1_b32 exec_lo, exec_lo, s0
	s_cbranch_execnz .LBB113_355
; %bb.356:
	s_or_b32 exec_lo, exec_lo, s0
.LBB113_357:
	s_delay_alu instid0(SALU_CYCLE_1)
	s_or_b32 exec_lo, exec_lo, s4
	v_mov_b32_e32 v112, 0
	ds_load_b64 v[112:113], v112 offset:104
	s_waitcnt lgkmcnt(0)
	v_mul_f64 v[101:102], v[101:102], v[112:113]
	scratch_store_b64 off, v[101:102], off offset:104
.LBB113_358:
	s_or_b32 exec_lo, exec_lo, s3
	scratch_load_b64 v[101:102], off, off offset:96
	v_cmp_lt_u32_e64 s0, 12, v0
	s_waitcnt vmcnt(0)
	ds_store_b64 v104, v[101:102]
	s_waitcnt lgkmcnt(0)
	s_waitcnt_vscnt null, 0x0
	s_barrier
	buffer_gl0_inv
	s_and_saveexec_b32 s3, s0
	s_cbranch_execz .LBB113_368
; %bb.359:
	s_and_not1_b32 vcc_lo, exec_lo, s2
	s_cbranch_vccnz .LBB113_361
; %bb.360:
	scratch_load_b64 v[101:102], v105, off
	ds_load_b64 v[112:113], v104
	s_waitcnt vmcnt(0) lgkmcnt(0)
	v_mul_f64 v[101:102], v[101:102], v[112:113]
	s_cbranch_execz .LBB113_362
	s_branch .LBB113_363
.LBB113_361:
                                        ; implicit-def: $vgpr101_vgpr102
.LBB113_362:
	ds_load_b64 v[101:102], v104
.LBB113_363:
	s_and_saveexec_b32 s4, s1
	s_cbranch_execz .LBB113_367
; %bb.364:
	v_dual_mov_b32 v112, 0 :: v_dual_add_nc_u32 v113, -13, v0
	s_movk_i32 s5, 0x1f8
	s_mov_b32 s1, 0
	s_delay_alu instid0(VALU_DEP_1)
	v_add_nc_u32_e32 v112, 0x68, v112
.LBB113_365:                            ; =>This Inner Loop Header: Depth=1
	scratch_load_b64 v[114:115], v112, off
	v_dual_mov_b32 v116, s5 :: v_dual_add_nc_u32 v113, -1, v113
	v_add_nc_u32_e32 v112, 8, v112
	s_add_i32 s5, s5, 8
	ds_load_b64 v[116:117], v116
	v_cmp_eq_u32_e32 vcc_lo, 0, v113
	s_or_b32 s1, vcc_lo, s1
	s_waitcnt vmcnt(0) lgkmcnt(0)
	v_fma_f64 v[101:102], v[114:115], v[116:117], v[101:102]
	s_and_not1_b32 exec_lo, exec_lo, s1
	s_cbranch_execnz .LBB113_365
; %bb.366:
	s_or_b32 exec_lo, exec_lo, s1
.LBB113_367:
	s_delay_alu instid0(SALU_CYCLE_1)
	s_or_b32 exec_lo, exec_lo, s4
	v_mov_b32_e32 v112, 0
	ds_load_b64 v[112:113], v112 offset:96
	s_waitcnt lgkmcnt(0)
	v_mul_f64 v[101:102], v[101:102], v[112:113]
	scratch_store_b64 off, v[101:102], off offset:96
.LBB113_368:
	s_or_b32 exec_lo, exec_lo, s3
	scratch_load_b64 v[101:102], off, off offset:88
	v_cmp_lt_u32_e64 s1, 11, v0
	s_waitcnt vmcnt(0)
	ds_store_b64 v104, v[101:102]
	s_waitcnt lgkmcnt(0)
	s_waitcnt_vscnt null, 0x0
	s_barrier
	buffer_gl0_inv
	s_and_saveexec_b32 s3, s1
	s_cbranch_execz .LBB113_378
; %bb.369:
	s_and_not1_b32 vcc_lo, exec_lo, s2
	s_cbranch_vccnz .LBB113_371
; %bb.370:
	scratch_load_b64 v[101:102], v105, off
	ds_load_b64 v[112:113], v104
	s_waitcnt vmcnt(0) lgkmcnt(0)
	v_mul_f64 v[101:102], v[101:102], v[112:113]
	s_cbranch_execz .LBB113_372
	s_branch .LBB113_373
.LBB113_371:
                                        ; implicit-def: $vgpr101_vgpr102
.LBB113_372:
	ds_load_b64 v[101:102], v104
.LBB113_373:
	s_and_saveexec_b32 s4, s0
	s_cbranch_execz .LBB113_377
; %bb.374:
	v_add_nc_u32_e32 v112, -12, v0
	s_movk_i32 s5, 0x1f0
	s_mov_b32 s0, 0
.LBB113_375:                            ; =>This Inner Loop Header: Depth=1
	scratch_load_b64 v[113:114], v111, off
	v_dual_mov_b32 v115, s5 :: v_dual_add_nc_u32 v112, -1, v112
	v_add_nc_u32_e32 v111, 8, v111
	s_add_i32 s5, s5, 8
	ds_load_b64 v[115:116], v115
	v_cmp_eq_u32_e32 vcc_lo, 0, v112
	s_or_b32 s0, vcc_lo, s0
	s_waitcnt vmcnt(0) lgkmcnt(0)
	v_fma_f64 v[101:102], v[113:114], v[115:116], v[101:102]
	s_and_not1_b32 exec_lo, exec_lo, s0
	s_cbranch_execnz .LBB113_375
; %bb.376:
	s_or_b32 exec_lo, exec_lo, s0
.LBB113_377:
	s_delay_alu instid0(SALU_CYCLE_1)
	s_or_b32 exec_lo, exec_lo, s4
	v_mov_b32_e32 v111, 0
	ds_load_b64 v[111:112], v111 offset:88
	s_waitcnt lgkmcnt(0)
	v_mul_f64 v[101:102], v[101:102], v[111:112]
	scratch_store_b64 off, v[101:102], off offset:88
.LBB113_378:
	s_or_b32 exec_lo, exec_lo, s3
	scratch_load_b64 v[101:102], off, off offset:80
	v_cmp_lt_u32_e64 s0, 10, v0
	s_waitcnt vmcnt(0)
	ds_store_b64 v104, v[101:102]
	s_waitcnt lgkmcnt(0)
	s_waitcnt_vscnt null, 0x0
	s_barrier
	buffer_gl0_inv
	s_and_saveexec_b32 s3, s0
	s_cbranch_execz .LBB113_388
; %bb.379:
	s_and_not1_b32 vcc_lo, exec_lo, s2
	s_cbranch_vccnz .LBB113_381
; %bb.380:
	scratch_load_b64 v[101:102], v105, off
	ds_load_b64 v[111:112], v104
	s_waitcnt vmcnt(0) lgkmcnt(0)
	v_mul_f64 v[101:102], v[101:102], v[111:112]
	s_cbranch_execz .LBB113_382
	s_branch .LBB113_383
.LBB113_381:
                                        ; implicit-def: $vgpr101_vgpr102
.LBB113_382:
	ds_load_b64 v[101:102], v104
.LBB113_383:
	s_and_saveexec_b32 s4, s1
	s_cbranch_execz .LBB113_387
; %bb.384:
	v_dual_mov_b32 v111, 0 :: v_dual_add_nc_u32 v112, -11, v0
	s_movk_i32 s5, 0x1e8
	s_mov_b32 s1, 0
	s_delay_alu instid0(VALU_DEP_1)
	v_add_nc_u32_e32 v111, 0x58, v111
.LBB113_385:                            ; =>This Inner Loop Header: Depth=1
	scratch_load_b64 v[113:114], v111, off
	v_dual_mov_b32 v115, s5 :: v_dual_add_nc_u32 v112, -1, v112
	v_add_nc_u32_e32 v111, 8, v111
	s_add_i32 s5, s5, 8
	ds_load_b64 v[115:116], v115
	v_cmp_eq_u32_e32 vcc_lo, 0, v112
	s_or_b32 s1, vcc_lo, s1
	s_waitcnt vmcnt(0) lgkmcnt(0)
	v_fma_f64 v[101:102], v[113:114], v[115:116], v[101:102]
	s_and_not1_b32 exec_lo, exec_lo, s1
	s_cbranch_execnz .LBB113_385
; %bb.386:
	s_or_b32 exec_lo, exec_lo, s1
.LBB113_387:
	s_delay_alu instid0(SALU_CYCLE_1)
	s_or_b32 exec_lo, exec_lo, s4
	v_mov_b32_e32 v111, 0
	ds_load_b64 v[111:112], v111 offset:80
	s_waitcnt lgkmcnt(0)
	v_mul_f64 v[101:102], v[101:102], v[111:112]
	scratch_store_b64 off, v[101:102], off offset:80
.LBB113_388:
	s_or_b32 exec_lo, exec_lo, s3
	scratch_load_b64 v[101:102], off, off offset:72
	v_cmp_lt_u32_e64 s1, 9, v0
	s_waitcnt vmcnt(0)
	ds_store_b64 v104, v[101:102]
	s_waitcnt lgkmcnt(0)
	s_waitcnt_vscnt null, 0x0
	s_barrier
	buffer_gl0_inv
	s_and_saveexec_b32 s3, s1
	s_cbranch_execz .LBB113_398
; %bb.389:
	s_and_not1_b32 vcc_lo, exec_lo, s2
	s_cbranch_vccnz .LBB113_391
; %bb.390:
	scratch_load_b64 v[101:102], v105, off
	ds_load_b64 v[111:112], v104
	s_waitcnt vmcnt(0) lgkmcnt(0)
	v_mul_f64 v[101:102], v[101:102], v[111:112]
	s_cbranch_execz .LBB113_392
	s_branch .LBB113_393
.LBB113_391:
                                        ; implicit-def: $vgpr101_vgpr102
.LBB113_392:
	ds_load_b64 v[101:102], v104
.LBB113_393:
	s_and_saveexec_b32 s4, s0
	s_cbranch_execz .LBB113_397
; %bb.394:
	v_add_nc_u32_e32 v111, -10, v0
	s_movk_i32 s5, 0x1e0
	s_mov_b32 s0, 0
.LBB113_395:                            ; =>This Inner Loop Header: Depth=1
	scratch_load_b64 v[112:113], v110, off
	v_dual_mov_b32 v114, s5 :: v_dual_add_nc_u32 v111, -1, v111
	v_add_nc_u32_e32 v110, 8, v110
	s_add_i32 s5, s5, 8
	ds_load_b64 v[114:115], v114
	v_cmp_eq_u32_e32 vcc_lo, 0, v111
	s_or_b32 s0, vcc_lo, s0
	s_waitcnt vmcnt(0) lgkmcnt(0)
	v_fma_f64 v[101:102], v[112:113], v[114:115], v[101:102]
	s_and_not1_b32 exec_lo, exec_lo, s0
	s_cbranch_execnz .LBB113_395
; %bb.396:
	s_or_b32 exec_lo, exec_lo, s0
.LBB113_397:
	s_delay_alu instid0(SALU_CYCLE_1)
	s_or_b32 exec_lo, exec_lo, s4
	v_mov_b32_e32 v110, 0
	ds_load_b64 v[110:111], v110 offset:72
	s_waitcnt lgkmcnt(0)
	v_mul_f64 v[101:102], v[101:102], v[110:111]
	scratch_store_b64 off, v[101:102], off offset:72
.LBB113_398:
	s_or_b32 exec_lo, exec_lo, s3
	scratch_load_b64 v[101:102], off, off offset:64
	v_cmp_lt_u32_e64 s0, 8, v0
	s_waitcnt vmcnt(0)
	ds_store_b64 v104, v[101:102]
	s_waitcnt lgkmcnt(0)
	s_waitcnt_vscnt null, 0x0
	s_barrier
	buffer_gl0_inv
	s_and_saveexec_b32 s3, s0
	s_cbranch_execz .LBB113_408
; %bb.399:
	s_and_not1_b32 vcc_lo, exec_lo, s2
	s_cbranch_vccnz .LBB113_401
; %bb.400:
	scratch_load_b64 v[101:102], v105, off
	ds_load_b64 v[110:111], v104
	s_waitcnt vmcnt(0) lgkmcnt(0)
	v_mul_f64 v[101:102], v[101:102], v[110:111]
	s_cbranch_execz .LBB113_402
	s_branch .LBB113_403
.LBB113_401:
                                        ; implicit-def: $vgpr101_vgpr102
.LBB113_402:
	ds_load_b64 v[101:102], v104
.LBB113_403:
	s_and_saveexec_b32 s4, s1
	s_cbranch_execz .LBB113_407
; %bb.404:
	v_dual_mov_b32 v110, 0 :: v_dual_add_nc_u32 v111, -9, v0
	s_movk_i32 s5, 0x1d8
	s_mov_b32 s1, 0
	s_delay_alu instid0(VALU_DEP_1)
	v_add_nc_u32_e32 v110, 0x48, v110
.LBB113_405:                            ; =>This Inner Loop Header: Depth=1
	scratch_load_b64 v[112:113], v110, off
	v_dual_mov_b32 v114, s5 :: v_dual_add_nc_u32 v111, -1, v111
	v_add_nc_u32_e32 v110, 8, v110
	s_add_i32 s5, s5, 8
	ds_load_b64 v[114:115], v114
	v_cmp_eq_u32_e32 vcc_lo, 0, v111
	s_or_b32 s1, vcc_lo, s1
	s_waitcnt vmcnt(0) lgkmcnt(0)
	v_fma_f64 v[101:102], v[112:113], v[114:115], v[101:102]
	s_and_not1_b32 exec_lo, exec_lo, s1
	s_cbranch_execnz .LBB113_405
; %bb.406:
	s_or_b32 exec_lo, exec_lo, s1
.LBB113_407:
	s_delay_alu instid0(SALU_CYCLE_1)
	s_or_b32 exec_lo, exec_lo, s4
	v_mov_b32_e32 v110, 0
	ds_load_b64 v[110:111], v110 offset:64
	s_waitcnt lgkmcnt(0)
	v_mul_f64 v[101:102], v[101:102], v[110:111]
	scratch_store_b64 off, v[101:102], off offset:64
.LBB113_408:
	s_or_b32 exec_lo, exec_lo, s3
	scratch_load_b64 v[101:102], off, off offset:56
	v_cmp_lt_u32_e64 s1, 7, v0
	s_waitcnt vmcnt(0)
	ds_store_b64 v104, v[101:102]
	s_waitcnt lgkmcnt(0)
	s_waitcnt_vscnt null, 0x0
	s_barrier
	buffer_gl0_inv
	s_and_saveexec_b32 s3, s1
	s_cbranch_execz .LBB113_418
; %bb.409:
	s_and_not1_b32 vcc_lo, exec_lo, s2
	s_cbranch_vccnz .LBB113_411
; %bb.410:
	scratch_load_b64 v[101:102], v105, off
	ds_load_b64 v[110:111], v104
	s_waitcnt vmcnt(0) lgkmcnt(0)
	v_mul_f64 v[101:102], v[101:102], v[110:111]
	s_cbranch_execz .LBB113_412
	s_branch .LBB113_413
.LBB113_411:
                                        ; implicit-def: $vgpr101_vgpr102
.LBB113_412:
	ds_load_b64 v[101:102], v104
.LBB113_413:
	s_and_saveexec_b32 s4, s0
	s_cbranch_execz .LBB113_417
; %bb.414:
	v_add_nc_u32_e32 v110, -8, v0
	s_movk_i32 s5, 0x1d0
	s_mov_b32 s0, 0
.LBB113_415:                            ; =>This Inner Loop Header: Depth=1
	scratch_load_b64 v[111:112], v109, off
	v_dual_mov_b32 v113, s5 :: v_dual_add_nc_u32 v110, -1, v110
	v_add_nc_u32_e32 v109, 8, v109
	s_add_i32 s5, s5, 8
	ds_load_b64 v[113:114], v113
	v_cmp_eq_u32_e32 vcc_lo, 0, v110
	s_or_b32 s0, vcc_lo, s0
	s_waitcnt vmcnt(0) lgkmcnt(0)
	v_fma_f64 v[101:102], v[111:112], v[113:114], v[101:102]
	s_and_not1_b32 exec_lo, exec_lo, s0
	s_cbranch_execnz .LBB113_415
; %bb.416:
	s_or_b32 exec_lo, exec_lo, s0
.LBB113_417:
	s_delay_alu instid0(SALU_CYCLE_1)
	s_or_b32 exec_lo, exec_lo, s4
	v_mov_b32_e32 v109, 0
	ds_load_b64 v[109:110], v109 offset:56
	s_waitcnt lgkmcnt(0)
	v_mul_f64 v[101:102], v[101:102], v[109:110]
	scratch_store_b64 off, v[101:102], off offset:56
.LBB113_418:
	s_or_b32 exec_lo, exec_lo, s3
	scratch_load_b64 v[101:102], off, off offset:48
	v_cmp_lt_u32_e64 s0, 6, v0
	s_waitcnt vmcnt(0)
	ds_store_b64 v104, v[101:102]
	s_waitcnt lgkmcnt(0)
	s_waitcnt_vscnt null, 0x0
	s_barrier
	buffer_gl0_inv
	s_and_saveexec_b32 s3, s0
	s_cbranch_execz .LBB113_428
; %bb.419:
	s_and_not1_b32 vcc_lo, exec_lo, s2
	s_cbranch_vccnz .LBB113_421
; %bb.420:
	scratch_load_b64 v[101:102], v105, off
	ds_load_b64 v[109:110], v104
	s_waitcnt vmcnt(0) lgkmcnt(0)
	v_mul_f64 v[101:102], v[101:102], v[109:110]
	s_cbranch_execz .LBB113_422
	s_branch .LBB113_423
.LBB113_421:
                                        ; implicit-def: $vgpr101_vgpr102
.LBB113_422:
	ds_load_b64 v[101:102], v104
.LBB113_423:
	s_and_saveexec_b32 s4, s1
	s_cbranch_execz .LBB113_427
; %bb.424:
	v_add_nc_u32_e64 v109, 0, 56
	v_add_nc_u32_e32 v110, -7, v0
	s_movk_i32 s5, 0x1c8
	s_mov_b32 s1, 0
.LBB113_425:                            ; =>This Inner Loop Header: Depth=1
	scratch_load_b64 v[111:112], v109, off
	v_dual_mov_b32 v113, s5 :: v_dual_add_nc_u32 v110, -1, v110
	v_add_nc_u32_e32 v109, 8, v109
	s_add_i32 s5, s5, 8
	ds_load_b64 v[113:114], v113
	v_cmp_eq_u32_e32 vcc_lo, 0, v110
	s_or_b32 s1, vcc_lo, s1
	s_waitcnt vmcnt(0) lgkmcnt(0)
	v_fma_f64 v[101:102], v[111:112], v[113:114], v[101:102]
	s_and_not1_b32 exec_lo, exec_lo, s1
	s_cbranch_execnz .LBB113_425
; %bb.426:
	s_or_b32 exec_lo, exec_lo, s1
.LBB113_427:
	s_delay_alu instid0(SALU_CYCLE_1)
	s_or_b32 exec_lo, exec_lo, s4
	v_mov_b32_e32 v109, 0
	ds_load_b64 v[109:110], v109 offset:48
	s_waitcnt lgkmcnt(0)
	v_mul_f64 v[101:102], v[101:102], v[109:110]
	scratch_store_b64 off, v[101:102], off offset:48
.LBB113_428:
	s_or_b32 exec_lo, exec_lo, s3
	scratch_load_b64 v[101:102], off, off offset:40
	v_cmp_lt_u32_e64 s1, 5, v0
	s_waitcnt vmcnt(0)
	ds_store_b64 v104, v[101:102]
	s_waitcnt lgkmcnt(0)
	s_waitcnt_vscnt null, 0x0
	s_barrier
	buffer_gl0_inv
	s_and_saveexec_b32 s3, s1
	s_cbranch_execz .LBB113_438
; %bb.429:
	s_and_not1_b32 vcc_lo, exec_lo, s2
	s_cbranch_vccnz .LBB113_431
; %bb.430:
	scratch_load_b64 v[101:102], v105, off
	ds_load_b64 v[109:110], v104
	s_waitcnt vmcnt(0) lgkmcnt(0)
	v_mul_f64 v[101:102], v[101:102], v[109:110]
	s_cbranch_execz .LBB113_432
	s_branch .LBB113_433
.LBB113_431:
                                        ; implicit-def: $vgpr101_vgpr102
.LBB113_432:
	ds_load_b64 v[101:102], v104
.LBB113_433:
	s_and_saveexec_b32 s4, s0
	s_cbranch_execz .LBB113_437
; %bb.434:
	v_add_nc_u32_e32 v109, -6, v0
	s_movk_i32 s5, 0x1c0
	s_mov_b32 s0, 0
.LBB113_435:                            ; =>This Inner Loop Header: Depth=1
	scratch_load_b64 v[110:111], v108, off
	v_dual_mov_b32 v112, s5 :: v_dual_add_nc_u32 v109, -1, v109
	v_add_nc_u32_e32 v108, 8, v108
	s_add_i32 s5, s5, 8
	ds_load_b64 v[112:113], v112
	v_cmp_eq_u32_e32 vcc_lo, 0, v109
	s_or_b32 s0, vcc_lo, s0
	s_waitcnt vmcnt(0) lgkmcnt(0)
	v_fma_f64 v[101:102], v[110:111], v[112:113], v[101:102]
	s_and_not1_b32 exec_lo, exec_lo, s0
	s_cbranch_execnz .LBB113_435
; %bb.436:
	s_or_b32 exec_lo, exec_lo, s0
.LBB113_437:
	s_delay_alu instid0(SALU_CYCLE_1)
	s_or_b32 exec_lo, exec_lo, s4
	v_mov_b32_e32 v108, 0
	ds_load_b64 v[108:109], v108 offset:40
	s_waitcnt lgkmcnt(0)
	v_mul_f64 v[101:102], v[101:102], v[108:109]
	scratch_store_b64 off, v[101:102], off offset:40
.LBB113_438:
	s_or_b32 exec_lo, exec_lo, s3
	scratch_load_b64 v[101:102], off, off offset:32
	v_cmp_lt_u32_e64 s0, 4, v0
	s_waitcnt vmcnt(0)
	ds_store_b64 v104, v[101:102]
	s_waitcnt lgkmcnt(0)
	s_waitcnt_vscnt null, 0x0
	s_barrier
	buffer_gl0_inv
	s_and_saveexec_b32 s3, s0
	s_cbranch_execz .LBB113_448
; %bb.439:
	s_and_not1_b32 vcc_lo, exec_lo, s2
	s_cbranch_vccnz .LBB113_441
; %bb.440:
	scratch_load_b64 v[101:102], v105, off
	ds_load_b64 v[108:109], v104
	s_waitcnt vmcnt(0) lgkmcnt(0)
	v_mul_f64 v[101:102], v[101:102], v[108:109]
	s_cbranch_execz .LBB113_442
	s_branch .LBB113_443
.LBB113_441:
                                        ; implicit-def: $vgpr101_vgpr102
.LBB113_442:
	ds_load_b64 v[101:102], v104
.LBB113_443:
	s_and_saveexec_b32 s4, s1
	s_cbranch_execz .LBB113_447
; %bb.444:
	v_add_nc_u32_e64 v108, 0, 40
	v_add_nc_u32_e32 v109, -5, v0
	s_movk_i32 s5, 0x1b8
	s_mov_b32 s1, 0
.LBB113_445:                            ; =>This Inner Loop Header: Depth=1
	scratch_load_b64 v[110:111], v108, off
	v_dual_mov_b32 v112, s5 :: v_dual_add_nc_u32 v109, -1, v109
	v_add_nc_u32_e32 v108, 8, v108
	s_add_i32 s5, s5, 8
	ds_load_b64 v[112:113], v112
	v_cmp_eq_u32_e32 vcc_lo, 0, v109
	s_or_b32 s1, vcc_lo, s1
	s_waitcnt vmcnt(0) lgkmcnt(0)
	v_fma_f64 v[101:102], v[110:111], v[112:113], v[101:102]
	s_and_not1_b32 exec_lo, exec_lo, s1
	s_cbranch_execnz .LBB113_445
; %bb.446:
	s_or_b32 exec_lo, exec_lo, s1
.LBB113_447:
	s_delay_alu instid0(SALU_CYCLE_1)
	s_or_b32 exec_lo, exec_lo, s4
	v_mov_b32_e32 v108, 0
	ds_load_b64 v[108:109], v108 offset:32
	s_waitcnt lgkmcnt(0)
	v_mul_f64 v[101:102], v[101:102], v[108:109]
	scratch_store_b64 off, v[101:102], off offset:32
.LBB113_448:
	s_or_b32 exec_lo, exec_lo, s3
	scratch_load_b64 v[101:102], off, off offset:24
	v_cmp_lt_u32_e64 s1, 3, v0
	s_waitcnt vmcnt(0)
	ds_store_b64 v104, v[101:102]
	s_waitcnt lgkmcnt(0)
	s_waitcnt_vscnt null, 0x0
	s_barrier
	buffer_gl0_inv
	s_and_saveexec_b32 s3, s1
	s_cbranch_execz .LBB113_458
; %bb.449:
	s_and_not1_b32 vcc_lo, exec_lo, s2
	s_cbranch_vccnz .LBB113_451
; %bb.450:
	scratch_load_b64 v[101:102], v105, off
	ds_load_b64 v[108:109], v104
	s_waitcnt vmcnt(0) lgkmcnt(0)
	v_mul_f64 v[101:102], v[101:102], v[108:109]
	s_cbranch_execz .LBB113_452
	s_branch .LBB113_453
.LBB113_451:
                                        ; implicit-def: $vgpr101_vgpr102
.LBB113_452:
	ds_load_b64 v[101:102], v104
.LBB113_453:
	s_and_saveexec_b32 s4, s0
	s_cbranch_execz .LBB113_457
; %bb.454:
	v_add_nc_u32_e32 v108, -4, v0
	s_movk_i32 s5, 0x1b0
	s_mov_b32 s0, 0
.LBB113_455:                            ; =>This Inner Loop Header: Depth=1
	scratch_load_b64 v[109:110], v107, off
	v_dual_mov_b32 v111, s5 :: v_dual_add_nc_u32 v108, -1, v108
	v_add_nc_u32_e32 v107, 8, v107
	s_add_i32 s5, s5, 8
	ds_load_b64 v[111:112], v111
	v_cmp_eq_u32_e32 vcc_lo, 0, v108
	s_or_b32 s0, vcc_lo, s0
	s_waitcnt vmcnt(0) lgkmcnt(0)
	v_fma_f64 v[101:102], v[109:110], v[111:112], v[101:102]
	s_and_not1_b32 exec_lo, exec_lo, s0
	s_cbranch_execnz .LBB113_455
; %bb.456:
	s_or_b32 exec_lo, exec_lo, s0
.LBB113_457:
	s_delay_alu instid0(SALU_CYCLE_1)
	s_or_b32 exec_lo, exec_lo, s4
	v_mov_b32_e32 v107, 0
	ds_load_b64 v[107:108], v107 offset:24
	s_waitcnt lgkmcnt(0)
	v_mul_f64 v[101:102], v[101:102], v[107:108]
	scratch_store_b64 off, v[101:102], off offset:24
.LBB113_458:
	s_or_b32 exec_lo, exec_lo, s3
	scratch_load_b64 v[101:102], off, off offset:16
	v_cmp_lt_u32_e64 s0, 2, v0
	s_waitcnt vmcnt(0)
	ds_store_b64 v104, v[101:102]
	s_waitcnt lgkmcnt(0)
	s_waitcnt_vscnt null, 0x0
	s_barrier
	buffer_gl0_inv
	s_and_saveexec_b32 s3, s0
	s_cbranch_execz .LBB113_468
; %bb.459:
	s_and_not1_b32 vcc_lo, exec_lo, s2
	s_cbranch_vccnz .LBB113_461
; %bb.460:
	scratch_load_b64 v[101:102], v105, off
	ds_load_b64 v[107:108], v104
	s_waitcnt vmcnt(0) lgkmcnt(0)
	v_mul_f64 v[101:102], v[101:102], v[107:108]
	s_cbranch_execz .LBB113_462
	s_branch .LBB113_463
.LBB113_461:
                                        ; implicit-def: $vgpr101_vgpr102
.LBB113_462:
	ds_load_b64 v[101:102], v104
.LBB113_463:
	s_and_saveexec_b32 s4, s1
	s_cbranch_execz .LBB113_467
; %bb.464:
	v_add_nc_u32_e64 v107, 0, 24
	v_add_nc_u32_e32 v108, -3, v0
	s_movk_i32 s5, 0x1a8
	s_mov_b32 s1, 0
.LBB113_465:                            ; =>This Inner Loop Header: Depth=1
	scratch_load_b64 v[109:110], v107, off
	v_dual_mov_b32 v111, s5 :: v_dual_add_nc_u32 v108, -1, v108
	v_add_nc_u32_e32 v107, 8, v107
	s_add_i32 s5, s5, 8
	ds_load_b64 v[111:112], v111
	v_cmp_eq_u32_e32 vcc_lo, 0, v108
	s_or_b32 s1, vcc_lo, s1
	s_waitcnt vmcnt(0) lgkmcnt(0)
	v_fma_f64 v[101:102], v[109:110], v[111:112], v[101:102]
	s_and_not1_b32 exec_lo, exec_lo, s1
	s_cbranch_execnz .LBB113_465
; %bb.466:
	s_or_b32 exec_lo, exec_lo, s1
.LBB113_467:
	s_delay_alu instid0(SALU_CYCLE_1)
	s_or_b32 exec_lo, exec_lo, s4
	v_mov_b32_e32 v107, 0
	ds_load_b64 v[107:108], v107 offset:16
	s_waitcnt lgkmcnt(0)
	v_mul_f64 v[101:102], v[101:102], v[107:108]
	scratch_store_b64 off, v[101:102], off offset:16
.LBB113_468:
	s_or_b32 exec_lo, exec_lo, s3
	scratch_load_b64 v[101:102], off, off offset:8
	v_cmp_lt_u32_e64 s1, 1, v0
	s_waitcnt vmcnt(0)
	ds_store_b64 v104, v[101:102]
	s_waitcnt lgkmcnt(0)
	s_waitcnt_vscnt null, 0x0
	s_barrier
	buffer_gl0_inv
	s_and_saveexec_b32 s3, s1
	s_cbranch_execz .LBB113_478
; %bb.469:
	s_and_not1_b32 vcc_lo, exec_lo, s2
	s_cbranch_vccnz .LBB113_471
; %bb.470:
	scratch_load_b64 v[101:102], v105, off
	ds_load_b64 v[107:108], v104
	s_waitcnt vmcnt(0) lgkmcnt(0)
	v_mul_f64 v[101:102], v[101:102], v[107:108]
	s_cbranch_execz .LBB113_472
	s_branch .LBB113_473
.LBB113_471:
                                        ; implicit-def: $vgpr101_vgpr102
.LBB113_472:
	ds_load_b64 v[101:102], v104
.LBB113_473:
	s_and_saveexec_b32 s4, s0
	s_cbranch_execz .LBB113_477
; %bb.474:
	v_add_nc_u32_e32 v107, -2, v0
	s_movk_i32 s5, 0x1a0
	s_mov_b32 s0, 0
.LBB113_475:                            ; =>This Inner Loop Header: Depth=1
	scratch_load_b64 v[108:109], v106, off
	v_dual_mov_b32 v110, s5 :: v_dual_add_nc_u32 v107, -1, v107
	v_add_nc_u32_e32 v106, 8, v106
	s_add_i32 s5, s5, 8
	ds_load_b64 v[110:111], v110
	v_cmp_eq_u32_e32 vcc_lo, 0, v107
	s_or_b32 s0, vcc_lo, s0
	s_waitcnt vmcnt(0) lgkmcnt(0)
	v_fma_f64 v[101:102], v[108:109], v[110:111], v[101:102]
	s_and_not1_b32 exec_lo, exec_lo, s0
	s_cbranch_execnz .LBB113_475
; %bb.476:
	s_or_b32 exec_lo, exec_lo, s0
.LBB113_477:
	s_delay_alu instid0(SALU_CYCLE_1)
	s_or_b32 exec_lo, exec_lo, s4
	v_mov_b32_e32 v106, 0
	ds_load_b64 v[106:107], v106 offset:8
	s_waitcnt lgkmcnt(0)
	v_mul_f64 v[101:102], v[101:102], v[106:107]
	scratch_store_b64 off, v[101:102], off offset:8
.LBB113_478:
	s_or_b32 exec_lo, exec_lo, s3
	scratch_load_b64 v[101:102], off, off
	s_mov_b32 s0, 0
	s_mov_b32 s3, exec_lo
	s_waitcnt vmcnt(0)
	ds_store_b64 v104, v[101:102]
	s_waitcnt lgkmcnt(0)
	s_waitcnt_vscnt null, 0x0
	s_barrier
	buffer_gl0_inv
	v_cmpx_ne_u32_e32 0, v0
	s_cbranch_execz .LBB113_488
; %bb.479:
	s_and_not1_b32 vcc_lo, exec_lo, s2
	s_cbranch_vccnz .LBB113_481
; %bb.480:
	scratch_load_b64 v[101:102], v105, off
	ds_load_b64 v[106:107], v104
	s_waitcnt vmcnt(0) lgkmcnt(0)
	v_mul_f64 v[101:102], v[101:102], v[106:107]
	s_cbranch_execz .LBB113_482
	s_branch .LBB113_483
.LBB113_481:
                                        ; implicit-def: $vgpr101_vgpr102
.LBB113_482:
	ds_load_b64 v[101:102], v104
.LBB113_483:
	s_and_saveexec_b32 s4, s1
	s_cbranch_execz .LBB113_487
; %bb.484:
	v_or_b32_e64 v106, 0, 8
	v_add_nc_u32_e32 v107, -1, v0
	s_movk_i32 s5, 0x198
	s_mov_b32 s1, 0
.LBB113_485:                            ; =>This Inner Loop Header: Depth=1
	scratch_load_b64 v[108:109], v106, off
	v_dual_mov_b32 v110, s5 :: v_dual_add_nc_u32 v107, -1, v107
	v_add_nc_u32_e32 v106, 8, v106
	s_add_i32 s5, s5, 8
	ds_load_b64 v[110:111], v110
	v_cmp_eq_u32_e32 vcc_lo, 0, v107
	s_or_b32 s1, vcc_lo, s1
	s_waitcnt vmcnt(0) lgkmcnt(0)
	v_fma_f64 v[101:102], v[108:109], v[110:111], v[101:102]
	s_and_not1_b32 exec_lo, exec_lo, s1
	s_cbranch_execnz .LBB113_485
; %bb.486:
	s_or_b32 exec_lo, exec_lo, s1
.LBB113_487:
	s_delay_alu instid0(SALU_CYCLE_1)
	s_or_b32 exec_lo, exec_lo, s4
	v_mov_b32_e32 v106, 0
	ds_load_b64 v[106:107], v106
	s_waitcnt lgkmcnt(0)
	v_mul_f64 v[101:102], v[101:102], v[106:107]
	scratch_store_b64 off, v[101:102], off
.LBB113_488:
	s_or_b32 exec_lo, exec_lo, s3
.LBB113_489:
	s_delay_alu instid0(SALU_CYCLE_1)
	s_and_b32 vcc_lo, exec_lo, s0
	s_cbranch_vccz .LBB113_975
; %bb.490:
	scratch_load_b64 v[101:102], off, off offset:8
	v_cmp_eq_u32_e64 s0, 0, v0
	s_waitcnt vmcnt(0)
	ds_store_b64 v104, v[101:102]
	s_waitcnt lgkmcnt(0)
	s_waitcnt_vscnt null, 0x0
	s_barrier
	buffer_gl0_inv
	s_and_saveexec_b32 s1, s0
	s_cbranch_execz .LBB113_496
; %bb.491:
	s_and_b32 vcc_lo, exec_lo, s2
	s_cbranch_vccz .LBB113_493
; %bb.492:
	scratch_load_b64 v[101:102], v105, off
	ds_load_b64 v[106:107], v104
	s_waitcnt vmcnt(0) lgkmcnt(0)
	v_mul_f64 v[101:102], v[101:102], v[106:107]
	s_cbranch_execz .LBB113_494
	s_branch .LBB113_495
.LBB113_493:
                                        ; implicit-def: $vgpr101_vgpr102
.LBB113_494:
	ds_load_b64 v[101:102], v104
.LBB113_495:
	v_mov_b32_e32 v106, 0
	ds_load_b64 v[106:107], v106 offset:8
	s_waitcnt lgkmcnt(0)
	v_mul_f64 v[101:102], v[101:102], v[106:107]
	scratch_store_b64 off, v[101:102], off offset:8
.LBB113_496:
	s_or_b32 exec_lo, exec_lo, s1
	scratch_load_b64 v[101:102], off, off offset:16
	v_cndmask_b32_e64 v106, 0, 1, s2
	s_mov_b32 s1, exec_lo
	s_waitcnt vmcnt(0)
	ds_store_b64 v104, v[101:102]
	s_waitcnt lgkmcnt(0)
	s_waitcnt_vscnt null, 0x0
	s_barrier
	buffer_gl0_inv
	v_cmpx_gt_u32_e32 2, v0
	s_cbranch_execz .LBB113_504
; %bb.497:
	s_and_not1_b32 vcc_lo, exec_lo, s2
	s_cbranch_vccnz .LBB113_499
; %bb.498:
	scratch_load_b64 v[101:102], v105, off
	ds_load_b64 v[107:108], v104
	s_waitcnt vmcnt(0) lgkmcnt(0)
	v_mul_f64 v[101:102], v[101:102], v[107:108]
	s_cbranch_execz .LBB113_500
	s_branch .LBB113_501
.LBB113_499:
                                        ; implicit-def: $vgpr101_vgpr102
.LBB113_500:
	ds_load_b64 v[101:102], v104
.LBB113_501:
	s_and_saveexec_b32 s2, s0
	s_cbranch_execz .LBB113_503
; %bb.502:
	scratch_load_b64 v[107:108], v105, off offset:8
	ds_load_b64 v[109:110], v104 offset:8
	s_waitcnt vmcnt(0) lgkmcnt(0)
	v_fma_f64 v[101:102], v[107:108], v[109:110], v[101:102]
.LBB113_503:
	s_or_b32 exec_lo, exec_lo, s2
	v_mov_b32_e32 v107, 0
	ds_load_b64 v[107:108], v107 offset:16
	s_waitcnt lgkmcnt(0)
	v_mul_f64 v[101:102], v[101:102], v[107:108]
	scratch_store_b64 off, v[101:102], off offset:16
.LBB113_504:
	s_or_b32 exec_lo, exec_lo, s1
	scratch_load_b64 v[101:102], off, off offset:24
	s_mov_b32 s1, exec_lo
	s_waitcnt vmcnt(0)
	ds_store_b64 v104, v[101:102]
	s_waitcnt lgkmcnt(0)
	s_waitcnt_vscnt null, 0x0
	s_barrier
	buffer_gl0_inv
	v_cmpx_gt_u32_e32 3, v0
	s_cbranch_execz .LBB113_514
; %bb.505:
	v_cmp_ne_u32_e32 vcc_lo, 1, v106
	s_cbranch_vccnz .LBB113_507
; %bb.506:
	scratch_load_b64 v[101:102], v105, off
	ds_load_b64 v[107:108], v104
	s_waitcnt vmcnt(0) lgkmcnt(0)
	v_mul_f64 v[101:102], v[101:102], v[107:108]
	s_cbranch_execz .LBB113_508
	s_branch .LBB113_509
.LBB113_507:
                                        ; implicit-def: $vgpr101_vgpr102
.LBB113_508:
	ds_load_b64 v[101:102], v104
.LBB113_509:
	s_mov_b32 s2, exec_lo
	v_cmpx_ne_u32_e32 2, v0
	s_cbranch_execz .LBB113_513
; %bb.510:
	scratch_load_b64 v[107:108], v105, off offset:8
	ds_load_b64 v[109:110], v104 offset:8
	s_waitcnt vmcnt(0) lgkmcnt(0)
	v_fma_f64 v[101:102], v[107:108], v[109:110], v[101:102]
	s_and_saveexec_b32 s3, s0
	s_cbranch_execz .LBB113_512
; %bb.511:
	scratch_load_b64 v[107:108], off, off offset:16
	v_mov_b32_e32 v109, 0
	ds_load_b64 v[109:110], v109 offset:416
	s_waitcnt vmcnt(0) lgkmcnt(0)
	v_fma_f64 v[101:102], v[107:108], v[109:110], v[101:102]
.LBB113_512:
	s_or_b32 exec_lo, exec_lo, s3
.LBB113_513:
	s_delay_alu instid0(SALU_CYCLE_1)
	s_or_b32 exec_lo, exec_lo, s2
	v_mov_b32_e32 v107, 0
	ds_load_b64 v[107:108], v107 offset:24
	s_waitcnt lgkmcnt(0)
	v_mul_f64 v[101:102], v[101:102], v[107:108]
	scratch_store_b64 off, v[101:102], off offset:24
.LBB113_514:
	s_or_b32 exec_lo, exec_lo, s1
	scratch_load_b64 v[101:102], off, off offset:32
	s_mov_b32 s0, exec_lo
	s_waitcnt vmcnt(0)
	ds_store_b64 v104, v[101:102]
	s_waitcnt lgkmcnt(0)
	s_waitcnt_vscnt null, 0x0
	s_barrier
	buffer_gl0_inv
	v_cmpx_gt_u32_e32 4, v0
	s_cbranch_execz .LBB113_524
; %bb.515:
	v_cmp_ne_u32_e32 vcc_lo, 1, v106
	s_cbranch_vccnz .LBB113_517
; %bb.516:
	scratch_load_b64 v[101:102], v105, off
	ds_load_b64 v[107:108], v104
	s_waitcnt vmcnt(0) lgkmcnt(0)
	v_mul_f64 v[101:102], v[101:102], v[107:108]
	s_cbranch_execz .LBB113_518
	s_branch .LBB113_519
.LBB113_517:
                                        ; implicit-def: $vgpr101_vgpr102
.LBB113_518:
	ds_load_b64 v[101:102], v104
.LBB113_519:
	s_mov_b32 s1, exec_lo
	v_cmpx_ne_u32_e32 3, v0
	s_cbranch_execz .LBB113_523
; %bb.520:
	v_add_nc_u32_e32 v107, 0x198, v103
	v_add3_u32 v108, 0, v103, 8
	v_mov_b32_e32 v109, v0
	s_mov_b32 s2, 0
.LBB113_521:                            ; =>This Inner Loop Header: Depth=1
	scratch_load_b64 v[110:111], v108, off
	ds_load_b64 v[112:113], v107
	v_add_nc_u32_e32 v109, 1, v109
	v_add_nc_u32_e32 v107, 8, v107
	v_add_nc_u32_e32 v108, 8, v108
	s_delay_alu instid0(VALU_DEP_3)
	v_cmp_lt_u32_e32 vcc_lo, 2, v109
	s_or_b32 s2, vcc_lo, s2
	s_waitcnt vmcnt(0) lgkmcnt(0)
	v_fma_f64 v[101:102], v[110:111], v[112:113], v[101:102]
	s_and_not1_b32 exec_lo, exec_lo, s2
	s_cbranch_execnz .LBB113_521
; %bb.522:
	s_or_b32 exec_lo, exec_lo, s2
.LBB113_523:
	s_delay_alu instid0(SALU_CYCLE_1)
	s_or_b32 exec_lo, exec_lo, s1
	v_mov_b32_e32 v107, 0
	ds_load_b64 v[107:108], v107 offset:32
	s_waitcnt lgkmcnt(0)
	v_mul_f64 v[101:102], v[101:102], v[107:108]
	scratch_store_b64 off, v[101:102], off offset:32
.LBB113_524:
	s_or_b32 exec_lo, exec_lo, s0
	scratch_load_b64 v[101:102], off, off offset:40
	s_mov_b32 s0, exec_lo
	s_waitcnt vmcnt(0)
	ds_store_b64 v104, v[101:102]
	s_waitcnt lgkmcnt(0)
	s_waitcnt_vscnt null, 0x0
	s_barrier
	buffer_gl0_inv
	v_cmpx_gt_u32_e32 5, v0
	s_cbranch_execz .LBB113_534
; %bb.525:
	v_cmp_ne_u32_e32 vcc_lo, 1, v106
	s_cbranch_vccnz .LBB113_527
; %bb.526:
	scratch_load_b64 v[101:102], v105, off
	ds_load_b64 v[107:108], v104
	s_waitcnt vmcnt(0) lgkmcnt(0)
	v_mul_f64 v[101:102], v[101:102], v[107:108]
	s_cbranch_execz .LBB113_528
	s_branch .LBB113_529
.LBB113_527:
                                        ; implicit-def: $vgpr101_vgpr102
.LBB113_528:
	ds_load_b64 v[101:102], v104
.LBB113_529:
	s_mov_b32 s1, exec_lo
	v_cmpx_ne_u32_e32 4, v0
	s_cbranch_execz .LBB113_533
; %bb.530:
	v_add_nc_u32_e32 v107, 0x198, v103
	v_add3_u32 v108, 0, v103, 8
	v_mov_b32_e32 v109, v0
	s_mov_b32 s2, 0
.LBB113_531:                            ; =>This Inner Loop Header: Depth=1
	scratch_load_b64 v[110:111], v108, off
	ds_load_b64 v[112:113], v107
	v_add_nc_u32_e32 v109, 1, v109
	v_add_nc_u32_e32 v107, 8, v107
	v_add_nc_u32_e32 v108, 8, v108
	s_delay_alu instid0(VALU_DEP_3)
	v_cmp_lt_u32_e32 vcc_lo, 3, v109
	s_or_b32 s2, vcc_lo, s2
	s_waitcnt vmcnt(0) lgkmcnt(0)
	v_fma_f64 v[101:102], v[110:111], v[112:113], v[101:102]
	s_and_not1_b32 exec_lo, exec_lo, s2
	s_cbranch_execnz .LBB113_531
; %bb.532:
	s_or_b32 exec_lo, exec_lo, s2
.LBB113_533:
	s_delay_alu instid0(SALU_CYCLE_1)
	s_or_b32 exec_lo, exec_lo, s1
	v_mov_b32_e32 v107, 0
	ds_load_b64 v[107:108], v107 offset:40
	s_waitcnt lgkmcnt(0)
	v_mul_f64 v[101:102], v[101:102], v[107:108]
	scratch_store_b64 off, v[101:102], off offset:40
.LBB113_534:
	;; [unrolled: 58-line block ×44, first 2 shown]
	s_or_b32 exec_lo, exec_lo, s0
	scratch_load_b64 v[101:102], off, off offset:384
	v_cmp_gt_u32_e64 s0, 48, v0
	s_waitcnt vmcnt(0)
	ds_store_b64 v104, v[101:102]
	s_waitcnt lgkmcnt(0)
	s_waitcnt_vscnt null, 0x0
	s_barrier
	buffer_gl0_inv
	s_and_saveexec_b32 s1, s0
	s_cbranch_execz .LBB113_964
; %bb.955:
	v_cmp_ne_u32_e32 vcc_lo, 1, v106
	s_cbranch_vccnz .LBB113_957
; %bb.956:
	scratch_load_b64 v[101:102], v105, off
	ds_load_b64 v[107:108], v104
	s_waitcnt vmcnt(0) lgkmcnt(0)
	v_mul_f64 v[101:102], v[101:102], v[107:108]
	s_cbranch_execz .LBB113_958
	s_branch .LBB113_959
.LBB113_957:
                                        ; implicit-def: $vgpr101_vgpr102
.LBB113_958:
	ds_load_b64 v[101:102], v104
.LBB113_959:
	s_mov_b32 s2, exec_lo
	v_cmpx_ne_u32_e32 47, v0
	s_cbranch_execz .LBB113_963
; %bb.960:
	v_add_nc_u32_e32 v107, 0x198, v103
	v_add3_u32 v108, 0, v103, 8
	v_mov_b32_e32 v109, v0
	s_mov_b32 s3, 0
.LBB113_961:                            ; =>This Inner Loop Header: Depth=1
	scratch_load_b64 v[110:111], v108, off
	ds_load_b64 v[112:113], v107
	v_add_nc_u32_e32 v109, 1, v109
	v_add_nc_u32_e32 v107, 8, v107
	;; [unrolled: 1-line block ×3, first 2 shown]
	s_delay_alu instid0(VALU_DEP_3)
	v_cmp_lt_u32_e32 vcc_lo, 46, v109
	s_or_b32 s3, vcc_lo, s3
	s_waitcnt vmcnt(0) lgkmcnt(0)
	v_fma_f64 v[101:102], v[110:111], v[112:113], v[101:102]
	s_and_not1_b32 exec_lo, exec_lo, s3
	s_cbranch_execnz .LBB113_961
; %bb.962:
	s_or_b32 exec_lo, exec_lo, s3
.LBB113_963:
	s_delay_alu instid0(SALU_CYCLE_1)
	s_or_b32 exec_lo, exec_lo, s2
	v_mov_b32_e32 v107, 0
	ds_load_b64 v[107:108], v107 offset:384
	s_waitcnt lgkmcnt(0)
	v_mul_f64 v[101:102], v[101:102], v[107:108]
	scratch_store_b64 off, v[101:102], off offset:384
.LBB113_964:
	s_or_b32 exec_lo, exec_lo, s1
	scratch_load_b64 v[101:102], off, off offset:392
	s_mov_b32 s1, exec_lo
	s_waitcnt vmcnt(0)
	ds_store_b64 v104, v[101:102]
	s_waitcnt lgkmcnt(0)
	s_waitcnt_vscnt null, 0x0
	s_barrier
	buffer_gl0_inv
	v_cmpx_ne_u32_e32 49, v0
	s_cbranch_execz .LBB113_974
; %bb.965:
	v_cmp_ne_u32_e32 vcc_lo, 1, v106
	s_cbranch_vccnz .LBB113_967
; %bb.966:
	scratch_load_b64 v[101:102], v105, off
	ds_load_b64 v[105:106], v104
	s_waitcnt vmcnt(0) lgkmcnt(0)
	v_mul_f64 v[101:102], v[101:102], v[105:106]
	s_cbranch_execz .LBB113_968
	s_branch .LBB113_969
.LBB113_967:
                                        ; implicit-def: $vgpr101_vgpr102
.LBB113_968:
	ds_load_b64 v[101:102], v104
.LBB113_969:
	s_and_saveexec_b32 s2, s0
	s_cbranch_execz .LBB113_973
; %bb.970:
	v_add_nc_u32_e32 v104, 0x198, v103
	v_add3_u32 v103, 0, v103, 8
	s_mov_b32 s0, 0
.LBB113_971:                            ; =>This Inner Loop Header: Depth=1
	scratch_load_b64 v[105:106], v103, off
	ds_load_b64 v[107:108], v104
	v_add_nc_u32_e32 v0, 1, v0
	v_add_nc_u32_e32 v104, 8, v104
	;; [unrolled: 1-line block ×3, first 2 shown]
	s_delay_alu instid0(VALU_DEP_3)
	v_cmp_lt_u32_e32 vcc_lo, 47, v0
	s_or_b32 s0, vcc_lo, s0
	s_waitcnt vmcnt(0) lgkmcnt(0)
	v_fma_f64 v[101:102], v[105:106], v[107:108], v[101:102]
	s_and_not1_b32 exec_lo, exec_lo, s0
	s_cbranch_execnz .LBB113_971
; %bb.972:
	s_or_b32 exec_lo, exec_lo, s0
.LBB113_973:
	s_delay_alu instid0(SALU_CYCLE_1)
	s_or_b32 exec_lo, exec_lo, s2
	v_mov_b32_e32 v0, 0
	ds_load_b64 v[103:104], v0 offset:392
	s_waitcnt lgkmcnt(0)
	v_mul_f64 v[101:102], v[101:102], v[103:104]
	scratch_store_b64 off, v[101:102], off offset:392
.LBB113_974:
	s_or_b32 exec_lo, exec_lo, s1
.LBB113_975:
	s_clause 0x9
	scratch_load_b128 v[101:104], off, off
	scratch_load_b128 v[105:108], off, off offset:16
	scratch_load_b128 v[109:112], off, off offset:32
	;; [unrolled: 1-line block ×9, first 2 shown]
	s_waitcnt vmcnt(9)
	s_clause 0x1
	global_store_b64 v[27:28], v[101:102], off
	global_store_b64 v[29:30], v[103:104], off
	s_clause 0x1
	scratch_load_b128 v[27:30], off, off offset:160
	scratch_load_b128 v[101:104], off, off offset:176
	s_waitcnt vmcnt(10)
	s_clause 0x1
	global_store_b64 v[31:32], v[105:106], off
	global_store_b64 v[33:34], v[107:108], off
	s_clause 0x1
	scratch_load_b128 v[31:34], off, off offset:192
	scratch_load_b128 v[105:108], off, off offset:208
	s_waitcnt vmcnt(11)
	s_clause 0x1
	global_store_b64 v[23:24], v[109:110], off
	global_store_b64 v[19:20], v[111:112], off
	s_clause 0x1
	scratch_load_b128 v[109:112], off, off offset:224
	scratch_load_b128 v[141:144], off, off offset:240
	s_waitcnt vmcnt(12)
	s_clause 0x1
	global_store_b64 v[17:18], v[113:114], off
	global_store_b64 v[25:26], v[115:116], off
	s_clause 0x1
	scratch_load_b128 v[17:20], off, off offset:256
	scratch_load_b128 v[23:26], off, off offset:272
	s_waitcnt vmcnt(13)
	s_clause 0x1
	global_store_b64 v[11:12], v[117:118], off
	global_store_b64 v[15:16], v[119:120], off
	s_clause 0x1
	scratch_load_b128 v[113:116], off, off offset:288
	scratch_load_b128 v[117:120], off, off offset:304
	s_waitcnt vmcnt(14)
	s_clause 0x1
	global_store_b64 v[13:14], v[121:122], off
	global_store_b64 v[21:22], v[123:124], off
	s_clause 0x1
	scratch_load_b128 v[11:14], off, off offset:320
	scratch_load_b128 v[121:124], off, off offset:336
	s_waitcnt vmcnt(15)
	s_clause 0x1
	global_store_b64 v[1:2], v[125:126], off
	global_store_b64 v[3:4], v[127:128], off
	s_clause 0x1
	scratch_load_b128 v[0:3], off, off offset:352
	scratch_load_b128 v[125:128], off, off offset:368
	s_waitcnt vmcnt(16)
	s_clause 0x1
	global_store_b64 v[5:6], v[129:130], off
	global_store_b64 v[7:8], v[131:132], off
	scratch_load_b128 v[4:7], off, off offset:384
	s_waitcnt vmcnt(16)
	s_clause 0x1
	global_store_b64 v[35:36], v[133:134], off
	global_store_b64 v[37:38], v[135:136], off
	s_waitcnt vmcnt(15)
	s_clause 0x1
	global_store_b64 v[39:40], v[137:138], off
	global_store_b64 v[41:42], v[139:140], off
	;; [unrolled: 4-line block ×17, first 2 shown]
.LBB113_976:
	s_endpgm
	.section	.rodata,"a",@progbits
	.p2align	6, 0x0
	.amdhsa_kernel _ZN9rocsolver6v33100L18trti2_kernel_smallILi50EdPKPdEEv13rocblas_fill_17rocblas_diagonal_T1_iil
		.amdhsa_group_segment_fixed_size 800
		.amdhsa_private_segment_fixed_size 416
		.amdhsa_kernarg_size 32
		.amdhsa_user_sgpr_count 15
		.amdhsa_user_sgpr_dispatch_ptr 0
		.amdhsa_user_sgpr_queue_ptr 0
		.amdhsa_user_sgpr_kernarg_segment_ptr 1
		.amdhsa_user_sgpr_dispatch_id 0
		.amdhsa_user_sgpr_private_segment_size 0
		.amdhsa_wavefront_size32 1
		.amdhsa_uses_dynamic_stack 0
		.amdhsa_enable_private_segment 1
		.amdhsa_system_sgpr_workgroup_id_x 1
		.amdhsa_system_sgpr_workgroup_id_y 0
		.amdhsa_system_sgpr_workgroup_id_z 0
		.amdhsa_system_sgpr_workgroup_info 0
		.amdhsa_system_vgpr_workitem_id 0
		.amdhsa_next_free_vgpr 146
		.amdhsa_next_free_sgpr 22
		.amdhsa_reserve_vcc 1
		.amdhsa_float_round_mode_32 0
		.amdhsa_float_round_mode_16_64 0
		.amdhsa_float_denorm_mode_32 3
		.amdhsa_float_denorm_mode_16_64 3
		.amdhsa_dx10_clamp 1
		.amdhsa_ieee_mode 1
		.amdhsa_fp16_overflow 0
		.amdhsa_workgroup_processor_mode 1
		.amdhsa_memory_ordered 1
		.amdhsa_forward_progress 0
		.amdhsa_shared_vgpr_count 0
		.amdhsa_exception_fp_ieee_invalid_op 0
		.amdhsa_exception_fp_denorm_src 0
		.amdhsa_exception_fp_ieee_div_zero 0
		.amdhsa_exception_fp_ieee_overflow 0
		.amdhsa_exception_fp_ieee_underflow 0
		.amdhsa_exception_fp_ieee_inexact 0
		.amdhsa_exception_int_div_zero 0
	.end_amdhsa_kernel
	.section	.text._ZN9rocsolver6v33100L18trti2_kernel_smallILi50EdPKPdEEv13rocblas_fill_17rocblas_diagonal_T1_iil,"axG",@progbits,_ZN9rocsolver6v33100L18trti2_kernel_smallILi50EdPKPdEEv13rocblas_fill_17rocblas_diagonal_T1_iil,comdat
.Lfunc_end113:
	.size	_ZN9rocsolver6v33100L18trti2_kernel_smallILi50EdPKPdEEv13rocblas_fill_17rocblas_diagonal_T1_iil, .Lfunc_end113-_ZN9rocsolver6v33100L18trti2_kernel_smallILi50EdPKPdEEv13rocblas_fill_17rocblas_diagonal_T1_iil
                                        ; -- End function
	.section	.AMDGPU.csdata,"",@progbits
; Kernel info:
; codeLenInByte = 27404
; NumSgprs: 24
; NumVgprs: 146
; ScratchSize: 416
; MemoryBound: 0
; FloatMode: 240
; IeeeMode: 1
; LDSByteSize: 800 bytes/workgroup (compile time only)
; SGPRBlocks: 2
; VGPRBlocks: 18
; NumSGPRsForWavesPerEU: 24
; NumVGPRsForWavesPerEU: 146
; Occupancy: 9
; WaveLimiterHint : 1
; COMPUTE_PGM_RSRC2:SCRATCH_EN: 1
; COMPUTE_PGM_RSRC2:USER_SGPR: 15
; COMPUTE_PGM_RSRC2:TRAP_HANDLER: 0
; COMPUTE_PGM_RSRC2:TGID_X_EN: 1
; COMPUTE_PGM_RSRC2:TGID_Y_EN: 0
; COMPUTE_PGM_RSRC2:TGID_Z_EN: 0
; COMPUTE_PGM_RSRC2:TIDIG_COMP_CNT: 0
	.section	.text._ZN9rocsolver6v33100L18trti2_kernel_smallILi51EdPKPdEEv13rocblas_fill_17rocblas_diagonal_T1_iil,"axG",@progbits,_ZN9rocsolver6v33100L18trti2_kernel_smallILi51EdPKPdEEv13rocblas_fill_17rocblas_diagonal_T1_iil,comdat
	.globl	_ZN9rocsolver6v33100L18trti2_kernel_smallILi51EdPKPdEEv13rocblas_fill_17rocblas_diagonal_T1_iil ; -- Begin function _ZN9rocsolver6v33100L18trti2_kernel_smallILi51EdPKPdEEv13rocblas_fill_17rocblas_diagonal_T1_iil
	.p2align	8
	.type	_ZN9rocsolver6v33100L18trti2_kernel_smallILi51EdPKPdEEv13rocblas_fill_17rocblas_diagonal_T1_iil,@function
_ZN9rocsolver6v33100L18trti2_kernel_smallILi51EdPKPdEEv13rocblas_fill_17rocblas_diagonal_T1_iil: ; @_ZN9rocsolver6v33100L18trti2_kernel_smallILi51EdPKPdEEv13rocblas_fill_17rocblas_diagonal_T1_iil
; %bb.0:
	s_mov_b32 s2, exec_lo
	v_cmpx_gt_u32_e32 51, v0
	s_cbranch_execz .LBB114_996
; %bb.1:
	s_clause 0x1
	s_load_b64 s[4:5], s[0:1], 0x10
	s_load_b128 s[0:3], s[0:1], 0x0
	s_mov_b32 s6, s15
	s_ashr_i32 s7, s15, 31
	v_lshlrev_b32_e32 v105, 3, v0
	s_lshl_b64 s[8:9], s[6:7], 3
	s_waitcnt lgkmcnt(0)
	s_ashr_i32 s7, s4, 31
	s_add_u32 s2, s2, s8
	s_addc_u32 s3, s3, s9
	s_mov_b32 s6, s4
	s_load_b64 s[2:3], s[2:3], 0x0
	s_lshl_b64 s[6:7], s[6:7], 3
	s_mov_b32 s8, s5
	v_add3_u32 v1, s5, s5, v0
	s_delay_alu instid0(VALU_DEP_1) | instskip(SKIP_1) | instid1(VALU_DEP_2)
	v_add_nc_u32_e32 v3, s5, v1
	v_ashrrev_i32_e32 v2, 31, v1
	v_add_nc_u32_e32 v5, s5, v3
	v_ashrrev_i32_e32 v4, 31, v3
	s_delay_alu instid0(VALU_DEP_3) | instskip(NEXT) | instid1(VALU_DEP_3)
	v_lshlrev_b64 v[1:2], 3, v[1:2]
	v_add_nc_u32_e32 v9, s5, v5
	v_ashrrev_i32_e32 v6, 31, v5
	s_waitcnt lgkmcnt(0)
	s_add_u32 s2, s2, s6
	s_addc_u32 s3, s3, s7
	v_add_co_u32 v15, s4, s2, v105
	s_ashr_i32 s9, s5, 31
	v_add_co_ci_u32_e64 v16, null, s3, 0, s4
	s_lshl_b64 s[6:7], s[8:9], 3
	v_add_nc_u32_e32 v11, s5, v9
	v_add_co_u32 v7, vcc_lo, v15, s6
	s_delay_alu instid0(VALU_DEP_3)
	v_add_co_ci_u32_e32 v8, vcc_lo, s7, v16, vcc_lo
	s_clause 0x1
	global_load_b64 v[47:48], v105, s[2:3]
	global_load_b64 v[49:50], v[7:8], off
	v_add_nc_u32_e32 v13, s5, v11
	v_lshlrev_b64 v[3:4], 3, v[3:4]
	v_ashrrev_i32_e32 v10, 31, v9
	v_lshlrev_b64 v[5:6], 3, v[5:6]
	v_add_co_u32 v45, vcc_lo, s2, v1
	v_add_nc_u32_e32 v17, s5, v13
	v_ashrrev_i32_e32 v12, 31, v11
	v_add_co_ci_u32_e32 v46, vcc_lo, s3, v2, vcc_lo
	v_lshlrev_b64 v[9:10], 3, v[9:10]
	s_delay_alu instid0(VALU_DEP_4) | instskip(SKIP_2) | instid1(VALU_DEP_3)
	v_add_nc_u32_e32 v19, s5, v17
	v_add_co_u32 v43, vcc_lo, s2, v3
	v_add_co_ci_u32_e32 v44, vcc_lo, s3, v4, vcc_lo
	v_add_nc_u32_e32 v21, s5, v19
	v_add_co_u32 v39, vcc_lo, s2, v5
	v_lshlrev_b64 v[1:2], 3, v[11:12]
	v_ashrrev_i32_e32 v14, 31, v13
	s_delay_alu instid0(VALU_DEP_4) | instskip(SKIP_2) | instid1(VALU_DEP_3)
	v_add_nc_u32_e32 v23, s5, v21
	v_add_co_ci_u32_e32 v40, vcc_lo, s3, v6, vcc_lo
	v_add_co_u32 v33, vcc_lo, s2, v9
	v_add_nc_u32_e32 v31, s5, v23
	v_ashrrev_i32_e32 v18, 31, v17
	v_add_co_ci_u32_e32 v34, vcc_lo, s3, v10, vcc_lo
	v_lshlrev_b64 v[3:4], 3, v[13:14]
	s_delay_alu instid0(VALU_DEP_4) | instskip(SKIP_2) | instid1(VALU_DEP_3)
	v_add_nc_u32_e32 v37, s5, v31
	v_add_co_u32 v27, vcc_lo, s2, v1
	v_add_co_ci_u32_e32 v28, vcc_lo, s3, v2, vcc_lo
	v_add_nc_u32_e32 v41, s5, v37
	v_lshlrev_b64 v[1:2], 3, v[17:18]
	v_ashrrev_i32_e32 v20, 31, v19
	v_add_co_u32 v35, vcc_lo, s2, v3
	s_delay_alu instid0(VALU_DEP_4) | instskip(SKIP_3) | instid1(VALU_DEP_4)
	v_add_nc_u32_e32 v73, s5, v41
	v_ashrrev_i32_e32 v22, 31, v21
	v_add_co_ci_u32_e32 v36, vcc_lo, s3, v4, vcc_lo
	v_lshlrev_b64 v[3:4], 3, v[19:20]
	v_add_nc_u32_e32 v75, s5, v73
	v_add_co_u32 v29, vcc_lo, s2, v1
	v_add_co_ci_u32_e32 v30, vcc_lo, s3, v2, vcc_lo
	s_delay_alu instid0(VALU_DEP_3) | instskip(SKIP_3) | instid1(VALU_DEP_4)
	v_add_nc_u32_e32 v77, s5, v75
	v_lshlrev_b64 v[1:2], 3, v[21:22]
	v_ashrrev_i32_e32 v24, 31, v23
	v_add_co_u32 v19, vcc_lo, s2, v3
	v_add_nc_u32_e32 v83, s5, v77
	v_ashrrev_i32_e32 v32, 31, v31
	s_clause 0x3
	global_load_b64 v[53:54], v[33:34], off
	global_load_b64 v[55:56], v[45:46], off
	;; [unrolled: 1-line block ×4, first 2 shown]
	v_add_co_ci_u32_e32 v20, vcc_lo, s3, v4, vcc_lo
	v_add_nc_u32_e32 v85, s5, v83
	v_lshlrev_b64 v[3:4], 3, v[23:24]
	v_add_co_u32 v25, vcc_lo, s2, v1
	v_add_co_ci_u32_e32 v26, vcc_lo, s3, v2, vcc_lo
	s_delay_alu instid0(VALU_DEP_4) | instskip(SKIP_3) | instid1(VALU_DEP_4)
	v_add_nc_u32_e32 v87, s5, v85
	v_lshlrev_b64 v[1:2], 3, v[31:32]
	v_ashrrev_i32_e32 v38, 31, v37
	v_add_co_u32 v23, vcc_lo, s2, v3
	v_add_nc_u32_e32 v89, s5, v87
	v_ashrrev_i32_e32 v42, 31, v41
	v_add_co_ci_u32_e32 v24, vcc_lo, s3, v4, vcc_lo
	v_lshlrev_b64 v[3:4], 3, v[37:38]
	s_delay_alu instid0(VALU_DEP_4)
	v_add_nc_u32_e32 v91, s5, v89
	s_clause 0x2
	global_load_b64 v[59:60], v[27:28], off
	global_load_b64 v[61:62], v[35:36], off
	;; [unrolled: 1-line block ×3, first 2 shown]
	v_add_co_u32 v17, vcc_lo, s2, v1
	global_load_b64 v[65:66], v[19:20], off
	v_add_nc_u32_e32 v93, s5, v91
	v_add_co_ci_u32_e32 v18, vcc_lo, s3, v2, vcc_lo
	v_lshlrev_b64 v[1:2], 3, v[41:42]
	v_ashrrev_i32_e32 v74, 31, v73
	s_delay_alu instid0(VALU_DEP_4) | instskip(SKIP_3) | instid1(VALU_DEP_4)
	v_add_nc_u32_e32 v95, s5, v93
	v_add_co_u32 v9, vcc_lo, s2, v3
	v_ashrrev_i32_e32 v76, 31, v75
	v_add_co_ci_u32_e32 v10, vcc_lo, s3, v4, vcc_lo
	v_add_nc_u32_e32 v97, s5, v95
	v_lshlrev_b64 v[3:4], 3, v[73:74]
	v_add_co_u32 v13, vcc_lo, s2, v1
	v_add_co_ci_u32_e32 v14, vcc_lo, s3, v2, vcc_lo
	s_delay_alu instid0(VALU_DEP_4) | instskip(SKIP_3) | instid1(VALU_DEP_4)
	v_add_nc_u32_e32 v99, s5, v97
	v_lshlrev_b64 v[1:2], 3, v[75:76]
	v_ashrrev_i32_e32 v78, 31, v77
	v_add_co_u32 v11, vcc_lo, s2, v3
	v_add_nc_u32_e32 v101, s5, v99
	s_clause 0x3
	global_load_b64 v[67:68], v[25:26], off
	global_load_b64 v[69:70], v[23:24], off
	;; [unrolled: 1-line block ×4, first 2 shown]
	v_add_co_ci_u32_e32 v12, vcc_lo, s3, v4, vcc_lo
	v_add_nc_u32_e32 v103, s5, v101
	v_lshlrev_b64 v[21:22], 3, v[77:78]
	v_add_co_u32 v3, vcc_lo, s2, v1
	v_add_co_ci_u32_e32 v4, vcc_lo, s3, v2, vcc_lo
	s_delay_alu instid0(VALU_DEP_4)
	v_add_nc_u32_e32 v106, s5, v103
	v_ashrrev_i32_e32 v84, 31, v83
	v_ashrrev_i32_e32 v86, 31, v85
	;; [unrolled: 1-line block ×4, first 2 shown]
	v_add_nc_u32_e32 v110, s5, v106
	v_ashrrev_i32_e32 v92, 31, v91
	v_lshlrev_b64 v[31:32], 3, v[85:86]
	v_lshlrev_b64 v[37:38], 3, v[87:88]
	v_lshlrev_b64 v[41:42], 3, v[89:90]
	v_add_nc_u32_e32 v112, s5, v110
	v_ashrrev_i32_e32 v94, 31, v93
	v_ashrrev_i32_e32 v96, 31, v95
	v_ashrrev_i32_e32 v98, 31, v97
	v_ashrrev_i32_e32 v100, 31, v99
	v_add_nc_u32_e32 v114, s5, v112
	v_ashrrev_i32_e32 v102, 31, v101
	v_ashrrev_i32_e32 v104, 31, v103
	;; [unrolled: 1-line block ×4, first 2 shown]
	v_add_nc_u32_e32 v116, s5, v114
	v_ashrrev_i32_e32 v115, 31, v114
	s_cmpk_lg_i32 s1, 0x84
	s_delay_alu instid0(VALU_DEP_2) | instskip(SKIP_1) | instid1(VALU_DEP_2)
	v_add_nc_u32_e32 v118, s5, v116
	v_ashrrev_i32_e32 v117, 31, v116
	v_add_nc_u32_e32 v120, s5, v118
	v_ashrrev_i32_e32 v119, 31, v118
	s_delay_alu instid0(VALU_DEP_2) | instskip(SKIP_1) | instid1(VALU_DEP_2)
	v_add_nc_u32_e32 v122, s5, v120
	v_ashrrev_i32_e32 v121, 31, v120
	v_add_nc_u32_e32 v124, s5, v122
	v_ashrrev_i32_e32 v123, 31, v122
	;; [unrolled: 5-line block ×8, first 2 shown]
	s_delay_alu instid0(VALU_DEP_2) | instskip(SKIP_1) | instid1(VALU_DEP_2)
	v_add_nc_u32_e32 v5, s5, v148
	v_ashrrev_i32_e32 v149, 31, v148
	v_ashrrev_i32_e32 v6, 31, v5
	s_delay_alu instid0(VALU_DEP_1) | instskip(NEXT) | instid1(VALU_DEP_1)
	v_lshlrev_b64 v[5:6], 3, v[5:6]
	v_add_co_u32 v1, vcc_lo, s2, v5
	s_delay_alu instid0(VALU_DEP_2) | instskip(SKIP_4) | instid1(VALU_DEP_1)
	v_add_co_ci_u32_e32 v2, vcc_lo, s3, v6, vcc_lo
	v_add_co_u32 v5, vcc_lo, s2, v21
	v_add_co_ci_u32_e32 v6, vcc_lo, s3, v22, vcc_lo
	global_load_b64 v[150:151], v[1:2], off
	v_lshlrev_b64 v[21:22], 3, v[83:84]
	v_add_co_u32 v21, vcc_lo, s2, v21
	s_delay_alu instid0(VALU_DEP_2)
	v_add_co_ci_u32_e32 v22, vcc_lo, s3, v22, vcc_lo
	v_add_co_u32 v31, vcc_lo, s2, v31
	v_add_co_ci_u32_e32 v32, vcc_lo, s3, v32, vcc_lo
	v_add_co_u32 v37, vcc_lo, s2, v37
	;; [unrolled: 2-line block ×3, first 2 shown]
	v_add_co_ci_u32_e32 v42, vcc_lo, s3, v42, vcc_lo
	s_waitcnt vmcnt(13)
	scratch_store_b128 off, v[47:50], off
	s_clause 0x3
	global_load_b64 v[75:76], v[13:14], off
	global_load_b64 v[77:78], v[11:12], off
	;; [unrolled: 1-line block ×4, first 2 shown]
	v_lshlrev_b64 v[47:48], 3, v[91:92]
	v_lshlrev_b64 v[49:50], 3, v[93:94]
	s_waitcnt vmcnt(14)
	scratch_store_b128 off, v[55:58], off offset:16
	s_waitcnt vmcnt(13)
	scratch_store_b128 off, v[51:54], off offset:32
	v_add_co_u32 v47, vcc_lo, s2, v47
	v_lshlrev_b64 v[51:52], 3, v[95:96]
	s_clause 0x2
	global_load_b64 v[83:84], v[21:22], off
	global_load_b64 v[85:86], v[31:32], off
	;; [unrolled: 1-line block ×3, first 2 shown]
	v_add_co_ci_u32_e32 v48, vcc_lo, s3, v48, vcc_lo
	global_load_b64 v[89:90], v[41:42], off
	v_add_co_u32 v49, vcc_lo, s2, v49
	v_lshlrev_b64 v[53:54], 3, v[97:98]
	v_add_co_ci_u32_e32 v50, vcc_lo, s3, v50, vcc_lo
	v_add_co_u32 v51, vcc_lo, s2, v51
	v_lshlrev_b64 v[55:56], 3, v[99:100]
	v_add_co_ci_u32_e32 v52, vcc_lo, s3, v52, vcc_lo
	v_add_co_u32 v53, vcc_lo, s2, v53
	v_lshlrev_b64 v[57:58], 3, v[101:102]
	s_waitcnt vmcnt(15)
	scratch_store_b128 off, v[59:62], off offset:48
	s_waitcnt vmcnt(13)
	scratch_store_b128 off, v[63:66], off offset:64
	v_lshlrev_b64 v[59:60], 3, v[103:104]
	v_mov_b32_e32 v103, 0
	v_ashrrev_i32_e32 v107, 31, v106
	v_add_co_ci_u32_e32 v54, vcc_lo, s3, v54, vcc_lo
	v_add_co_u32 v55, vcc_lo, s2, v55
	s_clause 0x3
	global_load_b64 v[91:92], v[47:48], off
	global_load_b64 v[93:94], v[49:50], off
	;; [unrolled: 1-line block ×4, first 2 shown]
	v_add_co_ci_u32_e32 v56, vcc_lo, s3, v56, vcc_lo
	v_add_co_u32 v57, vcc_lo, s2, v57
	v_lshlrev_b64 v[61:62], 3, v[106:107]
	v_add_co_ci_u32_e32 v58, vcc_lo, s3, v58, vcc_lo
	v_add_co_u32 v59, vcc_lo, s2, v59
	v_lshlrev_b64 v[63:64], 3, v[110:111]
	;; [unrolled: 3-line block ×3, first 2 shown]
	v_add_co_ci_u32_e32 v62, vcc_lo, s3, v62, vcc_lo
	s_waitcnt vmcnt(15)
	scratch_store_b128 off, v[67:70], off offset:80
	s_waitcnt vmcnt(13)
	scratch_store_b128 off, v[71:74], off offset:96
	v_add_co_u32 v63, vcc_lo, s2, v63
	v_lshlrev_b64 v[67:68], 3, v[114:115]
	s_clause 0x3
	global_load_b64 v[99:100], v[55:56], off
	global_load_b64 v[101:102], v[57:58], off
	;; [unrolled: 1-line block ×4, first 2 shown]
	v_add_co_ci_u32_e32 v64, vcc_lo, s3, v64, vcc_lo
	v_add_co_u32 v65, vcc_lo, s2, v65
	v_lshlrev_b64 v[69:70], 3, v[116:117]
	v_add_co_ci_u32_e32 v66, vcc_lo, s3, v66, vcc_lo
	v_add_co_u32 v67, vcc_lo, s2, v67
	v_add_co_ci_u32_e32 v68, vcc_lo, s3, v68, vcc_lo
	s_delay_alu instid0(VALU_DEP_4)
	v_add_co_u32 v69, vcc_lo, s2, v69
	v_add_co_ci_u32_e32 v70, vcc_lo, s3, v70, vcc_lo
	v_lshlrev_b64 v[71:72], 3, v[118:119]
	v_lshlrev_b64 v[73:74], 3, v[120:121]
	v_mov_b32_e32 v104, 0xbff00000
	s_waitcnt vmcnt(14)
	scratch_store_b128 off, v[75:78], off offset:112
	s_waitcnt vmcnt(12)
	scratch_store_b128 off, v[79:82], off offset:128
	s_clause 0x3
	global_load_b64 v[110:111], v[63:64], off
	global_load_b64 v[112:113], v[65:66], off
	;; [unrolled: 1-line block ×4, first 2 shown]
	v_add_co_u32 v71, vcc_lo, s2, v71
	v_lshlrev_b64 v[75:76], 3, v[122:123]
	v_add_co_ci_u32_e32 v72, vcc_lo, s3, v72, vcc_lo
	v_add_co_u32 v73, vcc_lo, s2, v73
	v_lshlrev_b64 v[77:78], 3, v[124:125]
	v_add_co_ci_u32_e32 v74, vcc_lo, s3, v74, vcc_lo
	;; [unrolled: 3-line block ×4, first 2 shown]
	s_waitcnt vmcnt(14)
	scratch_store_b128 off, v[83:86], off offset:144
	s_waitcnt vmcnt(12)
	scratch_store_b128 off, v[87:90], off offset:160
	v_add_co_u32 v79, vcc_lo, s2, v79
	v_lshlrev_b64 v[83:84], 3, v[130:131]
	v_add_co_ci_u32_e32 v80, vcc_lo, s3, v80, vcc_lo
	v_add_co_u32 v81, vcc_lo, s2, v81
	v_lshlrev_b64 v[85:86], 3, v[132:133]
	v_add_co_ci_u32_e32 v82, vcc_lo, s3, v82, vcc_lo
	;; [unrolled: 3-line block ×4, first 2 shown]
	s_clause 0x2
	global_load_b64 v[118:119], v[71:72], off
	global_load_b64 v[120:121], v[73:74], off
	;; [unrolled: 1-line block ×3, first 2 shown]
	s_waitcnt vmcnt(13)
	scratch_store_b128 off, v[91:94], off offset:176
	s_waitcnt vmcnt(11)
	scratch_store_b128 off, v[95:98], off offset:192
	v_add_co_u32 v87, vcc_lo, s2, v87
	v_lshlrev_b64 v[91:92], 3, v[138:139]
	v_add_co_ci_u32_e32 v88, vcc_lo, s3, v88, vcc_lo
	v_add_co_u32 v89, vcc_lo, s2, v89
	v_lshlrev_b64 v[93:94], 3, v[140:141]
	v_add_co_ci_u32_e32 v90, vcc_lo, s3, v90, vcc_lo
	v_add_co_u32 v91, vcc_lo, s2, v91
	v_lshlrev_b64 v[95:96], 3, v[142:143]
	v_add_co_ci_u32_e32 v92, vcc_lo, s3, v92, vcc_lo
	v_add_co_u32 v93, vcc_lo, s2, v93
	v_lshlrev_b64 v[97:98], 3, v[144:145]
	v_add_co_ci_u32_e32 v94, vcc_lo, s3, v94, vcc_lo
	s_clause 0x3
	global_load_b64 v[124:125], v[77:78], off
	global_load_b64 v[126:127], v[79:80], off
	;; [unrolled: 1-line block ×4, first 2 shown]
	s_waitcnt vmcnt(13)
	scratch_store_b128 off, v[99:102], off offset:208
	s_waitcnt vmcnt(11)
	scratch_store_b128 off, v[106:109], off offset:224
	v_add_co_u32 v95, vcc_lo, s2, v95
	v_lshlrev_b64 v[99:100], 3, v[146:147]
	v_add_co_ci_u32_e32 v96, vcc_lo, s3, v96, vcc_lo
	v_add_co_u32 v97, vcc_lo, s2, v97
	v_lshlrev_b64 v[101:102], 3, v[148:149]
	v_add_co_ci_u32_e32 v98, vcc_lo, s3, v98, vcc_lo
	v_add_co_u32 v99, vcc_lo, s2, v99
	v_add_co_ci_u32_e32 v100, vcc_lo, s3, v100, vcc_lo
	s_delay_alu instid0(VALU_DEP_4)
	v_add_co_u32 v101, vcc_lo, s2, v101
	s_clause 0x3
	global_load_b64 v[132:133], v[85:86], off
	global_load_b64 v[106:107], v[87:88], off
	;; [unrolled: 1-line block ×4, first 2 shown]
	v_add_co_ci_u32_e32 v102, vcc_lo, s3, v102, vcc_lo
	s_cselect_b32 s3, -1, 0
	s_cmpk_eq_i32 s1, 0x84
	s_waitcnt vmcnt(13)
	scratch_store_b128 off, v[110:113], off offset:240
	s_waitcnt vmcnt(11)
	scratch_store_b128 off, v[114:117], off offset:256
	s_clause 0x4
	global_load_b64 v[136:137], v[93:94], off
	global_load_b64 v[110:111], v[95:96], off
	;; [unrolled: 1-line block ×5, first 2 shown]
	s_waitcnt vmcnt(14)
	scratch_store_b128 off, v[118:121], off offset:272
	s_waitcnt vmcnt(12)
	scratch_store_b128 off, v[122:125], off offset:288
	;; [unrolled: 2-line block ×7, first 2 shown]
	s_waitcnt vmcnt(0)
	s_clause 0x1
	scratch_store_b128 off, v[114:117], off offset:384
	scratch_store_b64 off, v[150:151], off offset:400
	s_cbranch_scc1 .LBB114_3
; %bb.2:
	scratch_load_b64 v[103:104], v105, off
	s_waitcnt vmcnt(0)
	v_div_scale_f64 v[106:107], null, v[103:104], v[103:104], 1.0
	v_div_scale_f64 v[112:113], vcc_lo, 1.0, v[103:104], 1.0
	s_delay_alu instid0(VALU_DEP_2) | instskip(SKIP_2) | instid1(VALU_DEP_1)
	v_rcp_f64_e32 v[108:109], v[106:107]
	s_waitcnt_depctr 0xfff
	v_fma_f64 v[110:111], -v[106:107], v[108:109], 1.0
	v_fma_f64 v[108:109], v[108:109], v[110:111], v[108:109]
	s_delay_alu instid0(VALU_DEP_1) | instskip(NEXT) | instid1(VALU_DEP_1)
	v_fma_f64 v[110:111], -v[106:107], v[108:109], 1.0
	v_fma_f64 v[108:109], v[108:109], v[110:111], v[108:109]
	s_delay_alu instid0(VALU_DEP_1) | instskip(NEXT) | instid1(VALU_DEP_1)
	v_mul_f64 v[110:111], v[112:113], v[108:109]
	v_fma_f64 v[106:107], -v[106:107], v[110:111], v[112:113]
	s_delay_alu instid0(VALU_DEP_1) | instskip(NEXT) | instid1(VALU_DEP_1)
	v_div_fmas_f64 v[106:107], v[106:107], v[108:109], v[110:111]
	v_div_fixup_f64 v[103:104], v[106:107], v[103:104], 1.0
	scratch_store_b64 v105, v[103:104], off
	v_xor_b32_e32 v104, 0x80000000, v104
.LBB114_3:
	v_add_nc_u32_e32 v106, 0x1a0, v105
	v_add_nc_u32_e32 v107, 0, v105
	s_cmpk_eq_i32 s0, 0x79
	s_mov_b32 s0, -1
	ds_store_b64 v105, v[103:104]
	s_cbranch_scc1 .LBB114_499
; %bb.4:
	scratch_load_b64 v[103:104], off, off offset:392
	v_cmp_eq_u32_e64 s0, 50, v0
	s_movk_i32 s1, 0x50
	s_movk_i32 s2, 0x60
	;; [unrolled: 1-line block ×20, first 2 shown]
	s_waitcnt vmcnt(0)
	ds_store_b64 v106, v[103:104]
	s_waitcnt lgkmcnt(0)
	s_waitcnt_vscnt null, 0x0
	s_barrier
	buffer_gl0_inv
	s_and_saveexec_b32 s22, s0
	s_cbranch_execz .LBB114_10
; %bb.5:
	s_and_b32 vcc_lo, exec_lo, s3
	s_cbranch_vccz .LBB114_7
; %bb.6:
	scratch_load_b64 v[103:104], v107, off
	ds_load_b64 v[108:109], v106
	s_waitcnt vmcnt(0) lgkmcnt(0)
	v_mul_f64 v[103:104], v[103:104], v[108:109]
	s_cbranch_execz .LBB114_8
	s_branch .LBB114_9
.LBB114_7:
                                        ; implicit-def: $vgpr103_vgpr104
.LBB114_8:
	ds_load_b64 v[103:104], v106
.LBB114_9:
	v_mov_b32_e32 v108, 0
	ds_load_b64 v[108:109], v108 offset:392
	s_waitcnt lgkmcnt(0)
	v_mul_f64 v[103:104], v[103:104], v[108:109]
	scratch_store_b64 off, v[103:104], off offset:392
.LBB114_10:
	s_or_b32 exec_lo, exec_lo, s22
	scratch_load_b64 v[103:104], off, off offset:384
	v_add_nc_u32_e64 v108, 0, 16
	v_add_nc_u32_e64 v109, 0, 32
	;; [unrolled: 1-line block ×24, first 2 shown]
	v_cmp_lt_u32_e64 s2, 48, v0
	s_waitcnt vmcnt(0)
	ds_store_b64 v106, v[103:104]
	s_waitcnt lgkmcnt(0)
	s_waitcnt_vscnt null, 0x0
	s_barrier
	buffer_gl0_inv
	s_and_saveexec_b32 s1, s2
	s_cbranch_execz .LBB114_18
; %bb.11:
	s_and_not1_b32 vcc_lo, exec_lo, s3
	s_cbranch_vccnz .LBB114_13
; %bb.12:
	scratch_load_b64 v[103:104], v107, off
	ds_load_b64 v[132:133], v106
	s_waitcnt vmcnt(0) lgkmcnt(0)
	v_mul_f64 v[103:104], v[103:104], v[132:133]
	s_cbranch_execz .LBB114_14
	s_branch .LBB114_15
.LBB114_13:
                                        ; implicit-def: $vgpr103_vgpr104
.LBB114_14:
	ds_load_b64 v[103:104], v106
.LBB114_15:
	s_and_saveexec_b32 s4, s0
	s_cbranch_execz .LBB114_17
; %bb.16:
	scratch_load_b64 v[132:133], off, off offset:392
	v_mov_b32_e32 v134, 0
	ds_load_b64 v[134:135], v134 offset:808
	s_waitcnt vmcnt(0) lgkmcnt(0)
	v_fma_f64 v[103:104], v[132:133], v[134:135], v[103:104]
.LBB114_17:
	s_or_b32 exec_lo, exec_lo, s4
	v_mov_b32_e32 v132, 0
	ds_load_b64 v[132:133], v132 offset:384
	s_waitcnt lgkmcnt(0)
	v_mul_f64 v[103:104], v[103:104], v[132:133]
	scratch_store_b64 off, v[103:104], off offset:384
.LBB114_18:
	s_or_b32 exec_lo, exec_lo, s1
	scratch_load_b64 v[103:104], off, off offset:376
	v_cmp_lt_u32_e64 s1, 47, v0
	s_waitcnt vmcnt(0)
	ds_store_b64 v106, v[103:104]
	s_waitcnt lgkmcnt(0)
	s_waitcnt_vscnt null, 0x0
	s_barrier
	buffer_gl0_inv
	s_and_saveexec_b32 s0, s1
	s_cbranch_execz .LBB114_28
; %bb.19:
	s_and_not1_b32 vcc_lo, exec_lo, s3
	s_cbranch_vccnz .LBB114_21
; %bb.20:
	scratch_load_b64 v[103:104], v107, off
	ds_load_b64 v[132:133], v106
	s_waitcnt vmcnt(0) lgkmcnt(0)
	v_mul_f64 v[103:104], v[103:104], v[132:133]
	s_cbranch_execz .LBB114_22
	s_branch .LBB114_23
.LBB114_21:
                                        ; implicit-def: $vgpr103_vgpr104
.LBB114_22:
	ds_load_b64 v[103:104], v106
.LBB114_23:
	s_and_saveexec_b32 s4, s2
	s_cbranch_execz .LBB114_27
; %bb.24:
	v_subrev_nc_u32_e32 v132, 48, v0
	s_movk_i32 s5, 0x320
	s_mov_b32 s2, 0
.LBB114_25:                             ; =>This Inner Loop Header: Depth=1
	scratch_load_b64 v[133:134], v131, off
	v_dual_mov_b32 v135, s5 :: v_dual_add_nc_u32 v132, -1, v132
	v_add_nc_u32_e32 v131, 8, v131
	s_add_i32 s5, s5, 8
	ds_load_b64 v[135:136], v135
	v_cmp_eq_u32_e32 vcc_lo, 0, v132
	s_or_b32 s2, vcc_lo, s2
	s_waitcnt vmcnt(0) lgkmcnt(0)
	v_fma_f64 v[103:104], v[133:134], v[135:136], v[103:104]
	s_and_not1_b32 exec_lo, exec_lo, s2
	s_cbranch_execnz .LBB114_25
; %bb.26:
	s_or_b32 exec_lo, exec_lo, s2
.LBB114_27:
	s_delay_alu instid0(SALU_CYCLE_1)
	s_or_b32 exec_lo, exec_lo, s4
	v_mov_b32_e32 v131, 0
	ds_load_b64 v[131:132], v131 offset:376
	s_waitcnt lgkmcnt(0)
	v_mul_f64 v[103:104], v[103:104], v[131:132]
	scratch_store_b64 off, v[103:104], off offset:376
.LBB114_28:
	s_or_b32 exec_lo, exec_lo, s0
	scratch_load_b64 v[103:104], off, off offset:368
	v_cmp_lt_u32_e64 s0, 46, v0
	s_waitcnt vmcnt(0)
	ds_store_b64 v106, v[103:104]
	s_waitcnt lgkmcnt(0)
	s_waitcnt_vscnt null, 0x0
	s_barrier
	buffer_gl0_inv
	s_and_saveexec_b32 s2, s0
	s_cbranch_execz .LBB114_38
; %bb.29:
	s_and_not1_b32 vcc_lo, exec_lo, s3
	s_cbranch_vccnz .LBB114_31
; %bb.30:
	scratch_load_b64 v[103:104], v107, off
	ds_load_b64 v[131:132], v106
	s_waitcnt vmcnt(0) lgkmcnt(0)
	v_mul_f64 v[103:104], v[103:104], v[131:132]
	s_cbranch_execz .LBB114_32
	s_branch .LBB114_33
.LBB114_31:
                                        ; implicit-def: $vgpr103_vgpr104
.LBB114_32:
	ds_load_b64 v[103:104], v106
.LBB114_33:
	s_and_saveexec_b32 s4, s1
	s_cbranch_execz .LBB114_37
; %bb.34:
	v_mov_b32_e32 v131, 0
	v_subrev_nc_u32_e32 v132, 47, v0
	s_movk_i32 s5, 0x318
	s_mov_b32 s1, 0
	s_delay_alu instid0(VALU_DEP_2)
	v_add_nc_u32_e32 v131, 0x178, v131
.LBB114_35:                             ; =>This Inner Loop Header: Depth=1
	scratch_load_b64 v[133:134], v131, off
	v_dual_mov_b32 v135, s5 :: v_dual_add_nc_u32 v132, -1, v132
	v_add_nc_u32_e32 v131, 8, v131
	s_add_i32 s5, s5, 8
	ds_load_b64 v[135:136], v135
	v_cmp_eq_u32_e32 vcc_lo, 0, v132
	s_or_b32 s1, vcc_lo, s1
	s_waitcnt vmcnt(0) lgkmcnt(0)
	v_fma_f64 v[103:104], v[133:134], v[135:136], v[103:104]
	s_and_not1_b32 exec_lo, exec_lo, s1
	s_cbranch_execnz .LBB114_35
; %bb.36:
	s_or_b32 exec_lo, exec_lo, s1
.LBB114_37:
	s_delay_alu instid0(SALU_CYCLE_1)
	s_or_b32 exec_lo, exec_lo, s4
	v_mov_b32_e32 v131, 0
	ds_load_b64 v[131:132], v131 offset:368
	s_waitcnt lgkmcnt(0)
	v_mul_f64 v[103:104], v[103:104], v[131:132]
	scratch_store_b64 off, v[103:104], off offset:368
.LBB114_38:
	s_or_b32 exec_lo, exec_lo, s2
	scratch_load_b64 v[103:104], off, off offset:360
	v_cmp_lt_u32_e64 s1, 45, v0
	s_waitcnt vmcnt(0)
	ds_store_b64 v106, v[103:104]
	s_waitcnt lgkmcnt(0)
	s_waitcnt_vscnt null, 0x0
	s_barrier
	buffer_gl0_inv
	s_and_saveexec_b32 s2, s1
	s_cbranch_execz .LBB114_48
; %bb.39:
	s_and_not1_b32 vcc_lo, exec_lo, s3
	s_cbranch_vccnz .LBB114_41
; %bb.40:
	scratch_load_b64 v[103:104], v107, off
	ds_load_b64 v[131:132], v106
	s_waitcnt vmcnt(0) lgkmcnt(0)
	v_mul_f64 v[103:104], v[103:104], v[131:132]
	s_cbranch_execz .LBB114_42
	s_branch .LBB114_43
.LBB114_41:
                                        ; implicit-def: $vgpr103_vgpr104
.LBB114_42:
	ds_load_b64 v[103:104], v106
.LBB114_43:
	s_and_saveexec_b32 s4, s0
	s_cbranch_execz .LBB114_47
; %bb.44:
	v_subrev_nc_u32_e32 v131, 46, v0
	s_movk_i32 s5, 0x310
	s_mov_b32 s0, 0
.LBB114_45:                             ; =>This Inner Loop Header: Depth=1
	scratch_load_b64 v[132:133], v130, off
	v_dual_mov_b32 v134, s5 :: v_dual_add_nc_u32 v131, -1, v131
	v_add_nc_u32_e32 v130, 8, v130
	s_add_i32 s5, s5, 8
	ds_load_b64 v[134:135], v134
	v_cmp_eq_u32_e32 vcc_lo, 0, v131
	s_or_b32 s0, vcc_lo, s0
	s_waitcnt vmcnt(0) lgkmcnt(0)
	v_fma_f64 v[103:104], v[132:133], v[134:135], v[103:104]
	s_and_not1_b32 exec_lo, exec_lo, s0
	s_cbranch_execnz .LBB114_45
; %bb.46:
	s_or_b32 exec_lo, exec_lo, s0
.LBB114_47:
	s_delay_alu instid0(SALU_CYCLE_1)
	s_or_b32 exec_lo, exec_lo, s4
	v_mov_b32_e32 v130, 0
	ds_load_b64 v[130:131], v130 offset:360
	s_waitcnt lgkmcnt(0)
	v_mul_f64 v[103:104], v[103:104], v[130:131]
	scratch_store_b64 off, v[103:104], off offset:360
.LBB114_48:
	s_or_b32 exec_lo, exec_lo, s2
	scratch_load_b64 v[103:104], off, off offset:352
	v_cmp_lt_u32_e64 s0, 44, v0
	s_waitcnt vmcnt(0)
	ds_store_b64 v106, v[103:104]
	s_waitcnt lgkmcnt(0)
	s_waitcnt_vscnt null, 0x0
	s_barrier
	buffer_gl0_inv
	s_and_saveexec_b32 s2, s0
	s_cbranch_execz .LBB114_58
; %bb.49:
	s_and_not1_b32 vcc_lo, exec_lo, s3
	s_cbranch_vccnz .LBB114_51
; %bb.50:
	scratch_load_b64 v[103:104], v107, off
	ds_load_b64 v[130:131], v106
	s_waitcnt vmcnt(0) lgkmcnt(0)
	v_mul_f64 v[103:104], v[103:104], v[130:131]
	s_cbranch_execz .LBB114_52
	s_branch .LBB114_53
.LBB114_51:
                                        ; implicit-def: $vgpr103_vgpr104
.LBB114_52:
	ds_load_b64 v[103:104], v106
.LBB114_53:
	s_and_saveexec_b32 s4, s1
	s_cbranch_execz .LBB114_57
; %bb.54:
	v_mov_b32_e32 v130, 0
	v_subrev_nc_u32_e32 v131, 45, v0
	s_movk_i32 s5, 0x308
	s_mov_b32 s1, 0
	s_delay_alu instid0(VALU_DEP_2)
	v_add_nc_u32_e32 v130, 0x168, v130
.LBB114_55:                             ; =>This Inner Loop Header: Depth=1
	scratch_load_b64 v[132:133], v130, off
	v_dual_mov_b32 v134, s5 :: v_dual_add_nc_u32 v131, -1, v131
	v_add_nc_u32_e32 v130, 8, v130
	s_add_i32 s5, s5, 8
	ds_load_b64 v[134:135], v134
	v_cmp_eq_u32_e32 vcc_lo, 0, v131
	s_or_b32 s1, vcc_lo, s1
	s_waitcnt vmcnt(0) lgkmcnt(0)
	v_fma_f64 v[103:104], v[132:133], v[134:135], v[103:104]
	s_and_not1_b32 exec_lo, exec_lo, s1
	s_cbranch_execnz .LBB114_55
; %bb.56:
	s_or_b32 exec_lo, exec_lo, s1
.LBB114_57:
	s_delay_alu instid0(SALU_CYCLE_1)
	s_or_b32 exec_lo, exec_lo, s4
	v_mov_b32_e32 v130, 0
	ds_load_b64 v[130:131], v130 offset:352
	s_waitcnt lgkmcnt(0)
	v_mul_f64 v[103:104], v[103:104], v[130:131]
	scratch_store_b64 off, v[103:104], off offset:352
.LBB114_58:
	s_or_b32 exec_lo, exec_lo, s2
	scratch_load_b64 v[103:104], off, off offset:344
	v_cmp_lt_u32_e64 s1, 43, v0
	s_waitcnt vmcnt(0)
	ds_store_b64 v106, v[103:104]
	s_waitcnt lgkmcnt(0)
	s_waitcnt_vscnt null, 0x0
	s_barrier
	buffer_gl0_inv
	s_and_saveexec_b32 s2, s1
	s_cbranch_execz .LBB114_68
; %bb.59:
	s_and_not1_b32 vcc_lo, exec_lo, s3
	s_cbranch_vccnz .LBB114_61
; %bb.60:
	scratch_load_b64 v[103:104], v107, off
	ds_load_b64 v[130:131], v106
	s_waitcnt vmcnt(0) lgkmcnt(0)
	v_mul_f64 v[103:104], v[103:104], v[130:131]
	s_cbranch_execz .LBB114_62
	s_branch .LBB114_63
.LBB114_61:
                                        ; implicit-def: $vgpr103_vgpr104
.LBB114_62:
	ds_load_b64 v[103:104], v106
.LBB114_63:
	s_and_saveexec_b32 s4, s0
	s_cbranch_execz .LBB114_67
; %bb.64:
	v_subrev_nc_u32_e32 v130, 44, v0
	s_movk_i32 s5, 0x300
	s_mov_b32 s0, 0
.LBB114_65:                             ; =>This Inner Loop Header: Depth=1
	scratch_load_b64 v[131:132], v129, off
	v_dual_mov_b32 v133, s5 :: v_dual_add_nc_u32 v130, -1, v130
	v_add_nc_u32_e32 v129, 8, v129
	s_add_i32 s5, s5, 8
	ds_load_b64 v[133:134], v133
	v_cmp_eq_u32_e32 vcc_lo, 0, v130
	s_or_b32 s0, vcc_lo, s0
	s_waitcnt vmcnt(0) lgkmcnt(0)
	v_fma_f64 v[103:104], v[131:132], v[133:134], v[103:104]
	s_and_not1_b32 exec_lo, exec_lo, s0
	s_cbranch_execnz .LBB114_65
; %bb.66:
	s_or_b32 exec_lo, exec_lo, s0
.LBB114_67:
	s_delay_alu instid0(SALU_CYCLE_1)
	s_or_b32 exec_lo, exec_lo, s4
	v_mov_b32_e32 v129, 0
	ds_load_b64 v[129:130], v129 offset:344
	s_waitcnt lgkmcnt(0)
	v_mul_f64 v[103:104], v[103:104], v[129:130]
	scratch_store_b64 off, v[103:104], off offset:344
.LBB114_68:
	s_or_b32 exec_lo, exec_lo, s2
	scratch_load_b64 v[103:104], off, off offset:336
	v_cmp_lt_u32_e64 s0, 42, v0
	s_waitcnt vmcnt(0)
	ds_store_b64 v106, v[103:104]
	s_waitcnt lgkmcnt(0)
	s_waitcnt_vscnt null, 0x0
	s_barrier
	buffer_gl0_inv
	s_and_saveexec_b32 s2, s0
	s_cbranch_execz .LBB114_78
; %bb.69:
	s_and_not1_b32 vcc_lo, exec_lo, s3
	s_cbranch_vccnz .LBB114_71
; %bb.70:
	scratch_load_b64 v[103:104], v107, off
	ds_load_b64 v[129:130], v106
	s_waitcnt vmcnt(0) lgkmcnt(0)
	v_mul_f64 v[103:104], v[103:104], v[129:130]
	s_cbranch_execz .LBB114_72
	s_branch .LBB114_73
.LBB114_71:
                                        ; implicit-def: $vgpr103_vgpr104
.LBB114_72:
	ds_load_b64 v[103:104], v106
.LBB114_73:
	s_and_saveexec_b32 s4, s1
	s_cbranch_execz .LBB114_77
; %bb.74:
	v_mov_b32_e32 v129, 0
	v_subrev_nc_u32_e32 v130, 43, v0
	s_movk_i32 s5, 0x2f8
	s_mov_b32 s1, 0
	s_delay_alu instid0(VALU_DEP_2)
	v_add_nc_u32_e32 v129, 0x158, v129
.LBB114_75:                             ; =>This Inner Loop Header: Depth=1
	scratch_load_b64 v[131:132], v129, off
	v_dual_mov_b32 v133, s5 :: v_dual_add_nc_u32 v130, -1, v130
	v_add_nc_u32_e32 v129, 8, v129
	s_add_i32 s5, s5, 8
	ds_load_b64 v[133:134], v133
	v_cmp_eq_u32_e32 vcc_lo, 0, v130
	s_or_b32 s1, vcc_lo, s1
	s_waitcnt vmcnt(0) lgkmcnt(0)
	v_fma_f64 v[103:104], v[131:132], v[133:134], v[103:104]
	s_and_not1_b32 exec_lo, exec_lo, s1
	s_cbranch_execnz .LBB114_75
; %bb.76:
	s_or_b32 exec_lo, exec_lo, s1
.LBB114_77:
	s_delay_alu instid0(SALU_CYCLE_1)
	s_or_b32 exec_lo, exec_lo, s4
	v_mov_b32_e32 v129, 0
	ds_load_b64 v[129:130], v129 offset:336
	s_waitcnt lgkmcnt(0)
	v_mul_f64 v[103:104], v[103:104], v[129:130]
	scratch_store_b64 off, v[103:104], off offset:336
.LBB114_78:
	s_or_b32 exec_lo, exec_lo, s2
	scratch_load_b64 v[103:104], off, off offset:328
	v_cmp_lt_u32_e64 s1, 41, v0
	s_waitcnt vmcnt(0)
	ds_store_b64 v106, v[103:104]
	s_waitcnt lgkmcnt(0)
	s_waitcnt_vscnt null, 0x0
	s_barrier
	buffer_gl0_inv
	s_and_saveexec_b32 s2, s1
	s_cbranch_execz .LBB114_88
; %bb.79:
	s_and_not1_b32 vcc_lo, exec_lo, s3
	s_cbranch_vccnz .LBB114_81
; %bb.80:
	scratch_load_b64 v[103:104], v107, off
	ds_load_b64 v[129:130], v106
	s_waitcnt vmcnt(0) lgkmcnt(0)
	v_mul_f64 v[103:104], v[103:104], v[129:130]
	s_cbranch_execz .LBB114_82
	s_branch .LBB114_83
.LBB114_81:
                                        ; implicit-def: $vgpr103_vgpr104
.LBB114_82:
	ds_load_b64 v[103:104], v106
.LBB114_83:
	s_and_saveexec_b32 s4, s0
	s_cbranch_execz .LBB114_87
; %bb.84:
	v_subrev_nc_u32_e32 v129, 42, v0
	s_movk_i32 s5, 0x2f0
	s_mov_b32 s0, 0
.LBB114_85:                             ; =>This Inner Loop Header: Depth=1
	scratch_load_b64 v[130:131], v128, off
	v_dual_mov_b32 v132, s5 :: v_dual_add_nc_u32 v129, -1, v129
	v_add_nc_u32_e32 v128, 8, v128
	s_add_i32 s5, s5, 8
	ds_load_b64 v[132:133], v132
	v_cmp_eq_u32_e32 vcc_lo, 0, v129
	s_or_b32 s0, vcc_lo, s0
	s_waitcnt vmcnt(0) lgkmcnt(0)
	v_fma_f64 v[103:104], v[130:131], v[132:133], v[103:104]
	s_and_not1_b32 exec_lo, exec_lo, s0
	s_cbranch_execnz .LBB114_85
; %bb.86:
	s_or_b32 exec_lo, exec_lo, s0
.LBB114_87:
	s_delay_alu instid0(SALU_CYCLE_1)
	s_or_b32 exec_lo, exec_lo, s4
	v_mov_b32_e32 v128, 0
	ds_load_b64 v[128:129], v128 offset:328
	s_waitcnt lgkmcnt(0)
	v_mul_f64 v[103:104], v[103:104], v[128:129]
	scratch_store_b64 off, v[103:104], off offset:328
.LBB114_88:
	s_or_b32 exec_lo, exec_lo, s2
	scratch_load_b64 v[103:104], off, off offset:320
	v_cmp_lt_u32_e64 s0, 40, v0
	s_waitcnt vmcnt(0)
	ds_store_b64 v106, v[103:104]
	s_waitcnt lgkmcnt(0)
	s_waitcnt_vscnt null, 0x0
	s_barrier
	buffer_gl0_inv
	s_and_saveexec_b32 s2, s0
	s_cbranch_execz .LBB114_98
; %bb.89:
	s_and_not1_b32 vcc_lo, exec_lo, s3
	s_cbranch_vccnz .LBB114_91
; %bb.90:
	scratch_load_b64 v[103:104], v107, off
	ds_load_b64 v[128:129], v106
	s_waitcnt vmcnt(0) lgkmcnt(0)
	v_mul_f64 v[103:104], v[103:104], v[128:129]
	s_cbranch_execz .LBB114_92
	s_branch .LBB114_93
.LBB114_91:
                                        ; implicit-def: $vgpr103_vgpr104
.LBB114_92:
	ds_load_b64 v[103:104], v106
.LBB114_93:
	s_and_saveexec_b32 s4, s1
	s_cbranch_execz .LBB114_97
; %bb.94:
	v_mov_b32_e32 v128, 0
	v_subrev_nc_u32_e32 v129, 41, v0
	s_movk_i32 s5, 0x2e8
	s_mov_b32 s1, 0
	s_delay_alu instid0(VALU_DEP_2)
	v_add_nc_u32_e32 v128, 0x148, v128
.LBB114_95:                             ; =>This Inner Loop Header: Depth=1
	scratch_load_b64 v[130:131], v128, off
	v_dual_mov_b32 v132, s5 :: v_dual_add_nc_u32 v129, -1, v129
	v_add_nc_u32_e32 v128, 8, v128
	s_add_i32 s5, s5, 8
	ds_load_b64 v[132:133], v132
	v_cmp_eq_u32_e32 vcc_lo, 0, v129
	s_or_b32 s1, vcc_lo, s1
	s_waitcnt vmcnt(0) lgkmcnt(0)
	v_fma_f64 v[103:104], v[130:131], v[132:133], v[103:104]
	s_and_not1_b32 exec_lo, exec_lo, s1
	s_cbranch_execnz .LBB114_95
; %bb.96:
	s_or_b32 exec_lo, exec_lo, s1
.LBB114_97:
	s_delay_alu instid0(SALU_CYCLE_1)
	s_or_b32 exec_lo, exec_lo, s4
	v_mov_b32_e32 v128, 0
	ds_load_b64 v[128:129], v128 offset:320
	s_waitcnt lgkmcnt(0)
	v_mul_f64 v[103:104], v[103:104], v[128:129]
	scratch_store_b64 off, v[103:104], off offset:320
.LBB114_98:
	s_or_b32 exec_lo, exec_lo, s2
	scratch_load_b64 v[103:104], off, off offset:312
	v_cmp_lt_u32_e64 s1, 39, v0
	s_waitcnt vmcnt(0)
	ds_store_b64 v106, v[103:104]
	s_waitcnt lgkmcnt(0)
	s_waitcnt_vscnt null, 0x0
	s_barrier
	buffer_gl0_inv
	s_and_saveexec_b32 s2, s1
	s_cbranch_execz .LBB114_108
; %bb.99:
	s_and_not1_b32 vcc_lo, exec_lo, s3
	s_cbranch_vccnz .LBB114_101
; %bb.100:
	scratch_load_b64 v[103:104], v107, off
	ds_load_b64 v[128:129], v106
	s_waitcnt vmcnt(0) lgkmcnt(0)
	v_mul_f64 v[103:104], v[103:104], v[128:129]
	s_cbranch_execz .LBB114_102
	s_branch .LBB114_103
.LBB114_101:
                                        ; implicit-def: $vgpr103_vgpr104
.LBB114_102:
	ds_load_b64 v[103:104], v106
.LBB114_103:
	s_and_saveexec_b32 s4, s0
	s_cbranch_execz .LBB114_107
; %bb.104:
	v_subrev_nc_u32_e32 v128, 40, v0
	s_movk_i32 s5, 0x2e0
	s_mov_b32 s0, 0
.LBB114_105:                            ; =>This Inner Loop Header: Depth=1
	scratch_load_b64 v[129:130], v127, off
	v_dual_mov_b32 v131, s5 :: v_dual_add_nc_u32 v128, -1, v128
	v_add_nc_u32_e32 v127, 8, v127
	s_add_i32 s5, s5, 8
	ds_load_b64 v[131:132], v131
	v_cmp_eq_u32_e32 vcc_lo, 0, v128
	s_or_b32 s0, vcc_lo, s0
	s_waitcnt vmcnt(0) lgkmcnt(0)
	v_fma_f64 v[103:104], v[129:130], v[131:132], v[103:104]
	s_and_not1_b32 exec_lo, exec_lo, s0
	s_cbranch_execnz .LBB114_105
; %bb.106:
	s_or_b32 exec_lo, exec_lo, s0
.LBB114_107:
	s_delay_alu instid0(SALU_CYCLE_1)
	s_or_b32 exec_lo, exec_lo, s4
	v_mov_b32_e32 v127, 0
	ds_load_b64 v[127:128], v127 offset:312
	s_waitcnt lgkmcnt(0)
	v_mul_f64 v[103:104], v[103:104], v[127:128]
	scratch_store_b64 off, v[103:104], off offset:312
.LBB114_108:
	s_or_b32 exec_lo, exec_lo, s2
	scratch_load_b64 v[103:104], off, off offset:304
	v_cmp_lt_u32_e64 s0, 38, v0
	s_waitcnt vmcnt(0)
	ds_store_b64 v106, v[103:104]
	s_waitcnt lgkmcnt(0)
	s_waitcnt_vscnt null, 0x0
	s_barrier
	buffer_gl0_inv
	s_and_saveexec_b32 s2, s0
	s_cbranch_execz .LBB114_118
; %bb.109:
	s_and_not1_b32 vcc_lo, exec_lo, s3
	s_cbranch_vccnz .LBB114_111
; %bb.110:
	scratch_load_b64 v[103:104], v107, off
	ds_load_b64 v[127:128], v106
	s_waitcnt vmcnt(0) lgkmcnt(0)
	v_mul_f64 v[103:104], v[103:104], v[127:128]
	s_cbranch_execz .LBB114_112
	s_branch .LBB114_113
.LBB114_111:
                                        ; implicit-def: $vgpr103_vgpr104
.LBB114_112:
	ds_load_b64 v[103:104], v106
.LBB114_113:
	s_and_saveexec_b32 s4, s1
	s_cbranch_execz .LBB114_117
; %bb.114:
	v_mov_b32_e32 v127, 0
	v_subrev_nc_u32_e32 v128, 39, v0
	s_movk_i32 s5, 0x2d8
	s_mov_b32 s1, 0
	s_delay_alu instid0(VALU_DEP_2)
	v_add_nc_u32_e32 v127, 0x138, v127
.LBB114_115:                            ; =>This Inner Loop Header: Depth=1
	scratch_load_b64 v[129:130], v127, off
	v_dual_mov_b32 v131, s5 :: v_dual_add_nc_u32 v128, -1, v128
	v_add_nc_u32_e32 v127, 8, v127
	s_add_i32 s5, s5, 8
	ds_load_b64 v[131:132], v131
	v_cmp_eq_u32_e32 vcc_lo, 0, v128
	s_or_b32 s1, vcc_lo, s1
	s_waitcnt vmcnt(0) lgkmcnt(0)
	v_fma_f64 v[103:104], v[129:130], v[131:132], v[103:104]
	s_and_not1_b32 exec_lo, exec_lo, s1
	s_cbranch_execnz .LBB114_115
; %bb.116:
	s_or_b32 exec_lo, exec_lo, s1
.LBB114_117:
	s_delay_alu instid0(SALU_CYCLE_1)
	s_or_b32 exec_lo, exec_lo, s4
	v_mov_b32_e32 v127, 0
	ds_load_b64 v[127:128], v127 offset:304
	s_waitcnt lgkmcnt(0)
	v_mul_f64 v[103:104], v[103:104], v[127:128]
	scratch_store_b64 off, v[103:104], off offset:304
.LBB114_118:
	s_or_b32 exec_lo, exec_lo, s2
	scratch_load_b64 v[103:104], off, off offset:296
	v_cmp_lt_u32_e64 s1, 37, v0
	s_waitcnt vmcnt(0)
	ds_store_b64 v106, v[103:104]
	s_waitcnt lgkmcnt(0)
	s_waitcnt_vscnt null, 0x0
	s_barrier
	buffer_gl0_inv
	s_and_saveexec_b32 s2, s1
	s_cbranch_execz .LBB114_128
; %bb.119:
	s_and_not1_b32 vcc_lo, exec_lo, s3
	s_cbranch_vccnz .LBB114_121
; %bb.120:
	scratch_load_b64 v[103:104], v107, off
	ds_load_b64 v[127:128], v106
	s_waitcnt vmcnt(0) lgkmcnt(0)
	v_mul_f64 v[103:104], v[103:104], v[127:128]
	s_cbranch_execz .LBB114_122
	s_branch .LBB114_123
.LBB114_121:
                                        ; implicit-def: $vgpr103_vgpr104
.LBB114_122:
	ds_load_b64 v[103:104], v106
.LBB114_123:
	s_and_saveexec_b32 s4, s0
	s_cbranch_execz .LBB114_127
; %bb.124:
	v_subrev_nc_u32_e32 v127, 38, v0
	s_movk_i32 s5, 0x2d0
	s_mov_b32 s0, 0
.LBB114_125:                            ; =>This Inner Loop Header: Depth=1
	scratch_load_b64 v[128:129], v126, off
	v_dual_mov_b32 v130, s5 :: v_dual_add_nc_u32 v127, -1, v127
	v_add_nc_u32_e32 v126, 8, v126
	s_add_i32 s5, s5, 8
	ds_load_b64 v[130:131], v130
	v_cmp_eq_u32_e32 vcc_lo, 0, v127
	s_or_b32 s0, vcc_lo, s0
	s_waitcnt vmcnt(0) lgkmcnt(0)
	v_fma_f64 v[103:104], v[128:129], v[130:131], v[103:104]
	s_and_not1_b32 exec_lo, exec_lo, s0
	s_cbranch_execnz .LBB114_125
; %bb.126:
	s_or_b32 exec_lo, exec_lo, s0
.LBB114_127:
	s_delay_alu instid0(SALU_CYCLE_1)
	s_or_b32 exec_lo, exec_lo, s4
	v_mov_b32_e32 v126, 0
	ds_load_b64 v[126:127], v126 offset:296
	s_waitcnt lgkmcnt(0)
	v_mul_f64 v[103:104], v[103:104], v[126:127]
	scratch_store_b64 off, v[103:104], off offset:296
.LBB114_128:
	s_or_b32 exec_lo, exec_lo, s2
	scratch_load_b64 v[103:104], off, off offset:288
	v_cmp_lt_u32_e64 s0, 36, v0
	s_waitcnt vmcnt(0)
	ds_store_b64 v106, v[103:104]
	s_waitcnt lgkmcnt(0)
	s_waitcnt_vscnt null, 0x0
	s_barrier
	buffer_gl0_inv
	s_and_saveexec_b32 s2, s0
	s_cbranch_execz .LBB114_138
; %bb.129:
	s_and_not1_b32 vcc_lo, exec_lo, s3
	s_cbranch_vccnz .LBB114_131
; %bb.130:
	scratch_load_b64 v[103:104], v107, off
	ds_load_b64 v[126:127], v106
	s_waitcnt vmcnt(0) lgkmcnt(0)
	v_mul_f64 v[103:104], v[103:104], v[126:127]
	s_cbranch_execz .LBB114_132
	s_branch .LBB114_133
.LBB114_131:
                                        ; implicit-def: $vgpr103_vgpr104
.LBB114_132:
	ds_load_b64 v[103:104], v106
.LBB114_133:
	s_and_saveexec_b32 s4, s1
	s_cbranch_execz .LBB114_137
; %bb.134:
	v_mov_b32_e32 v126, 0
	v_subrev_nc_u32_e32 v127, 37, v0
	s_movk_i32 s5, 0x2c8
	s_mov_b32 s1, 0
	s_delay_alu instid0(VALU_DEP_2)
	v_add_nc_u32_e32 v126, 0x128, v126
.LBB114_135:                            ; =>This Inner Loop Header: Depth=1
	scratch_load_b64 v[128:129], v126, off
	v_dual_mov_b32 v130, s5 :: v_dual_add_nc_u32 v127, -1, v127
	v_add_nc_u32_e32 v126, 8, v126
	s_add_i32 s5, s5, 8
	ds_load_b64 v[130:131], v130
	v_cmp_eq_u32_e32 vcc_lo, 0, v127
	s_or_b32 s1, vcc_lo, s1
	s_waitcnt vmcnt(0) lgkmcnt(0)
	v_fma_f64 v[103:104], v[128:129], v[130:131], v[103:104]
	s_and_not1_b32 exec_lo, exec_lo, s1
	s_cbranch_execnz .LBB114_135
; %bb.136:
	s_or_b32 exec_lo, exec_lo, s1
.LBB114_137:
	s_delay_alu instid0(SALU_CYCLE_1)
	s_or_b32 exec_lo, exec_lo, s4
	v_mov_b32_e32 v126, 0
	ds_load_b64 v[126:127], v126 offset:288
	s_waitcnt lgkmcnt(0)
	v_mul_f64 v[103:104], v[103:104], v[126:127]
	scratch_store_b64 off, v[103:104], off offset:288
.LBB114_138:
	s_or_b32 exec_lo, exec_lo, s2
	scratch_load_b64 v[103:104], off, off offset:280
	v_cmp_lt_u32_e64 s1, 35, v0
	s_waitcnt vmcnt(0)
	ds_store_b64 v106, v[103:104]
	s_waitcnt lgkmcnt(0)
	s_waitcnt_vscnt null, 0x0
	s_barrier
	buffer_gl0_inv
	s_and_saveexec_b32 s2, s1
	s_cbranch_execz .LBB114_148
; %bb.139:
	s_and_not1_b32 vcc_lo, exec_lo, s3
	s_cbranch_vccnz .LBB114_141
; %bb.140:
	scratch_load_b64 v[103:104], v107, off
	ds_load_b64 v[126:127], v106
	s_waitcnt vmcnt(0) lgkmcnt(0)
	v_mul_f64 v[103:104], v[103:104], v[126:127]
	s_cbranch_execz .LBB114_142
	s_branch .LBB114_143
.LBB114_141:
                                        ; implicit-def: $vgpr103_vgpr104
.LBB114_142:
	ds_load_b64 v[103:104], v106
.LBB114_143:
	s_and_saveexec_b32 s4, s0
	s_cbranch_execz .LBB114_147
; %bb.144:
	v_subrev_nc_u32_e32 v126, 36, v0
	s_movk_i32 s5, 0x2c0
	s_mov_b32 s0, 0
.LBB114_145:                            ; =>This Inner Loop Header: Depth=1
	scratch_load_b64 v[127:128], v125, off
	v_dual_mov_b32 v129, s5 :: v_dual_add_nc_u32 v126, -1, v126
	v_add_nc_u32_e32 v125, 8, v125
	s_add_i32 s5, s5, 8
	ds_load_b64 v[129:130], v129
	v_cmp_eq_u32_e32 vcc_lo, 0, v126
	s_or_b32 s0, vcc_lo, s0
	s_waitcnt vmcnt(0) lgkmcnt(0)
	v_fma_f64 v[103:104], v[127:128], v[129:130], v[103:104]
	s_and_not1_b32 exec_lo, exec_lo, s0
	s_cbranch_execnz .LBB114_145
; %bb.146:
	s_or_b32 exec_lo, exec_lo, s0
.LBB114_147:
	s_delay_alu instid0(SALU_CYCLE_1)
	s_or_b32 exec_lo, exec_lo, s4
	v_mov_b32_e32 v125, 0
	ds_load_b64 v[125:126], v125 offset:280
	s_waitcnt lgkmcnt(0)
	v_mul_f64 v[103:104], v[103:104], v[125:126]
	scratch_store_b64 off, v[103:104], off offset:280
.LBB114_148:
	s_or_b32 exec_lo, exec_lo, s2
	scratch_load_b64 v[103:104], off, off offset:272
	v_cmp_lt_u32_e64 s0, 34, v0
	s_waitcnt vmcnt(0)
	ds_store_b64 v106, v[103:104]
	s_waitcnt lgkmcnt(0)
	s_waitcnt_vscnt null, 0x0
	s_barrier
	buffer_gl0_inv
	s_and_saveexec_b32 s2, s0
	s_cbranch_execz .LBB114_158
; %bb.149:
	s_and_not1_b32 vcc_lo, exec_lo, s3
	s_cbranch_vccnz .LBB114_151
; %bb.150:
	scratch_load_b64 v[103:104], v107, off
	ds_load_b64 v[125:126], v106
	s_waitcnt vmcnt(0) lgkmcnt(0)
	v_mul_f64 v[103:104], v[103:104], v[125:126]
	s_cbranch_execz .LBB114_152
	s_branch .LBB114_153
.LBB114_151:
                                        ; implicit-def: $vgpr103_vgpr104
.LBB114_152:
	ds_load_b64 v[103:104], v106
.LBB114_153:
	s_and_saveexec_b32 s4, s1
	s_cbranch_execz .LBB114_157
; %bb.154:
	v_mov_b32_e32 v125, 0
	v_subrev_nc_u32_e32 v126, 35, v0
	s_movk_i32 s5, 0x2b8
	s_mov_b32 s1, 0
	s_delay_alu instid0(VALU_DEP_2)
	v_add_nc_u32_e32 v125, 0x118, v125
.LBB114_155:                            ; =>This Inner Loop Header: Depth=1
	scratch_load_b64 v[127:128], v125, off
	v_dual_mov_b32 v129, s5 :: v_dual_add_nc_u32 v126, -1, v126
	v_add_nc_u32_e32 v125, 8, v125
	s_add_i32 s5, s5, 8
	ds_load_b64 v[129:130], v129
	v_cmp_eq_u32_e32 vcc_lo, 0, v126
	s_or_b32 s1, vcc_lo, s1
	s_waitcnt vmcnt(0) lgkmcnt(0)
	v_fma_f64 v[103:104], v[127:128], v[129:130], v[103:104]
	s_and_not1_b32 exec_lo, exec_lo, s1
	s_cbranch_execnz .LBB114_155
; %bb.156:
	s_or_b32 exec_lo, exec_lo, s1
.LBB114_157:
	s_delay_alu instid0(SALU_CYCLE_1)
	s_or_b32 exec_lo, exec_lo, s4
	v_mov_b32_e32 v125, 0
	ds_load_b64 v[125:126], v125 offset:272
	s_waitcnt lgkmcnt(0)
	v_mul_f64 v[103:104], v[103:104], v[125:126]
	scratch_store_b64 off, v[103:104], off offset:272
.LBB114_158:
	s_or_b32 exec_lo, exec_lo, s2
	scratch_load_b64 v[103:104], off, off offset:264
	v_cmp_lt_u32_e64 s1, 33, v0
	s_waitcnt vmcnt(0)
	ds_store_b64 v106, v[103:104]
	s_waitcnt lgkmcnt(0)
	s_waitcnt_vscnt null, 0x0
	s_barrier
	buffer_gl0_inv
	s_and_saveexec_b32 s2, s1
	s_cbranch_execz .LBB114_168
; %bb.159:
	s_and_not1_b32 vcc_lo, exec_lo, s3
	s_cbranch_vccnz .LBB114_161
; %bb.160:
	scratch_load_b64 v[103:104], v107, off
	ds_load_b64 v[125:126], v106
	s_waitcnt vmcnt(0) lgkmcnt(0)
	v_mul_f64 v[103:104], v[103:104], v[125:126]
	s_cbranch_execz .LBB114_162
	s_branch .LBB114_163
.LBB114_161:
                                        ; implicit-def: $vgpr103_vgpr104
.LBB114_162:
	ds_load_b64 v[103:104], v106
.LBB114_163:
	s_and_saveexec_b32 s4, s0
	s_cbranch_execz .LBB114_167
; %bb.164:
	v_subrev_nc_u32_e32 v125, 34, v0
	s_movk_i32 s5, 0x2b0
	s_mov_b32 s0, 0
.LBB114_165:                            ; =>This Inner Loop Header: Depth=1
	scratch_load_b64 v[126:127], v124, off
	v_dual_mov_b32 v128, s5 :: v_dual_add_nc_u32 v125, -1, v125
	v_add_nc_u32_e32 v124, 8, v124
	s_add_i32 s5, s5, 8
	ds_load_b64 v[128:129], v128
	v_cmp_eq_u32_e32 vcc_lo, 0, v125
	s_or_b32 s0, vcc_lo, s0
	s_waitcnt vmcnt(0) lgkmcnt(0)
	v_fma_f64 v[103:104], v[126:127], v[128:129], v[103:104]
	s_and_not1_b32 exec_lo, exec_lo, s0
	s_cbranch_execnz .LBB114_165
; %bb.166:
	s_or_b32 exec_lo, exec_lo, s0
.LBB114_167:
	s_delay_alu instid0(SALU_CYCLE_1)
	s_or_b32 exec_lo, exec_lo, s4
	v_mov_b32_e32 v124, 0
	ds_load_b64 v[124:125], v124 offset:264
	s_waitcnt lgkmcnt(0)
	v_mul_f64 v[103:104], v[103:104], v[124:125]
	scratch_store_b64 off, v[103:104], off offset:264
.LBB114_168:
	s_or_b32 exec_lo, exec_lo, s2
	scratch_load_b64 v[103:104], off, off offset:256
	v_cmp_lt_u32_e64 s0, 32, v0
	s_waitcnt vmcnt(0)
	ds_store_b64 v106, v[103:104]
	s_waitcnt lgkmcnt(0)
	s_waitcnt_vscnt null, 0x0
	s_barrier
	buffer_gl0_inv
	s_and_saveexec_b32 s2, s0
	s_cbranch_execz .LBB114_178
; %bb.169:
	s_and_not1_b32 vcc_lo, exec_lo, s3
	s_cbranch_vccnz .LBB114_171
; %bb.170:
	scratch_load_b64 v[103:104], v107, off
	ds_load_b64 v[124:125], v106
	s_waitcnt vmcnt(0) lgkmcnt(0)
	v_mul_f64 v[103:104], v[103:104], v[124:125]
	s_cbranch_execz .LBB114_172
	s_branch .LBB114_173
.LBB114_171:
                                        ; implicit-def: $vgpr103_vgpr104
.LBB114_172:
	ds_load_b64 v[103:104], v106
.LBB114_173:
	s_and_saveexec_b32 s4, s1
	s_cbranch_execz .LBB114_177
; %bb.174:
	v_mov_b32_e32 v124, 0
	v_subrev_nc_u32_e32 v125, 33, v0
	s_movk_i32 s5, 0x2a8
	s_mov_b32 s1, 0
	s_delay_alu instid0(VALU_DEP_2)
	v_add_nc_u32_e32 v124, 0x108, v124
.LBB114_175:                            ; =>This Inner Loop Header: Depth=1
	scratch_load_b64 v[126:127], v124, off
	v_dual_mov_b32 v128, s5 :: v_dual_add_nc_u32 v125, -1, v125
	v_add_nc_u32_e32 v124, 8, v124
	s_add_i32 s5, s5, 8
	ds_load_b64 v[128:129], v128
	v_cmp_eq_u32_e32 vcc_lo, 0, v125
	s_or_b32 s1, vcc_lo, s1
	s_waitcnt vmcnt(0) lgkmcnt(0)
	v_fma_f64 v[103:104], v[126:127], v[128:129], v[103:104]
	s_and_not1_b32 exec_lo, exec_lo, s1
	s_cbranch_execnz .LBB114_175
; %bb.176:
	s_or_b32 exec_lo, exec_lo, s1
.LBB114_177:
	s_delay_alu instid0(SALU_CYCLE_1)
	s_or_b32 exec_lo, exec_lo, s4
	v_mov_b32_e32 v124, 0
	ds_load_b64 v[124:125], v124 offset:256
	s_waitcnt lgkmcnt(0)
	v_mul_f64 v[103:104], v[103:104], v[124:125]
	scratch_store_b64 off, v[103:104], off offset:256
.LBB114_178:
	s_or_b32 exec_lo, exec_lo, s2
	scratch_load_b64 v[103:104], off, off offset:248
	v_cmp_lt_u32_e64 s1, 31, v0
	s_waitcnt vmcnt(0)
	ds_store_b64 v106, v[103:104]
	s_waitcnt lgkmcnt(0)
	s_waitcnt_vscnt null, 0x0
	s_barrier
	buffer_gl0_inv
	s_and_saveexec_b32 s2, s1
	s_cbranch_execz .LBB114_188
; %bb.179:
	s_and_not1_b32 vcc_lo, exec_lo, s3
	s_cbranch_vccnz .LBB114_181
; %bb.180:
	scratch_load_b64 v[103:104], v107, off
	ds_load_b64 v[124:125], v106
	s_waitcnt vmcnt(0) lgkmcnt(0)
	v_mul_f64 v[103:104], v[103:104], v[124:125]
	s_cbranch_execz .LBB114_182
	s_branch .LBB114_183
.LBB114_181:
                                        ; implicit-def: $vgpr103_vgpr104
.LBB114_182:
	ds_load_b64 v[103:104], v106
.LBB114_183:
	s_and_saveexec_b32 s4, s0
	s_cbranch_execz .LBB114_187
; %bb.184:
	v_subrev_nc_u32_e32 v124, 32, v0
	s_movk_i32 s5, 0x2a0
	s_mov_b32 s0, 0
.LBB114_185:                            ; =>This Inner Loop Header: Depth=1
	scratch_load_b64 v[125:126], v123, off
	v_dual_mov_b32 v127, s5 :: v_dual_add_nc_u32 v124, -1, v124
	v_add_nc_u32_e32 v123, 8, v123
	s_add_i32 s5, s5, 8
	ds_load_b64 v[127:128], v127
	v_cmp_eq_u32_e32 vcc_lo, 0, v124
	s_or_b32 s0, vcc_lo, s0
	s_waitcnt vmcnt(0) lgkmcnt(0)
	v_fma_f64 v[103:104], v[125:126], v[127:128], v[103:104]
	s_and_not1_b32 exec_lo, exec_lo, s0
	s_cbranch_execnz .LBB114_185
; %bb.186:
	s_or_b32 exec_lo, exec_lo, s0
.LBB114_187:
	s_delay_alu instid0(SALU_CYCLE_1)
	s_or_b32 exec_lo, exec_lo, s4
	v_mov_b32_e32 v123, 0
	ds_load_b64 v[123:124], v123 offset:248
	s_waitcnt lgkmcnt(0)
	v_mul_f64 v[103:104], v[103:104], v[123:124]
	scratch_store_b64 off, v[103:104], off offset:248
.LBB114_188:
	s_or_b32 exec_lo, exec_lo, s2
	scratch_load_b64 v[103:104], off, off offset:240
	v_cmp_lt_u32_e64 s0, 30, v0
	s_waitcnt vmcnt(0)
	ds_store_b64 v106, v[103:104]
	s_waitcnt lgkmcnt(0)
	s_waitcnt_vscnt null, 0x0
	s_barrier
	buffer_gl0_inv
	s_and_saveexec_b32 s2, s0
	s_cbranch_execz .LBB114_198
; %bb.189:
	s_and_not1_b32 vcc_lo, exec_lo, s3
	s_cbranch_vccnz .LBB114_191
; %bb.190:
	scratch_load_b64 v[103:104], v107, off
	ds_load_b64 v[123:124], v106
	s_waitcnt vmcnt(0) lgkmcnt(0)
	v_mul_f64 v[103:104], v[103:104], v[123:124]
	s_cbranch_execz .LBB114_192
	s_branch .LBB114_193
.LBB114_191:
                                        ; implicit-def: $vgpr103_vgpr104
.LBB114_192:
	ds_load_b64 v[103:104], v106
.LBB114_193:
	s_and_saveexec_b32 s4, s1
	s_cbranch_execz .LBB114_197
; %bb.194:
	v_mov_b32_e32 v123, 0
	v_subrev_nc_u32_e32 v124, 31, v0
	s_movk_i32 s5, 0x298
	s_mov_b32 s1, 0
	s_delay_alu instid0(VALU_DEP_2)
	v_add_nc_u32_e32 v123, 0xf8, v123
.LBB114_195:                            ; =>This Inner Loop Header: Depth=1
	scratch_load_b64 v[125:126], v123, off
	v_dual_mov_b32 v127, s5 :: v_dual_add_nc_u32 v124, -1, v124
	v_add_nc_u32_e32 v123, 8, v123
	s_add_i32 s5, s5, 8
	ds_load_b64 v[127:128], v127
	v_cmp_eq_u32_e32 vcc_lo, 0, v124
	s_or_b32 s1, vcc_lo, s1
	s_waitcnt vmcnt(0) lgkmcnt(0)
	v_fma_f64 v[103:104], v[125:126], v[127:128], v[103:104]
	s_and_not1_b32 exec_lo, exec_lo, s1
	s_cbranch_execnz .LBB114_195
; %bb.196:
	s_or_b32 exec_lo, exec_lo, s1
.LBB114_197:
	s_delay_alu instid0(SALU_CYCLE_1)
	s_or_b32 exec_lo, exec_lo, s4
	v_mov_b32_e32 v123, 0
	ds_load_b64 v[123:124], v123 offset:240
	s_waitcnt lgkmcnt(0)
	v_mul_f64 v[103:104], v[103:104], v[123:124]
	scratch_store_b64 off, v[103:104], off offset:240
.LBB114_198:
	s_or_b32 exec_lo, exec_lo, s2
	scratch_load_b64 v[103:104], off, off offset:232
	v_cmp_lt_u32_e64 s1, 29, v0
	s_waitcnt vmcnt(0)
	ds_store_b64 v106, v[103:104]
	s_waitcnt lgkmcnt(0)
	s_waitcnt_vscnt null, 0x0
	s_barrier
	buffer_gl0_inv
	s_and_saveexec_b32 s2, s1
	s_cbranch_execz .LBB114_208
; %bb.199:
	s_and_not1_b32 vcc_lo, exec_lo, s3
	s_cbranch_vccnz .LBB114_201
; %bb.200:
	scratch_load_b64 v[103:104], v107, off
	ds_load_b64 v[123:124], v106
	s_waitcnt vmcnt(0) lgkmcnt(0)
	v_mul_f64 v[103:104], v[103:104], v[123:124]
	s_cbranch_execz .LBB114_202
	s_branch .LBB114_203
.LBB114_201:
                                        ; implicit-def: $vgpr103_vgpr104
.LBB114_202:
	ds_load_b64 v[103:104], v106
.LBB114_203:
	s_and_saveexec_b32 s4, s0
	s_cbranch_execz .LBB114_207
; %bb.204:
	v_subrev_nc_u32_e32 v123, 30, v0
	s_movk_i32 s5, 0x290
	s_mov_b32 s0, 0
.LBB114_205:                            ; =>This Inner Loop Header: Depth=1
	scratch_load_b64 v[124:125], v122, off
	v_dual_mov_b32 v126, s5 :: v_dual_add_nc_u32 v123, -1, v123
	v_add_nc_u32_e32 v122, 8, v122
	s_add_i32 s5, s5, 8
	ds_load_b64 v[126:127], v126
	v_cmp_eq_u32_e32 vcc_lo, 0, v123
	s_or_b32 s0, vcc_lo, s0
	s_waitcnt vmcnt(0) lgkmcnt(0)
	v_fma_f64 v[103:104], v[124:125], v[126:127], v[103:104]
	s_and_not1_b32 exec_lo, exec_lo, s0
	s_cbranch_execnz .LBB114_205
; %bb.206:
	s_or_b32 exec_lo, exec_lo, s0
.LBB114_207:
	s_delay_alu instid0(SALU_CYCLE_1)
	s_or_b32 exec_lo, exec_lo, s4
	v_mov_b32_e32 v122, 0
	ds_load_b64 v[122:123], v122 offset:232
	s_waitcnt lgkmcnt(0)
	v_mul_f64 v[103:104], v[103:104], v[122:123]
	scratch_store_b64 off, v[103:104], off offset:232
.LBB114_208:
	s_or_b32 exec_lo, exec_lo, s2
	scratch_load_b64 v[103:104], off, off offset:224
	v_cmp_lt_u32_e64 s0, 28, v0
	s_waitcnt vmcnt(0)
	ds_store_b64 v106, v[103:104]
	s_waitcnt lgkmcnt(0)
	s_waitcnt_vscnt null, 0x0
	s_barrier
	buffer_gl0_inv
	s_and_saveexec_b32 s2, s0
	s_cbranch_execz .LBB114_218
; %bb.209:
	s_and_not1_b32 vcc_lo, exec_lo, s3
	s_cbranch_vccnz .LBB114_211
; %bb.210:
	scratch_load_b64 v[103:104], v107, off
	ds_load_b64 v[122:123], v106
	s_waitcnt vmcnt(0) lgkmcnt(0)
	v_mul_f64 v[103:104], v[103:104], v[122:123]
	s_cbranch_execz .LBB114_212
	s_branch .LBB114_213
.LBB114_211:
                                        ; implicit-def: $vgpr103_vgpr104
.LBB114_212:
	ds_load_b64 v[103:104], v106
.LBB114_213:
	s_and_saveexec_b32 s4, s1
	s_cbranch_execz .LBB114_217
; %bb.214:
	v_mov_b32_e32 v122, 0
	v_subrev_nc_u32_e32 v123, 29, v0
	s_movk_i32 s5, 0x288
	s_mov_b32 s1, 0
	s_delay_alu instid0(VALU_DEP_2)
	v_add_nc_u32_e32 v122, 0xe8, v122
.LBB114_215:                            ; =>This Inner Loop Header: Depth=1
	scratch_load_b64 v[124:125], v122, off
	v_dual_mov_b32 v126, s5 :: v_dual_add_nc_u32 v123, -1, v123
	v_add_nc_u32_e32 v122, 8, v122
	s_add_i32 s5, s5, 8
	ds_load_b64 v[126:127], v126
	v_cmp_eq_u32_e32 vcc_lo, 0, v123
	s_or_b32 s1, vcc_lo, s1
	s_waitcnt vmcnt(0) lgkmcnt(0)
	v_fma_f64 v[103:104], v[124:125], v[126:127], v[103:104]
	s_and_not1_b32 exec_lo, exec_lo, s1
	s_cbranch_execnz .LBB114_215
; %bb.216:
	s_or_b32 exec_lo, exec_lo, s1
.LBB114_217:
	s_delay_alu instid0(SALU_CYCLE_1)
	s_or_b32 exec_lo, exec_lo, s4
	v_mov_b32_e32 v122, 0
	ds_load_b64 v[122:123], v122 offset:224
	s_waitcnt lgkmcnt(0)
	v_mul_f64 v[103:104], v[103:104], v[122:123]
	scratch_store_b64 off, v[103:104], off offset:224
.LBB114_218:
	s_or_b32 exec_lo, exec_lo, s2
	scratch_load_b64 v[103:104], off, off offset:216
	v_cmp_lt_u32_e64 s1, 27, v0
	s_waitcnt vmcnt(0)
	ds_store_b64 v106, v[103:104]
	s_waitcnt lgkmcnt(0)
	s_waitcnt_vscnt null, 0x0
	s_barrier
	buffer_gl0_inv
	s_and_saveexec_b32 s2, s1
	s_cbranch_execz .LBB114_228
; %bb.219:
	s_and_not1_b32 vcc_lo, exec_lo, s3
	s_cbranch_vccnz .LBB114_221
; %bb.220:
	scratch_load_b64 v[103:104], v107, off
	ds_load_b64 v[122:123], v106
	s_waitcnt vmcnt(0) lgkmcnt(0)
	v_mul_f64 v[103:104], v[103:104], v[122:123]
	s_cbranch_execz .LBB114_222
	s_branch .LBB114_223
.LBB114_221:
                                        ; implicit-def: $vgpr103_vgpr104
.LBB114_222:
	ds_load_b64 v[103:104], v106
.LBB114_223:
	s_and_saveexec_b32 s4, s0
	s_cbranch_execz .LBB114_227
; %bb.224:
	v_subrev_nc_u32_e32 v122, 28, v0
	s_movk_i32 s5, 0x280
	s_mov_b32 s0, 0
.LBB114_225:                            ; =>This Inner Loop Header: Depth=1
	scratch_load_b64 v[123:124], v121, off
	v_dual_mov_b32 v125, s5 :: v_dual_add_nc_u32 v122, -1, v122
	v_add_nc_u32_e32 v121, 8, v121
	s_add_i32 s5, s5, 8
	ds_load_b64 v[125:126], v125
	v_cmp_eq_u32_e32 vcc_lo, 0, v122
	s_or_b32 s0, vcc_lo, s0
	s_waitcnt vmcnt(0) lgkmcnt(0)
	v_fma_f64 v[103:104], v[123:124], v[125:126], v[103:104]
	s_and_not1_b32 exec_lo, exec_lo, s0
	s_cbranch_execnz .LBB114_225
; %bb.226:
	s_or_b32 exec_lo, exec_lo, s0
.LBB114_227:
	s_delay_alu instid0(SALU_CYCLE_1)
	s_or_b32 exec_lo, exec_lo, s4
	v_mov_b32_e32 v121, 0
	ds_load_b64 v[121:122], v121 offset:216
	s_waitcnt lgkmcnt(0)
	v_mul_f64 v[103:104], v[103:104], v[121:122]
	scratch_store_b64 off, v[103:104], off offset:216
.LBB114_228:
	s_or_b32 exec_lo, exec_lo, s2
	scratch_load_b64 v[103:104], off, off offset:208
	v_cmp_lt_u32_e64 s0, 26, v0
	s_waitcnt vmcnt(0)
	ds_store_b64 v106, v[103:104]
	s_waitcnt lgkmcnt(0)
	s_waitcnt_vscnt null, 0x0
	s_barrier
	buffer_gl0_inv
	s_and_saveexec_b32 s2, s0
	s_cbranch_execz .LBB114_238
; %bb.229:
	s_and_not1_b32 vcc_lo, exec_lo, s3
	s_cbranch_vccnz .LBB114_231
; %bb.230:
	scratch_load_b64 v[103:104], v107, off
	ds_load_b64 v[121:122], v106
	s_waitcnt vmcnt(0) lgkmcnt(0)
	v_mul_f64 v[103:104], v[103:104], v[121:122]
	s_cbranch_execz .LBB114_232
	s_branch .LBB114_233
.LBB114_231:
                                        ; implicit-def: $vgpr103_vgpr104
.LBB114_232:
	ds_load_b64 v[103:104], v106
.LBB114_233:
	s_and_saveexec_b32 s4, s1
	s_cbranch_execz .LBB114_237
; %bb.234:
	v_mov_b32_e32 v121, 0
	v_subrev_nc_u32_e32 v122, 27, v0
	s_movk_i32 s5, 0x278
	s_mov_b32 s1, 0
	s_delay_alu instid0(VALU_DEP_2)
	v_add_nc_u32_e32 v121, 0xd8, v121
.LBB114_235:                            ; =>This Inner Loop Header: Depth=1
	scratch_load_b64 v[123:124], v121, off
	v_dual_mov_b32 v125, s5 :: v_dual_add_nc_u32 v122, -1, v122
	v_add_nc_u32_e32 v121, 8, v121
	s_add_i32 s5, s5, 8
	ds_load_b64 v[125:126], v125
	v_cmp_eq_u32_e32 vcc_lo, 0, v122
	s_or_b32 s1, vcc_lo, s1
	s_waitcnt vmcnt(0) lgkmcnt(0)
	v_fma_f64 v[103:104], v[123:124], v[125:126], v[103:104]
	s_and_not1_b32 exec_lo, exec_lo, s1
	s_cbranch_execnz .LBB114_235
; %bb.236:
	s_or_b32 exec_lo, exec_lo, s1
.LBB114_237:
	s_delay_alu instid0(SALU_CYCLE_1)
	s_or_b32 exec_lo, exec_lo, s4
	v_mov_b32_e32 v121, 0
	ds_load_b64 v[121:122], v121 offset:208
	s_waitcnt lgkmcnt(0)
	v_mul_f64 v[103:104], v[103:104], v[121:122]
	scratch_store_b64 off, v[103:104], off offset:208
.LBB114_238:
	s_or_b32 exec_lo, exec_lo, s2
	scratch_load_b64 v[103:104], off, off offset:200
	v_cmp_lt_u32_e64 s1, 25, v0
	s_waitcnt vmcnt(0)
	ds_store_b64 v106, v[103:104]
	s_waitcnt lgkmcnt(0)
	s_waitcnt_vscnt null, 0x0
	s_barrier
	buffer_gl0_inv
	s_and_saveexec_b32 s2, s1
	s_cbranch_execz .LBB114_248
; %bb.239:
	s_and_not1_b32 vcc_lo, exec_lo, s3
	s_cbranch_vccnz .LBB114_241
; %bb.240:
	scratch_load_b64 v[103:104], v107, off
	ds_load_b64 v[121:122], v106
	s_waitcnt vmcnt(0) lgkmcnt(0)
	v_mul_f64 v[103:104], v[103:104], v[121:122]
	s_cbranch_execz .LBB114_242
	s_branch .LBB114_243
.LBB114_241:
                                        ; implicit-def: $vgpr103_vgpr104
.LBB114_242:
	ds_load_b64 v[103:104], v106
.LBB114_243:
	s_and_saveexec_b32 s4, s0
	s_cbranch_execz .LBB114_247
; %bb.244:
	v_subrev_nc_u32_e32 v121, 26, v0
	s_movk_i32 s5, 0x270
	s_mov_b32 s0, 0
.LBB114_245:                            ; =>This Inner Loop Header: Depth=1
	scratch_load_b64 v[122:123], v120, off
	v_dual_mov_b32 v124, s5 :: v_dual_add_nc_u32 v121, -1, v121
	v_add_nc_u32_e32 v120, 8, v120
	s_add_i32 s5, s5, 8
	ds_load_b64 v[124:125], v124
	v_cmp_eq_u32_e32 vcc_lo, 0, v121
	s_or_b32 s0, vcc_lo, s0
	s_waitcnt vmcnt(0) lgkmcnt(0)
	v_fma_f64 v[103:104], v[122:123], v[124:125], v[103:104]
	s_and_not1_b32 exec_lo, exec_lo, s0
	s_cbranch_execnz .LBB114_245
; %bb.246:
	s_or_b32 exec_lo, exec_lo, s0
.LBB114_247:
	s_delay_alu instid0(SALU_CYCLE_1)
	s_or_b32 exec_lo, exec_lo, s4
	v_mov_b32_e32 v120, 0
	ds_load_b64 v[120:121], v120 offset:200
	s_waitcnt lgkmcnt(0)
	v_mul_f64 v[103:104], v[103:104], v[120:121]
	scratch_store_b64 off, v[103:104], off offset:200
.LBB114_248:
	s_or_b32 exec_lo, exec_lo, s2
	scratch_load_b64 v[103:104], off, off offset:192
	v_cmp_lt_u32_e64 s0, 24, v0
	s_waitcnt vmcnt(0)
	ds_store_b64 v106, v[103:104]
	s_waitcnt lgkmcnt(0)
	s_waitcnt_vscnt null, 0x0
	s_barrier
	buffer_gl0_inv
	s_and_saveexec_b32 s2, s0
	s_cbranch_execz .LBB114_258
; %bb.249:
	s_and_not1_b32 vcc_lo, exec_lo, s3
	s_cbranch_vccnz .LBB114_251
; %bb.250:
	scratch_load_b64 v[103:104], v107, off
	ds_load_b64 v[120:121], v106
	s_waitcnt vmcnt(0) lgkmcnt(0)
	v_mul_f64 v[103:104], v[103:104], v[120:121]
	s_cbranch_execz .LBB114_252
	s_branch .LBB114_253
.LBB114_251:
                                        ; implicit-def: $vgpr103_vgpr104
.LBB114_252:
	ds_load_b64 v[103:104], v106
.LBB114_253:
	s_and_saveexec_b32 s4, s1
	s_cbranch_execz .LBB114_257
; %bb.254:
	v_mov_b32_e32 v120, 0
	v_subrev_nc_u32_e32 v121, 25, v0
	s_movk_i32 s5, 0x268
	s_mov_b32 s1, 0
	s_delay_alu instid0(VALU_DEP_2)
	v_add_nc_u32_e32 v120, 0xc8, v120
.LBB114_255:                            ; =>This Inner Loop Header: Depth=1
	scratch_load_b64 v[122:123], v120, off
	v_dual_mov_b32 v124, s5 :: v_dual_add_nc_u32 v121, -1, v121
	v_add_nc_u32_e32 v120, 8, v120
	s_add_i32 s5, s5, 8
	ds_load_b64 v[124:125], v124
	v_cmp_eq_u32_e32 vcc_lo, 0, v121
	s_or_b32 s1, vcc_lo, s1
	s_waitcnt vmcnt(0) lgkmcnt(0)
	v_fma_f64 v[103:104], v[122:123], v[124:125], v[103:104]
	s_and_not1_b32 exec_lo, exec_lo, s1
	s_cbranch_execnz .LBB114_255
; %bb.256:
	s_or_b32 exec_lo, exec_lo, s1
.LBB114_257:
	s_delay_alu instid0(SALU_CYCLE_1)
	s_or_b32 exec_lo, exec_lo, s4
	v_mov_b32_e32 v120, 0
	ds_load_b64 v[120:121], v120 offset:192
	s_waitcnt lgkmcnt(0)
	v_mul_f64 v[103:104], v[103:104], v[120:121]
	scratch_store_b64 off, v[103:104], off offset:192
.LBB114_258:
	s_or_b32 exec_lo, exec_lo, s2
	scratch_load_b64 v[103:104], off, off offset:184
	v_cmp_lt_u32_e64 s1, 23, v0
	s_waitcnt vmcnt(0)
	ds_store_b64 v106, v[103:104]
	s_waitcnt lgkmcnt(0)
	s_waitcnt_vscnt null, 0x0
	s_barrier
	buffer_gl0_inv
	s_and_saveexec_b32 s2, s1
	s_cbranch_execz .LBB114_268
; %bb.259:
	s_and_not1_b32 vcc_lo, exec_lo, s3
	s_cbranch_vccnz .LBB114_261
; %bb.260:
	scratch_load_b64 v[103:104], v107, off
	ds_load_b64 v[120:121], v106
	s_waitcnt vmcnt(0) lgkmcnt(0)
	v_mul_f64 v[103:104], v[103:104], v[120:121]
	s_cbranch_execz .LBB114_262
	s_branch .LBB114_263
.LBB114_261:
                                        ; implicit-def: $vgpr103_vgpr104
.LBB114_262:
	ds_load_b64 v[103:104], v106
.LBB114_263:
	s_and_saveexec_b32 s4, s0
	s_cbranch_execz .LBB114_267
; %bb.264:
	v_subrev_nc_u32_e32 v120, 24, v0
	s_movk_i32 s5, 0x260
	s_mov_b32 s0, 0
.LBB114_265:                            ; =>This Inner Loop Header: Depth=1
	scratch_load_b64 v[121:122], v119, off
	v_dual_mov_b32 v123, s5 :: v_dual_add_nc_u32 v120, -1, v120
	v_add_nc_u32_e32 v119, 8, v119
	s_add_i32 s5, s5, 8
	ds_load_b64 v[123:124], v123
	v_cmp_eq_u32_e32 vcc_lo, 0, v120
	s_or_b32 s0, vcc_lo, s0
	s_waitcnt vmcnt(0) lgkmcnt(0)
	v_fma_f64 v[103:104], v[121:122], v[123:124], v[103:104]
	s_and_not1_b32 exec_lo, exec_lo, s0
	s_cbranch_execnz .LBB114_265
; %bb.266:
	s_or_b32 exec_lo, exec_lo, s0
.LBB114_267:
	s_delay_alu instid0(SALU_CYCLE_1)
	s_or_b32 exec_lo, exec_lo, s4
	v_mov_b32_e32 v119, 0
	ds_load_b64 v[119:120], v119 offset:184
	s_waitcnt lgkmcnt(0)
	v_mul_f64 v[103:104], v[103:104], v[119:120]
	scratch_store_b64 off, v[103:104], off offset:184
.LBB114_268:
	s_or_b32 exec_lo, exec_lo, s2
	scratch_load_b64 v[103:104], off, off offset:176
	v_cmp_lt_u32_e64 s0, 22, v0
	s_waitcnt vmcnt(0)
	ds_store_b64 v106, v[103:104]
	s_waitcnt lgkmcnt(0)
	s_waitcnt_vscnt null, 0x0
	s_barrier
	buffer_gl0_inv
	s_and_saveexec_b32 s2, s0
	s_cbranch_execz .LBB114_278
; %bb.269:
	s_and_not1_b32 vcc_lo, exec_lo, s3
	s_cbranch_vccnz .LBB114_271
; %bb.270:
	scratch_load_b64 v[103:104], v107, off
	ds_load_b64 v[119:120], v106
	s_waitcnt vmcnt(0) lgkmcnt(0)
	v_mul_f64 v[103:104], v[103:104], v[119:120]
	s_cbranch_execz .LBB114_272
	s_branch .LBB114_273
.LBB114_271:
                                        ; implicit-def: $vgpr103_vgpr104
.LBB114_272:
	ds_load_b64 v[103:104], v106
.LBB114_273:
	s_and_saveexec_b32 s4, s1
	s_cbranch_execz .LBB114_277
; %bb.274:
	v_mov_b32_e32 v119, 0
	v_subrev_nc_u32_e32 v120, 23, v0
	s_movk_i32 s5, 0x258
	s_mov_b32 s1, 0
	s_delay_alu instid0(VALU_DEP_2)
	v_add_nc_u32_e32 v119, 0xb8, v119
.LBB114_275:                            ; =>This Inner Loop Header: Depth=1
	scratch_load_b64 v[121:122], v119, off
	v_dual_mov_b32 v123, s5 :: v_dual_add_nc_u32 v120, -1, v120
	v_add_nc_u32_e32 v119, 8, v119
	s_add_i32 s5, s5, 8
	ds_load_b64 v[123:124], v123
	v_cmp_eq_u32_e32 vcc_lo, 0, v120
	s_or_b32 s1, vcc_lo, s1
	s_waitcnt vmcnt(0) lgkmcnt(0)
	v_fma_f64 v[103:104], v[121:122], v[123:124], v[103:104]
	s_and_not1_b32 exec_lo, exec_lo, s1
	s_cbranch_execnz .LBB114_275
; %bb.276:
	s_or_b32 exec_lo, exec_lo, s1
.LBB114_277:
	s_delay_alu instid0(SALU_CYCLE_1)
	s_or_b32 exec_lo, exec_lo, s4
	v_mov_b32_e32 v119, 0
	ds_load_b64 v[119:120], v119 offset:176
	s_waitcnt lgkmcnt(0)
	v_mul_f64 v[103:104], v[103:104], v[119:120]
	scratch_store_b64 off, v[103:104], off offset:176
.LBB114_278:
	s_or_b32 exec_lo, exec_lo, s2
	scratch_load_b64 v[103:104], off, off offset:168
	v_cmp_lt_u32_e64 s1, 21, v0
	s_waitcnt vmcnt(0)
	ds_store_b64 v106, v[103:104]
	s_waitcnt lgkmcnt(0)
	s_waitcnt_vscnt null, 0x0
	s_barrier
	buffer_gl0_inv
	s_and_saveexec_b32 s2, s1
	s_cbranch_execz .LBB114_288
; %bb.279:
	s_and_not1_b32 vcc_lo, exec_lo, s3
	s_cbranch_vccnz .LBB114_281
; %bb.280:
	scratch_load_b64 v[103:104], v107, off
	ds_load_b64 v[119:120], v106
	s_waitcnt vmcnt(0) lgkmcnt(0)
	v_mul_f64 v[103:104], v[103:104], v[119:120]
	s_cbranch_execz .LBB114_282
	s_branch .LBB114_283
.LBB114_281:
                                        ; implicit-def: $vgpr103_vgpr104
.LBB114_282:
	ds_load_b64 v[103:104], v106
.LBB114_283:
	s_and_saveexec_b32 s4, s0
	s_cbranch_execz .LBB114_287
; %bb.284:
	v_subrev_nc_u32_e32 v119, 22, v0
	s_movk_i32 s5, 0x250
	s_mov_b32 s0, 0
.LBB114_285:                            ; =>This Inner Loop Header: Depth=1
	scratch_load_b64 v[120:121], v118, off
	v_dual_mov_b32 v122, s5 :: v_dual_add_nc_u32 v119, -1, v119
	v_add_nc_u32_e32 v118, 8, v118
	s_add_i32 s5, s5, 8
	ds_load_b64 v[122:123], v122
	v_cmp_eq_u32_e32 vcc_lo, 0, v119
	s_or_b32 s0, vcc_lo, s0
	s_waitcnt vmcnt(0) lgkmcnt(0)
	v_fma_f64 v[103:104], v[120:121], v[122:123], v[103:104]
	s_and_not1_b32 exec_lo, exec_lo, s0
	s_cbranch_execnz .LBB114_285
; %bb.286:
	s_or_b32 exec_lo, exec_lo, s0
.LBB114_287:
	s_delay_alu instid0(SALU_CYCLE_1)
	s_or_b32 exec_lo, exec_lo, s4
	v_mov_b32_e32 v118, 0
	ds_load_b64 v[118:119], v118 offset:168
	s_waitcnt lgkmcnt(0)
	v_mul_f64 v[103:104], v[103:104], v[118:119]
	scratch_store_b64 off, v[103:104], off offset:168
.LBB114_288:
	s_or_b32 exec_lo, exec_lo, s2
	scratch_load_b64 v[103:104], off, off offset:160
	v_cmp_lt_u32_e64 s0, 20, v0
	s_waitcnt vmcnt(0)
	ds_store_b64 v106, v[103:104]
	s_waitcnt lgkmcnt(0)
	s_waitcnt_vscnt null, 0x0
	s_barrier
	buffer_gl0_inv
	s_and_saveexec_b32 s2, s0
	s_cbranch_execz .LBB114_298
; %bb.289:
	s_and_not1_b32 vcc_lo, exec_lo, s3
	s_cbranch_vccnz .LBB114_291
; %bb.290:
	scratch_load_b64 v[103:104], v107, off
	ds_load_b64 v[118:119], v106
	s_waitcnt vmcnt(0) lgkmcnt(0)
	v_mul_f64 v[103:104], v[103:104], v[118:119]
	s_cbranch_execz .LBB114_292
	s_branch .LBB114_293
.LBB114_291:
                                        ; implicit-def: $vgpr103_vgpr104
.LBB114_292:
	ds_load_b64 v[103:104], v106
.LBB114_293:
	s_and_saveexec_b32 s4, s1
	s_cbranch_execz .LBB114_297
; %bb.294:
	v_mov_b32_e32 v118, 0
	v_subrev_nc_u32_e32 v119, 21, v0
	s_movk_i32 s5, 0x248
	s_mov_b32 s1, 0
	s_delay_alu instid0(VALU_DEP_2)
	v_add_nc_u32_e32 v118, 0xa8, v118
.LBB114_295:                            ; =>This Inner Loop Header: Depth=1
	scratch_load_b64 v[120:121], v118, off
	v_dual_mov_b32 v122, s5 :: v_dual_add_nc_u32 v119, -1, v119
	v_add_nc_u32_e32 v118, 8, v118
	s_add_i32 s5, s5, 8
	ds_load_b64 v[122:123], v122
	v_cmp_eq_u32_e32 vcc_lo, 0, v119
	s_or_b32 s1, vcc_lo, s1
	s_waitcnt vmcnt(0) lgkmcnt(0)
	v_fma_f64 v[103:104], v[120:121], v[122:123], v[103:104]
	s_and_not1_b32 exec_lo, exec_lo, s1
	s_cbranch_execnz .LBB114_295
; %bb.296:
	s_or_b32 exec_lo, exec_lo, s1
.LBB114_297:
	s_delay_alu instid0(SALU_CYCLE_1)
	s_or_b32 exec_lo, exec_lo, s4
	v_mov_b32_e32 v118, 0
	ds_load_b64 v[118:119], v118 offset:160
	s_waitcnt lgkmcnt(0)
	v_mul_f64 v[103:104], v[103:104], v[118:119]
	scratch_store_b64 off, v[103:104], off offset:160
.LBB114_298:
	s_or_b32 exec_lo, exec_lo, s2
	scratch_load_b64 v[103:104], off, off offset:152
	v_cmp_lt_u32_e64 s1, 19, v0
	s_waitcnt vmcnt(0)
	ds_store_b64 v106, v[103:104]
	s_waitcnt lgkmcnt(0)
	s_waitcnt_vscnt null, 0x0
	s_barrier
	buffer_gl0_inv
	s_and_saveexec_b32 s2, s1
	s_cbranch_execz .LBB114_308
; %bb.299:
	s_and_not1_b32 vcc_lo, exec_lo, s3
	s_cbranch_vccnz .LBB114_301
; %bb.300:
	scratch_load_b64 v[103:104], v107, off
	ds_load_b64 v[118:119], v106
	s_waitcnt vmcnt(0) lgkmcnt(0)
	v_mul_f64 v[103:104], v[103:104], v[118:119]
	s_cbranch_execz .LBB114_302
	s_branch .LBB114_303
.LBB114_301:
                                        ; implicit-def: $vgpr103_vgpr104
.LBB114_302:
	ds_load_b64 v[103:104], v106
.LBB114_303:
	s_and_saveexec_b32 s4, s0
	s_cbranch_execz .LBB114_307
; %bb.304:
	v_subrev_nc_u32_e32 v118, 20, v0
	s_movk_i32 s5, 0x240
	s_mov_b32 s0, 0
.LBB114_305:                            ; =>This Inner Loop Header: Depth=1
	scratch_load_b64 v[119:120], v117, off
	v_dual_mov_b32 v121, s5 :: v_dual_add_nc_u32 v118, -1, v118
	v_add_nc_u32_e32 v117, 8, v117
	s_add_i32 s5, s5, 8
	ds_load_b64 v[121:122], v121
	v_cmp_eq_u32_e32 vcc_lo, 0, v118
	s_or_b32 s0, vcc_lo, s0
	s_waitcnt vmcnt(0) lgkmcnt(0)
	v_fma_f64 v[103:104], v[119:120], v[121:122], v[103:104]
	s_and_not1_b32 exec_lo, exec_lo, s0
	s_cbranch_execnz .LBB114_305
; %bb.306:
	s_or_b32 exec_lo, exec_lo, s0
.LBB114_307:
	s_delay_alu instid0(SALU_CYCLE_1)
	s_or_b32 exec_lo, exec_lo, s4
	v_mov_b32_e32 v117, 0
	ds_load_b64 v[117:118], v117 offset:152
	s_waitcnt lgkmcnt(0)
	v_mul_f64 v[103:104], v[103:104], v[117:118]
	scratch_store_b64 off, v[103:104], off offset:152
.LBB114_308:
	s_or_b32 exec_lo, exec_lo, s2
	scratch_load_b64 v[103:104], off, off offset:144
	v_cmp_lt_u32_e64 s0, 18, v0
	s_waitcnt vmcnt(0)
	ds_store_b64 v106, v[103:104]
	s_waitcnt lgkmcnt(0)
	s_waitcnt_vscnt null, 0x0
	s_barrier
	buffer_gl0_inv
	s_and_saveexec_b32 s2, s0
	s_cbranch_execz .LBB114_318
; %bb.309:
	s_and_not1_b32 vcc_lo, exec_lo, s3
	s_cbranch_vccnz .LBB114_311
; %bb.310:
	scratch_load_b64 v[103:104], v107, off
	ds_load_b64 v[117:118], v106
	s_waitcnt vmcnt(0) lgkmcnt(0)
	v_mul_f64 v[103:104], v[103:104], v[117:118]
	s_cbranch_execz .LBB114_312
	s_branch .LBB114_313
.LBB114_311:
                                        ; implicit-def: $vgpr103_vgpr104
.LBB114_312:
	ds_load_b64 v[103:104], v106
.LBB114_313:
	s_and_saveexec_b32 s4, s1
	s_cbranch_execz .LBB114_317
; %bb.314:
	v_mov_b32_e32 v117, 0
	v_subrev_nc_u32_e32 v118, 19, v0
	s_movk_i32 s5, 0x238
	s_mov_b32 s1, 0
	s_delay_alu instid0(VALU_DEP_2)
	v_add_nc_u32_e32 v117, 0x98, v117
.LBB114_315:                            ; =>This Inner Loop Header: Depth=1
	scratch_load_b64 v[119:120], v117, off
	v_dual_mov_b32 v121, s5 :: v_dual_add_nc_u32 v118, -1, v118
	v_add_nc_u32_e32 v117, 8, v117
	s_add_i32 s5, s5, 8
	ds_load_b64 v[121:122], v121
	v_cmp_eq_u32_e32 vcc_lo, 0, v118
	s_or_b32 s1, vcc_lo, s1
	s_waitcnt vmcnt(0) lgkmcnt(0)
	v_fma_f64 v[103:104], v[119:120], v[121:122], v[103:104]
	s_and_not1_b32 exec_lo, exec_lo, s1
	s_cbranch_execnz .LBB114_315
; %bb.316:
	s_or_b32 exec_lo, exec_lo, s1
.LBB114_317:
	s_delay_alu instid0(SALU_CYCLE_1)
	s_or_b32 exec_lo, exec_lo, s4
	v_mov_b32_e32 v117, 0
	ds_load_b64 v[117:118], v117 offset:144
	s_waitcnt lgkmcnt(0)
	v_mul_f64 v[103:104], v[103:104], v[117:118]
	scratch_store_b64 off, v[103:104], off offset:144
.LBB114_318:
	s_or_b32 exec_lo, exec_lo, s2
	scratch_load_b64 v[103:104], off, off offset:136
	v_cmp_lt_u32_e64 s1, 17, v0
	s_waitcnt vmcnt(0)
	ds_store_b64 v106, v[103:104]
	s_waitcnt lgkmcnt(0)
	s_waitcnt_vscnt null, 0x0
	s_barrier
	buffer_gl0_inv
	s_and_saveexec_b32 s2, s1
	s_cbranch_execz .LBB114_328
; %bb.319:
	s_and_not1_b32 vcc_lo, exec_lo, s3
	s_cbranch_vccnz .LBB114_321
; %bb.320:
	scratch_load_b64 v[103:104], v107, off
	ds_load_b64 v[117:118], v106
	s_waitcnt vmcnt(0) lgkmcnt(0)
	v_mul_f64 v[103:104], v[103:104], v[117:118]
	s_cbranch_execz .LBB114_322
	s_branch .LBB114_323
.LBB114_321:
                                        ; implicit-def: $vgpr103_vgpr104
.LBB114_322:
	ds_load_b64 v[103:104], v106
.LBB114_323:
	s_and_saveexec_b32 s4, s0
	s_cbranch_execz .LBB114_327
; %bb.324:
	v_subrev_nc_u32_e32 v117, 18, v0
	s_movk_i32 s5, 0x230
	s_mov_b32 s0, 0
.LBB114_325:                            ; =>This Inner Loop Header: Depth=1
	scratch_load_b64 v[118:119], v116, off
	v_dual_mov_b32 v120, s5 :: v_dual_add_nc_u32 v117, -1, v117
	v_add_nc_u32_e32 v116, 8, v116
	s_add_i32 s5, s5, 8
	ds_load_b64 v[120:121], v120
	v_cmp_eq_u32_e32 vcc_lo, 0, v117
	s_or_b32 s0, vcc_lo, s0
	s_waitcnt vmcnt(0) lgkmcnt(0)
	v_fma_f64 v[103:104], v[118:119], v[120:121], v[103:104]
	s_and_not1_b32 exec_lo, exec_lo, s0
	s_cbranch_execnz .LBB114_325
; %bb.326:
	s_or_b32 exec_lo, exec_lo, s0
.LBB114_327:
	s_delay_alu instid0(SALU_CYCLE_1)
	s_or_b32 exec_lo, exec_lo, s4
	v_mov_b32_e32 v116, 0
	ds_load_b64 v[116:117], v116 offset:136
	s_waitcnt lgkmcnt(0)
	v_mul_f64 v[103:104], v[103:104], v[116:117]
	scratch_store_b64 off, v[103:104], off offset:136
.LBB114_328:
	s_or_b32 exec_lo, exec_lo, s2
	scratch_load_b64 v[103:104], off, off offset:128
	v_cmp_lt_u32_e64 s0, 16, v0
	s_waitcnt vmcnt(0)
	ds_store_b64 v106, v[103:104]
	s_waitcnt lgkmcnt(0)
	s_waitcnt_vscnt null, 0x0
	s_barrier
	buffer_gl0_inv
	s_and_saveexec_b32 s2, s0
	s_cbranch_execz .LBB114_338
; %bb.329:
	s_and_not1_b32 vcc_lo, exec_lo, s3
	s_cbranch_vccnz .LBB114_331
; %bb.330:
	scratch_load_b64 v[103:104], v107, off
	ds_load_b64 v[116:117], v106
	s_waitcnt vmcnt(0) lgkmcnt(0)
	v_mul_f64 v[103:104], v[103:104], v[116:117]
	s_cbranch_execz .LBB114_332
	s_branch .LBB114_333
.LBB114_331:
                                        ; implicit-def: $vgpr103_vgpr104
.LBB114_332:
	ds_load_b64 v[103:104], v106
.LBB114_333:
	s_and_saveexec_b32 s4, s1
	s_cbranch_execz .LBB114_337
; %bb.334:
	v_mov_b32_e32 v116, 0
	v_subrev_nc_u32_e32 v117, 17, v0
	s_movk_i32 s5, 0x228
	s_mov_b32 s1, 0
	s_delay_alu instid0(VALU_DEP_2)
	v_add_nc_u32_e32 v116, 0x88, v116
.LBB114_335:                            ; =>This Inner Loop Header: Depth=1
	scratch_load_b64 v[118:119], v116, off
	v_dual_mov_b32 v120, s5 :: v_dual_add_nc_u32 v117, -1, v117
	v_add_nc_u32_e32 v116, 8, v116
	s_add_i32 s5, s5, 8
	ds_load_b64 v[120:121], v120
	v_cmp_eq_u32_e32 vcc_lo, 0, v117
	s_or_b32 s1, vcc_lo, s1
	s_waitcnt vmcnt(0) lgkmcnt(0)
	v_fma_f64 v[103:104], v[118:119], v[120:121], v[103:104]
	s_and_not1_b32 exec_lo, exec_lo, s1
	s_cbranch_execnz .LBB114_335
; %bb.336:
	s_or_b32 exec_lo, exec_lo, s1
.LBB114_337:
	s_delay_alu instid0(SALU_CYCLE_1)
	s_or_b32 exec_lo, exec_lo, s4
	v_mov_b32_e32 v116, 0
	ds_load_b64 v[116:117], v116 offset:128
	s_waitcnt lgkmcnt(0)
	v_mul_f64 v[103:104], v[103:104], v[116:117]
	scratch_store_b64 off, v[103:104], off offset:128
.LBB114_338:
	s_or_b32 exec_lo, exec_lo, s2
	scratch_load_b64 v[103:104], off, off offset:120
	v_cmp_lt_u32_e64 s1, 15, v0
	s_waitcnt vmcnt(0)
	ds_store_b64 v106, v[103:104]
	s_waitcnt lgkmcnt(0)
	s_waitcnt_vscnt null, 0x0
	s_barrier
	buffer_gl0_inv
	s_and_saveexec_b32 s2, s1
	s_cbranch_execz .LBB114_348
; %bb.339:
	s_and_not1_b32 vcc_lo, exec_lo, s3
	s_cbranch_vccnz .LBB114_341
; %bb.340:
	scratch_load_b64 v[103:104], v107, off
	ds_load_b64 v[116:117], v106
	s_waitcnt vmcnt(0) lgkmcnt(0)
	v_mul_f64 v[103:104], v[103:104], v[116:117]
	s_cbranch_execz .LBB114_342
	s_branch .LBB114_343
.LBB114_341:
                                        ; implicit-def: $vgpr103_vgpr104
.LBB114_342:
	ds_load_b64 v[103:104], v106
.LBB114_343:
	s_and_saveexec_b32 s4, s0
	s_cbranch_execz .LBB114_347
; %bb.344:
	v_add_nc_u32_e32 v116, -16, v0
	s_movk_i32 s5, 0x220
	s_mov_b32 s0, 0
.LBB114_345:                            ; =>This Inner Loop Header: Depth=1
	scratch_load_b64 v[117:118], v115, off
	v_dual_mov_b32 v119, s5 :: v_dual_add_nc_u32 v116, -1, v116
	v_add_nc_u32_e32 v115, 8, v115
	s_add_i32 s5, s5, 8
	ds_load_b64 v[119:120], v119
	v_cmp_eq_u32_e32 vcc_lo, 0, v116
	s_or_b32 s0, vcc_lo, s0
	s_waitcnt vmcnt(0) lgkmcnt(0)
	v_fma_f64 v[103:104], v[117:118], v[119:120], v[103:104]
	s_and_not1_b32 exec_lo, exec_lo, s0
	s_cbranch_execnz .LBB114_345
; %bb.346:
	s_or_b32 exec_lo, exec_lo, s0
.LBB114_347:
	s_delay_alu instid0(SALU_CYCLE_1)
	s_or_b32 exec_lo, exec_lo, s4
	v_mov_b32_e32 v115, 0
	ds_load_b64 v[115:116], v115 offset:120
	s_waitcnt lgkmcnt(0)
	v_mul_f64 v[103:104], v[103:104], v[115:116]
	scratch_store_b64 off, v[103:104], off offset:120
.LBB114_348:
	s_or_b32 exec_lo, exec_lo, s2
	scratch_load_b64 v[103:104], off, off offset:112
	v_cmp_lt_u32_e64 s0, 14, v0
	s_waitcnt vmcnt(0)
	ds_store_b64 v106, v[103:104]
	s_waitcnt lgkmcnt(0)
	s_waitcnt_vscnt null, 0x0
	s_barrier
	buffer_gl0_inv
	s_and_saveexec_b32 s2, s0
	s_cbranch_execz .LBB114_358
; %bb.349:
	s_and_not1_b32 vcc_lo, exec_lo, s3
	s_cbranch_vccnz .LBB114_351
; %bb.350:
	scratch_load_b64 v[103:104], v107, off
	ds_load_b64 v[115:116], v106
	s_waitcnt vmcnt(0) lgkmcnt(0)
	v_mul_f64 v[103:104], v[103:104], v[115:116]
	s_cbranch_execz .LBB114_352
	s_branch .LBB114_353
.LBB114_351:
                                        ; implicit-def: $vgpr103_vgpr104
.LBB114_352:
	ds_load_b64 v[103:104], v106
.LBB114_353:
	s_and_saveexec_b32 s4, s1
	s_cbranch_execz .LBB114_357
; %bb.354:
	v_dual_mov_b32 v115, 0 :: v_dual_add_nc_u32 v116, -15, v0
	s_movk_i32 s5, 0x218
	s_mov_b32 s1, 0
	s_delay_alu instid0(VALU_DEP_1)
	v_add_nc_u32_e32 v115, 0x78, v115
.LBB114_355:                            ; =>This Inner Loop Header: Depth=1
	scratch_load_b64 v[117:118], v115, off
	v_dual_mov_b32 v119, s5 :: v_dual_add_nc_u32 v116, -1, v116
	v_add_nc_u32_e32 v115, 8, v115
	s_add_i32 s5, s5, 8
	ds_load_b64 v[119:120], v119
	v_cmp_eq_u32_e32 vcc_lo, 0, v116
	s_or_b32 s1, vcc_lo, s1
	s_waitcnt vmcnt(0) lgkmcnt(0)
	v_fma_f64 v[103:104], v[117:118], v[119:120], v[103:104]
	s_and_not1_b32 exec_lo, exec_lo, s1
	s_cbranch_execnz .LBB114_355
; %bb.356:
	s_or_b32 exec_lo, exec_lo, s1
.LBB114_357:
	s_delay_alu instid0(SALU_CYCLE_1)
	s_or_b32 exec_lo, exec_lo, s4
	v_mov_b32_e32 v115, 0
	ds_load_b64 v[115:116], v115 offset:112
	s_waitcnt lgkmcnt(0)
	v_mul_f64 v[103:104], v[103:104], v[115:116]
	scratch_store_b64 off, v[103:104], off offset:112
.LBB114_358:
	s_or_b32 exec_lo, exec_lo, s2
	scratch_load_b64 v[103:104], off, off offset:104
	v_cmp_lt_u32_e64 s1, 13, v0
	s_waitcnt vmcnt(0)
	ds_store_b64 v106, v[103:104]
	s_waitcnt lgkmcnt(0)
	s_waitcnt_vscnt null, 0x0
	s_barrier
	buffer_gl0_inv
	s_and_saveexec_b32 s2, s1
	s_cbranch_execz .LBB114_368
; %bb.359:
	s_and_not1_b32 vcc_lo, exec_lo, s3
	s_cbranch_vccnz .LBB114_361
; %bb.360:
	scratch_load_b64 v[103:104], v107, off
	ds_load_b64 v[115:116], v106
	s_waitcnt vmcnt(0) lgkmcnt(0)
	v_mul_f64 v[103:104], v[103:104], v[115:116]
	s_cbranch_execz .LBB114_362
	s_branch .LBB114_363
.LBB114_361:
                                        ; implicit-def: $vgpr103_vgpr104
.LBB114_362:
	ds_load_b64 v[103:104], v106
.LBB114_363:
	s_and_saveexec_b32 s4, s0
	s_cbranch_execz .LBB114_367
; %bb.364:
	v_add_nc_u32_e32 v115, -14, v0
	s_movk_i32 s5, 0x210
	s_mov_b32 s0, 0
.LBB114_365:                            ; =>This Inner Loop Header: Depth=1
	scratch_load_b64 v[116:117], v114, off
	v_dual_mov_b32 v118, s5 :: v_dual_add_nc_u32 v115, -1, v115
	v_add_nc_u32_e32 v114, 8, v114
	s_add_i32 s5, s5, 8
	ds_load_b64 v[118:119], v118
	v_cmp_eq_u32_e32 vcc_lo, 0, v115
	s_or_b32 s0, vcc_lo, s0
	s_waitcnt vmcnt(0) lgkmcnt(0)
	v_fma_f64 v[103:104], v[116:117], v[118:119], v[103:104]
	s_and_not1_b32 exec_lo, exec_lo, s0
	s_cbranch_execnz .LBB114_365
; %bb.366:
	s_or_b32 exec_lo, exec_lo, s0
.LBB114_367:
	s_delay_alu instid0(SALU_CYCLE_1)
	s_or_b32 exec_lo, exec_lo, s4
	v_mov_b32_e32 v114, 0
	ds_load_b64 v[114:115], v114 offset:104
	s_waitcnt lgkmcnt(0)
	v_mul_f64 v[103:104], v[103:104], v[114:115]
	scratch_store_b64 off, v[103:104], off offset:104
.LBB114_368:
	s_or_b32 exec_lo, exec_lo, s2
	scratch_load_b64 v[103:104], off, off offset:96
	v_cmp_lt_u32_e64 s0, 12, v0
	s_waitcnt vmcnt(0)
	ds_store_b64 v106, v[103:104]
	s_waitcnt lgkmcnt(0)
	s_waitcnt_vscnt null, 0x0
	s_barrier
	buffer_gl0_inv
	s_and_saveexec_b32 s2, s0
	s_cbranch_execz .LBB114_378
; %bb.369:
	s_and_not1_b32 vcc_lo, exec_lo, s3
	s_cbranch_vccnz .LBB114_371
; %bb.370:
	scratch_load_b64 v[103:104], v107, off
	ds_load_b64 v[114:115], v106
	s_waitcnt vmcnt(0) lgkmcnt(0)
	v_mul_f64 v[103:104], v[103:104], v[114:115]
	s_cbranch_execz .LBB114_372
	s_branch .LBB114_373
.LBB114_371:
                                        ; implicit-def: $vgpr103_vgpr104
.LBB114_372:
	ds_load_b64 v[103:104], v106
.LBB114_373:
	s_and_saveexec_b32 s4, s1
	s_cbranch_execz .LBB114_377
; %bb.374:
	v_dual_mov_b32 v114, 0 :: v_dual_add_nc_u32 v115, -13, v0
	s_movk_i32 s5, 0x208
	s_mov_b32 s1, 0
	s_delay_alu instid0(VALU_DEP_1)
	v_add_nc_u32_e32 v114, 0x68, v114
.LBB114_375:                            ; =>This Inner Loop Header: Depth=1
	scratch_load_b64 v[116:117], v114, off
	v_dual_mov_b32 v118, s5 :: v_dual_add_nc_u32 v115, -1, v115
	v_add_nc_u32_e32 v114, 8, v114
	s_add_i32 s5, s5, 8
	ds_load_b64 v[118:119], v118
	v_cmp_eq_u32_e32 vcc_lo, 0, v115
	s_or_b32 s1, vcc_lo, s1
	s_waitcnt vmcnt(0) lgkmcnt(0)
	v_fma_f64 v[103:104], v[116:117], v[118:119], v[103:104]
	s_and_not1_b32 exec_lo, exec_lo, s1
	s_cbranch_execnz .LBB114_375
; %bb.376:
	s_or_b32 exec_lo, exec_lo, s1
.LBB114_377:
	s_delay_alu instid0(SALU_CYCLE_1)
	s_or_b32 exec_lo, exec_lo, s4
	v_mov_b32_e32 v114, 0
	ds_load_b64 v[114:115], v114 offset:96
	s_waitcnt lgkmcnt(0)
	v_mul_f64 v[103:104], v[103:104], v[114:115]
	scratch_store_b64 off, v[103:104], off offset:96
.LBB114_378:
	s_or_b32 exec_lo, exec_lo, s2
	scratch_load_b64 v[103:104], off, off offset:88
	v_cmp_lt_u32_e64 s1, 11, v0
	s_waitcnt vmcnt(0)
	ds_store_b64 v106, v[103:104]
	s_waitcnt lgkmcnt(0)
	s_waitcnt_vscnt null, 0x0
	s_barrier
	buffer_gl0_inv
	s_and_saveexec_b32 s2, s1
	s_cbranch_execz .LBB114_388
; %bb.379:
	s_and_not1_b32 vcc_lo, exec_lo, s3
	s_cbranch_vccnz .LBB114_381
; %bb.380:
	scratch_load_b64 v[103:104], v107, off
	ds_load_b64 v[114:115], v106
	s_waitcnt vmcnt(0) lgkmcnt(0)
	v_mul_f64 v[103:104], v[103:104], v[114:115]
	s_cbranch_execz .LBB114_382
	s_branch .LBB114_383
.LBB114_381:
                                        ; implicit-def: $vgpr103_vgpr104
.LBB114_382:
	ds_load_b64 v[103:104], v106
.LBB114_383:
	s_and_saveexec_b32 s4, s0
	s_cbranch_execz .LBB114_387
; %bb.384:
	v_add_nc_u32_e32 v114, -12, v0
	s_movk_i32 s5, 0x200
	s_mov_b32 s0, 0
.LBB114_385:                            ; =>This Inner Loop Header: Depth=1
	scratch_load_b64 v[115:116], v113, off
	v_dual_mov_b32 v117, s5 :: v_dual_add_nc_u32 v114, -1, v114
	v_add_nc_u32_e32 v113, 8, v113
	s_add_i32 s5, s5, 8
	ds_load_b64 v[117:118], v117
	v_cmp_eq_u32_e32 vcc_lo, 0, v114
	s_or_b32 s0, vcc_lo, s0
	s_waitcnt vmcnt(0) lgkmcnt(0)
	v_fma_f64 v[103:104], v[115:116], v[117:118], v[103:104]
	s_and_not1_b32 exec_lo, exec_lo, s0
	s_cbranch_execnz .LBB114_385
; %bb.386:
	s_or_b32 exec_lo, exec_lo, s0
.LBB114_387:
	s_delay_alu instid0(SALU_CYCLE_1)
	s_or_b32 exec_lo, exec_lo, s4
	v_mov_b32_e32 v113, 0
	ds_load_b64 v[113:114], v113 offset:88
	s_waitcnt lgkmcnt(0)
	v_mul_f64 v[103:104], v[103:104], v[113:114]
	scratch_store_b64 off, v[103:104], off offset:88
.LBB114_388:
	s_or_b32 exec_lo, exec_lo, s2
	scratch_load_b64 v[103:104], off, off offset:80
	v_cmp_lt_u32_e64 s0, 10, v0
	s_waitcnt vmcnt(0)
	ds_store_b64 v106, v[103:104]
	s_waitcnt lgkmcnt(0)
	s_waitcnt_vscnt null, 0x0
	s_barrier
	buffer_gl0_inv
	s_and_saveexec_b32 s2, s0
	s_cbranch_execz .LBB114_398
; %bb.389:
	s_and_not1_b32 vcc_lo, exec_lo, s3
	s_cbranch_vccnz .LBB114_391
; %bb.390:
	scratch_load_b64 v[103:104], v107, off
	ds_load_b64 v[113:114], v106
	s_waitcnt vmcnt(0) lgkmcnt(0)
	v_mul_f64 v[103:104], v[103:104], v[113:114]
	s_cbranch_execz .LBB114_392
	s_branch .LBB114_393
.LBB114_391:
                                        ; implicit-def: $vgpr103_vgpr104
.LBB114_392:
	ds_load_b64 v[103:104], v106
.LBB114_393:
	s_and_saveexec_b32 s4, s1
	s_cbranch_execz .LBB114_397
; %bb.394:
	v_dual_mov_b32 v113, 0 :: v_dual_add_nc_u32 v114, -11, v0
	s_movk_i32 s5, 0x1f8
	s_mov_b32 s1, 0
	s_delay_alu instid0(VALU_DEP_1)
	v_add_nc_u32_e32 v113, 0x58, v113
.LBB114_395:                            ; =>This Inner Loop Header: Depth=1
	scratch_load_b64 v[115:116], v113, off
	v_dual_mov_b32 v117, s5 :: v_dual_add_nc_u32 v114, -1, v114
	v_add_nc_u32_e32 v113, 8, v113
	s_add_i32 s5, s5, 8
	ds_load_b64 v[117:118], v117
	v_cmp_eq_u32_e32 vcc_lo, 0, v114
	s_or_b32 s1, vcc_lo, s1
	s_waitcnt vmcnt(0) lgkmcnt(0)
	v_fma_f64 v[103:104], v[115:116], v[117:118], v[103:104]
	s_and_not1_b32 exec_lo, exec_lo, s1
	s_cbranch_execnz .LBB114_395
; %bb.396:
	s_or_b32 exec_lo, exec_lo, s1
.LBB114_397:
	s_delay_alu instid0(SALU_CYCLE_1)
	s_or_b32 exec_lo, exec_lo, s4
	v_mov_b32_e32 v113, 0
	ds_load_b64 v[113:114], v113 offset:80
	s_waitcnt lgkmcnt(0)
	v_mul_f64 v[103:104], v[103:104], v[113:114]
	scratch_store_b64 off, v[103:104], off offset:80
.LBB114_398:
	s_or_b32 exec_lo, exec_lo, s2
	scratch_load_b64 v[103:104], off, off offset:72
	v_cmp_lt_u32_e64 s1, 9, v0
	s_waitcnt vmcnt(0)
	ds_store_b64 v106, v[103:104]
	s_waitcnt lgkmcnt(0)
	s_waitcnt_vscnt null, 0x0
	s_barrier
	buffer_gl0_inv
	s_and_saveexec_b32 s2, s1
	s_cbranch_execz .LBB114_408
; %bb.399:
	s_and_not1_b32 vcc_lo, exec_lo, s3
	s_cbranch_vccnz .LBB114_401
; %bb.400:
	scratch_load_b64 v[103:104], v107, off
	ds_load_b64 v[113:114], v106
	s_waitcnt vmcnt(0) lgkmcnt(0)
	v_mul_f64 v[103:104], v[103:104], v[113:114]
	s_cbranch_execz .LBB114_402
	s_branch .LBB114_403
.LBB114_401:
                                        ; implicit-def: $vgpr103_vgpr104
.LBB114_402:
	ds_load_b64 v[103:104], v106
.LBB114_403:
	s_and_saveexec_b32 s4, s0
	s_cbranch_execz .LBB114_407
; %bb.404:
	v_add_nc_u32_e32 v113, -10, v0
	s_movk_i32 s5, 0x1f0
	s_mov_b32 s0, 0
.LBB114_405:                            ; =>This Inner Loop Header: Depth=1
	scratch_load_b64 v[114:115], v112, off
	v_dual_mov_b32 v116, s5 :: v_dual_add_nc_u32 v113, -1, v113
	v_add_nc_u32_e32 v112, 8, v112
	s_add_i32 s5, s5, 8
	ds_load_b64 v[116:117], v116
	v_cmp_eq_u32_e32 vcc_lo, 0, v113
	s_or_b32 s0, vcc_lo, s0
	s_waitcnt vmcnt(0) lgkmcnt(0)
	v_fma_f64 v[103:104], v[114:115], v[116:117], v[103:104]
	s_and_not1_b32 exec_lo, exec_lo, s0
	s_cbranch_execnz .LBB114_405
; %bb.406:
	s_or_b32 exec_lo, exec_lo, s0
.LBB114_407:
	s_delay_alu instid0(SALU_CYCLE_1)
	s_or_b32 exec_lo, exec_lo, s4
	v_mov_b32_e32 v112, 0
	ds_load_b64 v[112:113], v112 offset:72
	s_waitcnt lgkmcnt(0)
	v_mul_f64 v[103:104], v[103:104], v[112:113]
	scratch_store_b64 off, v[103:104], off offset:72
.LBB114_408:
	s_or_b32 exec_lo, exec_lo, s2
	scratch_load_b64 v[103:104], off, off offset:64
	v_cmp_lt_u32_e64 s0, 8, v0
	s_waitcnt vmcnt(0)
	ds_store_b64 v106, v[103:104]
	s_waitcnt lgkmcnt(0)
	s_waitcnt_vscnt null, 0x0
	s_barrier
	buffer_gl0_inv
	s_and_saveexec_b32 s2, s0
	s_cbranch_execz .LBB114_418
; %bb.409:
	s_and_not1_b32 vcc_lo, exec_lo, s3
	s_cbranch_vccnz .LBB114_411
; %bb.410:
	scratch_load_b64 v[103:104], v107, off
	ds_load_b64 v[112:113], v106
	s_waitcnt vmcnt(0) lgkmcnt(0)
	v_mul_f64 v[103:104], v[103:104], v[112:113]
	s_cbranch_execz .LBB114_412
	s_branch .LBB114_413
.LBB114_411:
                                        ; implicit-def: $vgpr103_vgpr104
.LBB114_412:
	ds_load_b64 v[103:104], v106
.LBB114_413:
	s_and_saveexec_b32 s4, s1
	s_cbranch_execz .LBB114_417
; %bb.414:
	v_dual_mov_b32 v112, 0 :: v_dual_add_nc_u32 v113, -9, v0
	s_movk_i32 s5, 0x1e8
	s_mov_b32 s1, 0
	s_delay_alu instid0(VALU_DEP_1)
	v_add_nc_u32_e32 v112, 0x48, v112
.LBB114_415:                            ; =>This Inner Loop Header: Depth=1
	scratch_load_b64 v[114:115], v112, off
	v_dual_mov_b32 v116, s5 :: v_dual_add_nc_u32 v113, -1, v113
	v_add_nc_u32_e32 v112, 8, v112
	s_add_i32 s5, s5, 8
	ds_load_b64 v[116:117], v116
	v_cmp_eq_u32_e32 vcc_lo, 0, v113
	s_or_b32 s1, vcc_lo, s1
	s_waitcnt vmcnt(0) lgkmcnt(0)
	v_fma_f64 v[103:104], v[114:115], v[116:117], v[103:104]
	s_and_not1_b32 exec_lo, exec_lo, s1
	s_cbranch_execnz .LBB114_415
; %bb.416:
	s_or_b32 exec_lo, exec_lo, s1
.LBB114_417:
	s_delay_alu instid0(SALU_CYCLE_1)
	s_or_b32 exec_lo, exec_lo, s4
	v_mov_b32_e32 v112, 0
	ds_load_b64 v[112:113], v112 offset:64
	s_waitcnt lgkmcnt(0)
	v_mul_f64 v[103:104], v[103:104], v[112:113]
	scratch_store_b64 off, v[103:104], off offset:64
.LBB114_418:
	s_or_b32 exec_lo, exec_lo, s2
	scratch_load_b64 v[103:104], off, off offset:56
	v_cmp_lt_u32_e64 s1, 7, v0
	s_waitcnt vmcnt(0)
	ds_store_b64 v106, v[103:104]
	s_waitcnt lgkmcnt(0)
	s_waitcnt_vscnt null, 0x0
	s_barrier
	buffer_gl0_inv
	s_and_saveexec_b32 s2, s1
	s_cbranch_execz .LBB114_428
; %bb.419:
	s_and_not1_b32 vcc_lo, exec_lo, s3
	s_cbranch_vccnz .LBB114_421
; %bb.420:
	scratch_load_b64 v[103:104], v107, off
	ds_load_b64 v[112:113], v106
	s_waitcnt vmcnt(0) lgkmcnt(0)
	v_mul_f64 v[103:104], v[103:104], v[112:113]
	s_cbranch_execz .LBB114_422
	s_branch .LBB114_423
.LBB114_421:
                                        ; implicit-def: $vgpr103_vgpr104
.LBB114_422:
	ds_load_b64 v[103:104], v106
.LBB114_423:
	s_and_saveexec_b32 s4, s0
	s_cbranch_execz .LBB114_427
; %bb.424:
	v_add_nc_u32_e32 v112, -8, v0
	s_movk_i32 s5, 0x1e0
	s_mov_b32 s0, 0
.LBB114_425:                            ; =>This Inner Loop Header: Depth=1
	scratch_load_b64 v[113:114], v111, off
	v_dual_mov_b32 v115, s5 :: v_dual_add_nc_u32 v112, -1, v112
	v_add_nc_u32_e32 v111, 8, v111
	s_add_i32 s5, s5, 8
	ds_load_b64 v[115:116], v115
	v_cmp_eq_u32_e32 vcc_lo, 0, v112
	s_or_b32 s0, vcc_lo, s0
	s_waitcnt vmcnt(0) lgkmcnt(0)
	v_fma_f64 v[103:104], v[113:114], v[115:116], v[103:104]
	s_and_not1_b32 exec_lo, exec_lo, s0
	s_cbranch_execnz .LBB114_425
; %bb.426:
	s_or_b32 exec_lo, exec_lo, s0
.LBB114_427:
	s_delay_alu instid0(SALU_CYCLE_1)
	s_or_b32 exec_lo, exec_lo, s4
	v_mov_b32_e32 v111, 0
	ds_load_b64 v[111:112], v111 offset:56
	s_waitcnt lgkmcnt(0)
	v_mul_f64 v[103:104], v[103:104], v[111:112]
	scratch_store_b64 off, v[103:104], off offset:56
.LBB114_428:
	s_or_b32 exec_lo, exec_lo, s2
	scratch_load_b64 v[103:104], off, off offset:48
	v_cmp_lt_u32_e64 s0, 6, v0
	s_waitcnt vmcnt(0)
	ds_store_b64 v106, v[103:104]
	s_waitcnt lgkmcnt(0)
	s_waitcnt_vscnt null, 0x0
	s_barrier
	buffer_gl0_inv
	s_and_saveexec_b32 s2, s0
	s_cbranch_execz .LBB114_438
; %bb.429:
	s_and_not1_b32 vcc_lo, exec_lo, s3
	s_cbranch_vccnz .LBB114_431
; %bb.430:
	scratch_load_b64 v[103:104], v107, off
	ds_load_b64 v[111:112], v106
	s_waitcnt vmcnt(0) lgkmcnt(0)
	v_mul_f64 v[103:104], v[103:104], v[111:112]
	s_cbranch_execz .LBB114_432
	s_branch .LBB114_433
.LBB114_431:
                                        ; implicit-def: $vgpr103_vgpr104
.LBB114_432:
	ds_load_b64 v[103:104], v106
.LBB114_433:
	s_and_saveexec_b32 s4, s1
	s_cbranch_execz .LBB114_437
; %bb.434:
	v_add_nc_u32_e64 v111, 0, 56
	v_add_nc_u32_e32 v112, -7, v0
	s_movk_i32 s5, 0x1d8
	s_mov_b32 s1, 0
.LBB114_435:                            ; =>This Inner Loop Header: Depth=1
	scratch_load_b64 v[113:114], v111, off
	v_dual_mov_b32 v115, s5 :: v_dual_add_nc_u32 v112, -1, v112
	v_add_nc_u32_e32 v111, 8, v111
	s_add_i32 s5, s5, 8
	ds_load_b64 v[115:116], v115
	v_cmp_eq_u32_e32 vcc_lo, 0, v112
	s_or_b32 s1, vcc_lo, s1
	s_waitcnt vmcnt(0) lgkmcnt(0)
	v_fma_f64 v[103:104], v[113:114], v[115:116], v[103:104]
	s_and_not1_b32 exec_lo, exec_lo, s1
	s_cbranch_execnz .LBB114_435
; %bb.436:
	s_or_b32 exec_lo, exec_lo, s1
.LBB114_437:
	s_delay_alu instid0(SALU_CYCLE_1)
	s_or_b32 exec_lo, exec_lo, s4
	v_mov_b32_e32 v111, 0
	ds_load_b64 v[111:112], v111 offset:48
	s_waitcnt lgkmcnt(0)
	v_mul_f64 v[103:104], v[103:104], v[111:112]
	scratch_store_b64 off, v[103:104], off offset:48
.LBB114_438:
	s_or_b32 exec_lo, exec_lo, s2
	scratch_load_b64 v[103:104], off, off offset:40
	v_cmp_lt_u32_e64 s1, 5, v0
	s_waitcnt vmcnt(0)
	ds_store_b64 v106, v[103:104]
	s_waitcnt lgkmcnt(0)
	s_waitcnt_vscnt null, 0x0
	s_barrier
	buffer_gl0_inv
	s_and_saveexec_b32 s2, s1
	s_cbranch_execz .LBB114_448
; %bb.439:
	s_and_not1_b32 vcc_lo, exec_lo, s3
	s_cbranch_vccnz .LBB114_441
; %bb.440:
	scratch_load_b64 v[103:104], v107, off
	ds_load_b64 v[111:112], v106
	s_waitcnt vmcnt(0) lgkmcnt(0)
	v_mul_f64 v[103:104], v[103:104], v[111:112]
	s_cbranch_execz .LBB114_442
	s_branch .LBB114_443
.LBB114_441:
                                        ; implicit-def: $vgpr103_vgpr104
.LBB114_442:
	ds_load_b64 v[103:104], v106
.LBB114_443:
	s_and_saveexec_b32 s4, s0
	s_cbranch_execz .LBB114_447
; %bb.444:
	v_add_nc_u32_e32 v111, -6, v0
	s_movk_i32 s5, 0x1d0
	s_mov_b32 s0, 0
.LBB114_445:                            ; =>This Inner Loop Header: Depth=1
	scratch_load_b64 v[112:113], v110, off
	v_dual_mov_b32 v114, s5 :: v_dual_add_nc_u32 v111, -1, v111
	v_add_nc_u32_e32 v110, 8, v110
	s_add_i32 s5, s5, 8
	ds_load_b64 v[114:115], v114
	v_cmp_eq_u32_e32 vcc_lo, 0, v111
	s_or_b32 s0, vcc_lo, s0
	s_waitcnt vmcnt(0) lgkmcnt(0)
	v_fma_f64 v[103:104], v[112:113], v[114:115], v[103:104]
	s_and_not1_b32 exec_lo, exec_lo, s0
	s_cbranch_execnz .LBB114_445
; %bb.446:
	s_or_b32 exec_lo, exec_lo, s0
.LBB114_447:
	s_delay_alu instid0(SALU_CYCLE_1)
	s_or_b32 exec_lo, exec_lo, s4
	v_mov_b32_e32 v110, 0
	ds_load_b64 v[110:111], v110 offset:40
	s_waitcnt lgkmcnt(0)
	v_mul_f64 v[103:104], v[103:104], v[110:111]
	scratch_store_b64 off, v[103:104], off offset:40
.LBB114_448:
	s_or_b32 exec_lo, exec_lo, s2
	scratch_load_b64 v[103:104], off, off offset:32
	v_cmp_lt_u32_e64 s0, 4, v0
	s_waitcnt vmcnt(0)
	ds_store_b64 v106, v[103:104]
	s_waitcnt lgkmcnt(0)
	s_waitcnt_vscnt null, 0x0
	s_barrier
	buffer_gl0_inv
	s_and_saveexec_b32 s2, s0
	s_cbranch_execz .LBB114_458
; %bb.449:
	s_and_not1_b32 vcc_lo, exec_lo, s3
	s_cbranch_vccnz .LBB114_451
; %bb.450:
	scratch_load_b64 v[103:104], v107, off
	ds_load_b64 v[110:111], v106
	s_waitcnt vmcnt(0) lgkmcnt(0)
	v_mul_f64 v[103:104], v[103:104], v[110:111]
	s_cbranch_execz .LBB114_452
	s_branch .LBB114_453
.LBB114_451:
                                        ; implicit-def: $vgpr103_vgpr104
.LBB114_452:
	ds_load_b64 v[103:104], v106
.LBB114_453:
	s_and_saveexec_b32 s4, s1
	s_cbranch_execz .LBB114_457
; %bb.454:
	v_add_nc_u32_e64 v110, 0, 40
	v_add_nc_u32_e32 v111, -5, v0
	s_movk_i32 s5, 0x1c8
	s_mov_b32 s1, 0
.LBB114_455:                            ; =>This Inner Loop Header: Depth=1
	scratch_load_b64 v[112:113], v110, off
	v_dual_mov_b32 v114, s5 :: v_dual_add_nc_u32 v111, -1, v111
	v_add_nc_u32_e32 v110, 8, v110
	s_add_i32 s5, s5, 8
	ds_load_b64 v[114:115], v114
	v_cmp_eq_u32_e32 vcc_lo, 0, v111
	s_or_b32 s1, vcc_lo, s1
	s_waitcnt vmcnt(0) lgkmcnt(0)
	v_fma_f64 v[103:104], v[112:113], v[114:115], v[103:104]
	s_and_not1_b32 exec_lo, exec_lo, s1
	s_cbranch_execnz .LBB114_455
; %bb.456:
	s_or_b32 exec_lo, exec_lo, s1
.LBB114_457:
	s_delay_alu instid0(SALU_CYCLE_1)
	s_or_b32 exec_lo, exec_lo, s4
	v_mov_b32_e32 v110, 0
	ds_load_b64 v[110:111], v110 offset:32
	s_waitcnt lgkmcnt(0)
	v_mul_f64 v[103:104], v[103:104], v[110:111]
	scratch_store_b64 off, v[103:104], off offset:32
.LBB114_458:
	s_or_b32 exec_lo, exec_lo, s2
	scratch_load_b64 v[103:104], off, off offset:24
	v_cmp_lt_u32_e64 s1, 3, v0
	s_waitcnt vmcnt(0)
	ds_store_b64 v106, v[103:104]
	s_waitcnt lgkmcnt(0)
	s_waitcnt_vscnt null, 0x0
	s_barrier
	buffer_gl0_inv
	s_and_saveexec_b32 s2, s1
	s_cbranch_execz .LBB114_468
; %bb.459:
	s_and_not1_b32 vcc_lo, exec_lo, s3
	s_cbranch_vccnz .LBB114_461
; %bb.460:
	scratch_load_b64 v[103:104], v107, off
	ds_load_b64 v[110:111], v106
	s_waitcnt vmcnt(0) lgkmcnt(0)
	v_mul_f64 v[103:104], v[103:104], v[110:111]
	s_cbranch_execz .LBB114_462
	s_branch .LBB114_463
.LBB114_461:
                                        ; implicit-def: $vgpr103_vgpr104
.LBB114_462:
	ds_load_b64 v[103:104], v106
.LBB114_463:
	s_and_saveexec_b32 s4, s0
	s_cbranch_execz .LBB114_467
; %bb.464:
	v_add_nc_u32_e32 v110, -4, v0
	s_movk_i32 s5, 0x1c0
	s_mov_b32 s0, 0
.LBB114_465:                            ; =>This Inner Loop Header: Depth=1
	scratch_load_b64 v[111:112], v109, off
	v_dual_mov_b32 v113, s5 :: v_dual_add_nc_u32 v110, -1, v110
	v_add_nc_u32_e32 v109, 8, v109
	s_add_i32 s5, s5, 8
	ds_load_b64 v[113:114], v113
	v_cmp_eq_u32_e32 vcc_lo, 0, v110
	s_or_b32 s0, vcc_lo, s0
	s_waitcnt vmcnt(0) lgkmcnt(0)
	v_fma_f64 v[103:104], v[111:112], v[113:114], v[103:104]
	s_and_not1_b32 exec_lo, exec_lo, s0
	s_cbranch_execnz .LBB114_465
; %bb.466:
	s_or_b32 exec_lo, exec_lo, s0
.LBB114_467:
	s_delay_alu instid0(SALU_CYCLE_1)
	s_or_b32 exec_lo, exec_lo, s4
	v_mov_b32_e32 v109, 0
	ds_load_b64 v[109:110], v109 offset:24
	s_waitcnt lgkmcnt(0)
	v_mul_f64 v[103:104], v[103:104], v[109:110]
	scratch_store_b64 off, v[103:104], off offset:24
.LBB114_468:
	s_or_b32 exec_lo, exec_lo, s2
	scratch_load_b64 v[103:104], off, off offset:16
	v_cmp_lt_u32_e64 s0, 2, v0
	s_waitcnt vmcnt(0)
	ds_store_b64 v106, v[103:104]
	s_waitcnt lgkmcnt(0)
	s_waitcnt_vscnt null, 0x0
	s_barrier
	buffer_gl0_inv
	s_and_saveexec_b32 s2, s0
	s_cbranch_execz .LBB114_478
; %bb.469:
	s_and_not1_b32 vcc_lo, exec_lo, s3
	s_cbranch_vccnz .LBB114_471
; %bb.470:
	scratch_load_b64 v[103:104], v107, off
	ds_load_b64 v[109:110], v106
	s_waitcnt vmcnt(0) lgkmcnt(0)
	v_mul_f64 v[103:104], v[103:104], v[109:110]
	s_cbranch_execz .LBB114_472
	s_branch .LBB114_473
.LBB114_471:
                                        ; implicit-def: $vgpr103_vgpr104
.LBB114_472:
	ds_load_b64 v[103:104], v106
.LBB114_473:
	s_and_saveexec_b32 s4, s1
	s_cbranch_execz .LBB114_477
; %bb.474:
	v_add_nc_u32_e64 v109, 0, 24
	v_add_nc_u32_e32 v110, -3, v0
	s_movk_i32 s5, 0x1b8
	s_mov_b32 s1, 0
.LBB114_475:                            ; =>This Inner Loop Header: Depth=1
	scratch_load_b64 v[111:112], v109, off
	v_dual_mov_b32 v113, s5 :: v_dual_add_nc_u32 v110, -1, v110
	v_add_nc_u32_e32 v109, 8, v109
	s_add_i32 s5, s5, 8
	ds_load_b64 v[113:114], v113
	v_cmp_eq_u32_e32 vcc_lo, 0, v110
	s_or_b32 s1, vcc_lo, s1
	s_waitcnt vmcnt(0) lgkmcnt(0)
	v_fma_f64 v[103:104], v[111:112], v[113:114], v[103:104]
	s_and_not1_b32 exec_lo, exec_lo, s1
	s_cbranch_execnz .LBB114_475
; %bb.476:
	s_or_b32 exec_lo, exec_lo, s1
.LBB114_477:
	s_delay_alu instid0(SALU_CYCLE_1)
	s_or_b32 exec_lo, exec_lo, s4
	v_mov_b32_e32 v109, 0
	ds_load_b64 v[109:110], v109 offset:16
	s_waitcnt lgkmcnt(0)
	v_mul_f64 v[103:104], v[103:104], v[109:110]
	scratch_store_b64 off, v[103:104], off offset:16
.LBB114_478:
	s_or_b32 exec_lo, exec_lo, s2
	scratch_load_b64 v[103:104], off, off offset:8
	v_cmp_lt_u32_e64 s1, 1, v0
	s_waitcnt vmcnt(0)
	ds_store_b64 v106, v[103:104]
	s_waitcnt lgkmcnt(0)
	s_waitcnt_vscnt null, 0x0
	s_barrier
	buffer_gl0_inv
	s_and_saveexec_b32 s2, s1
	s_cbranch_execz .LBB114_488
; %bb.479:
	s_and_not1_b32 vcc_lo, exec_lo, s3
	s_cbranch_vccnz .LBB114_481
; %bb.480:
	scratch_load_b64 v[103:104], v107, off
	ds_load_b64 v[109:110], v106
	s_waitcnt vmcnt(0) lgkmcnt(0)
	v_mul_f64 v[103:104], v[103:104], v[109:110]
	s_cbranch_execz .LBB114_482
	s_branch .LBB114_483
.LBB114_481:
                                        ; implicit-def: $vgpr103_vgpr104
.LBB114_482:
	ds_load_b64 v[103:104], v106
.LBB114_483:
	s_and_saveexec_b32 s4, s0
	s_cbranch_execz .LBB114_487
; %bb.484:
	v_add_nc_u32_e32 v109, -2, v0
	s_movk_i32 s5, 0x1b0
	s_mov_b32 s0, 0
.LBB114_485:                            ; =>This Inner Loop Header: Depth=1
	scratch_load_b64 v[110:111], v108, off
	v_dual_mov_b32 v112, s5 :: v_dual_add_nc_u32 v109, -1, v109
	v_add_nc_u32_e32 v108, 8, v108
	s_add_i32 s5, s5, 8
	ds_load_b64 v[112:113], v112
	v_cmp_eq_u32_e32 vcc_lo, 0, v109
	s_or_b32 s0, vcc_lo, s0
	s_waitcnt vmcnt(0) lgkmcnt(0)
	v_fma_f64 v[103:104], v[110:111], v[112:113], v[103:104]
	s_and_not1_b32 exec_lo, exec_lo, s0
	s_cbranch_execnz .LBB114_485
; %bb.486:
	s_or_b32 exec_lo, exec_lo, s0
.LBB114_487:
	s_delay_alu instid0(SALU_CYCLE_1)
	s_or_b32 exec_lo, exec_lo, s4
	v_mov_b32_e32 v108, 0
	ds_load_b64 v[108:109], v108 offset:8
	s_waitcnt lgkmcnt(0)
	v_mul_f64 v[103:104], v[103:104], v[108:109]
	scratch_store_b64 off, v[103:104], off offset:8
.LBB114_488:
	s_or_b32 exec_lo, exec_lo, s2
	scratch_load_b64 v[103:104], off, off
	s_mov_b32 s0, 0
	s_mov_b32 s2, exec_lo
	s_waitcnt vmcnt(0)
	ds_store_b64 v106, v[103:104]
	s_waitcnt lgkmcnt(0)
	s_waitcnt_vscnt null, 0x0
	s_barrier
	buffer_gl0_inv
	v_cmpx_ne_u32_e32 0, v0
	s_cbranch_execz .LBB114_498
; %bb.489:
	s_and_not1_b32 vcc_lo, exec_lo, s3
	s_cbranch_vccnz .LBB114_491
; %bb.490:
	scratch_load_b64 v[103:104], v107, off
	ds_load_b64 v[108:109], v106
	s_waitcnt vmcnt(0) lgkmcnt(0)
	v_mul_f64 v[103:104], v[103:104], v[108:109]
	s_cbranch_execz .LBB114_492
	s_branch .LBB114_493
.LBB114_491:
                                        ; implicit-def: $vgpr103_vgpr104
.LBB114_492:
	ds_load_b64 v[103:104], v106
.LBB114_493:
	s_and_saveexec_b32 s4, s1
	s_cbranch_execz .LBB114_497
; %bb.494:
	v_or_b32_e64 v108, 0, 8
	v_add_nc_u32_e32 v109, -1, v0
	s_movk_i32 s5, 0x1a8
	s_mov_b32 s1, 0
.LBB114_495:                            ; =>This Inner Loop Header: Depth=1
	scratch_load_b64 v[110:111], v108, off
	v_dual_mov_b32 v112, s5 :: v_dual_add_nc_u32 v109, -1, v109
	v_add_nc_u32_e32 v108, 8, v108
	s_add_i32 s5, s5, 8
	ds_load_b64 v[112:113], v112
	v_cmp_eq_u32_e32 vcc_lo, 0, v109
	s_or_b32 s1, vcc_lo, s1
	s_waitcnt vmcnt(0) lgkmcnt(0)
	v_fma_f64 v[103:104], v[110:111], v[112:113], v[103:104]
	s_and_not1_b32 exec_lo, exec_lo, s1
	s_cbranch_execnz .LBB114_495
; %bb.496:
	s_or_b32 exec_lo, exec_lo, s1
.LBB114_497:
	s_delay_alu instid0(SALU_CYCLE_1)
	s_or_b32 exec_lo, exec_lo, s4
	v_mov_b32_e32 v108, 0
	ds_load_b64 v[108:109], v108
	s_waitcnt lgkmcnt(0)
	v_mul_f64 v[103:104], v[103:104], v[108:109]
	scratch_store_b64 off, v[103:104], off
.LBB114_498:
	s_or_b32 exec_lo, exec_lo, s2
.LBB114_499:
	s_delay_alu instid0(SALU_CYCLE_1)
	s_and_b32 vcc_lo, exec_lo, s0
	s_cbranch_vccz .LBB114_995
; %bb.500:
	scratch_load_b64 v[103:104], off, off offset:8
	v_cmp_eq_u32_e64 s0, 0, v0
	s_waitcnt vmcnt(0)
	ds_store_b64 v106, v[103:104]
	s_waitcnt lgkmcnt(0)
	s_waitcnt_vscnt null, 0x0
	s_barrier
	buffer_gl0_inv
	s_and_saveexec_b32 s1, s0
	s_cbranch_execz .LBB114_506
; %bb.501:
	s_and_b32 vcc_lo, exec_lo, s3
	s_cbranch_vccz .LBB114_503
; %bb.502:
	scratch_load_b64 v[103:104], v107, off
	ds_load_b64 v[108:109], v106
	s_waitcnt vmcnt(0) lgkmcnt(0)
	v_mul_f64 v[103:104], v[103:104], v[108:109]
	s_cbranch_execz .LBB114_504
	s_branch .LBB114_505
.LBB114_503:
                                        ; implicit-def: $vgpr103_vgpr104
.LBB114_504:
	ds_load_b64 v[103:104], v106
.LBB114_505:
	v_mov_b32_e32 v108, 0
	ds_load_b64 v[108:109], v108 offset:8
	s_waitcnt lgkmcnt(0)
	v_mul_f64 v[103:104], v[103:104], v[108:109]
	scratch_store_b64 off, v[103:104], off offset:8
.LBB114_506:
	s_or_b32 exec_lo, exec_lo, s1
	scratch_load_b64 v[103:104], off, off offset:16
	v_cndmask_b32_e64 v108, 0, 1, s3
	s_mov_b32 s1, exec_lo
	s_waitcnt vmcnt(0)
	ds_store_b64 v106, v[103:104]
	s_waitcnt lgkmcnt(0)
	s_waitcnt_vscnt null, 0x0
	s_barrier
	buffer_gl0_inv
	v_cmpx_gt_u32_e32 2, v0
	s_cbranch_execz .LBB114_514
; %bb.507:
	s_and_not1_b32 vcc_lo, exec_lo, s3
	s_cbranch_vccnz .LBB114_509
; %bb.508:
	scratch_load_b64 v[103:104], v107, off
	ds_load_b64 v[109:110], v106
	s_waitcnt vmcnt(0) lgkmcnt(0)
	v_mul_f64 v[103:104], v[103:104], v[109:110]
	s_cbranch_execz .LBB114_510
	s_branch .LBB114_511
.LBB114_509:
                                        ; implicit-def: $vgpr103_vgpr104
.LBB114_510:
	ds_load_b64 v[103:104], v106
.LBB114_511:
	s_and_saveexec_b32 s2, s0
	s_cbranch_execz .LBB114_513
; %bb.512:
	scratch_load_b64 v[109:110], v107, off offset:8
	ds_load_b64 v[111:112], v106 offset:8
	s_waitcnt vmcnt(0) lgkmcnt(0)
	v_fma_f64 v[103:104], v[109:110], v[111:112], v[103:104]
.LBB114_513:
	s_or_b32 exec_lo, exec_lo, s2
	v_mov_b32_e32 v109, 0
	ds_load_b64 v[109:110], v109 offset:16
	s_waitcnt lgkmcnt(0)
	v_mul_f64 v[103:104], v[103:104], v[109:110]
	scratch_store_b64 off, v[103:104], off offset:16
.LBB114_514:
	s_or_b32 exec_lo, exec_lo, s1
	scratch_load_b64 v[103:104], off, off offset:24
	s_mov_b32 s1, exec_lo
	s_waitcnt vmcnt(0)
	ds_store_b64 v106, v[103:104]
	s_waitcnt lgkmcnt(0)
	s_waitcnt_vscnt null, 0x0
	s_barrier
	buffer_gl0_inv
	v_cmpx_gt_u32_e32 3, v0
	s_cbranch_execz .LBB114_524
; %bb.515:
	v_cmp_ne_u32_e32 vcc_lo, 1, v108
	s_cbranch_vccnz .LBB114_517
; %bb.516:
	scratch_load_b64 v[103:104], v107, off
	ds_load_b64 v[109:110], v106
	s_waitcnt vmcnt(0) lgkmcnt(0)
	v_mul_f64 v[103:104], v[103:104], v[109:110]
	s_cbranch_execz .LBB114_518
	s_branch .LBB114_519
.LBB114_517:
                                        ; implicit-def: $vgpr103_vgpr104
.LBB114_518:
	ds_load_b64 v[103:104], v106
.LBB114_519:
	s_mov_b32 s2, exec_lo
	v_cmpx_ne_u32_e32 2, v0
	s_cbranch_execz .LBB114_523
; %bb.520:
	scratch_load_b64 v[109:110], v107, off offset:8
	ds_load_b64 v[111:112], v106 offset:8
	s_waitcnt vmcnt(0) lgkmcnt(0)
	v_fma_f64 v[103:104], v[109:110], v[111:112], v[103:104]
	s_and_saveexec_b32 s3, s0
	s_cbranch_execz .LBB114_522
; %bb.521:
	scratch_load_b64 v[109:110], off, off offset:16
	v_mov_b32_e32 v111, 0
	ds_load_b64 v[111:112], v111 offset:432
	s_waitcnt vmcnt(0) lgkmcnt(0)
	v_fma_f64 v[103:104], v[109:110], v[111:112], v[103:104]
.LBB114_522:
	s_or_b32 exec_lo, exec_lo, s3
.LBB114_523:
	s_delay_alu instid0(SALU_CYCLE_1)
	s_or_b32 exec_lo, exec_lo, s2
	v_mov_b32_e32 v109, 0
	ds_load_b64 v[109:110], v109 offset:24
	s_waitcnt lgkmcnt(0)
	v_mul_f64 v[103:104], v[103:104], v[109:110]
	scratch_store_b64 off, v[103:104], off offset:24
.LBB114_524:
	s_or_b32 exec_lo, exec_lo, s1
	scratch_load_b64 v[103:104], off, off offset:32
	s_mov_b32 s0, exec_lo
	s_waitcnt vmcnt(0)
	ds_store_b64 v106, v[103:104]
	s_waitcnt lgkmcnt(0)
	s_waitcnt_vscnt null, 0x0
	s_barrier
	buffer_gl0_inv
	v_cmpx_gt_u32_e32 4, v0
	s_cbranch_execz .LBB114_534
; %bb.525:
	v_cmp_ne_u32_e32 vcc_lo, 1, v108
	s_cbranch_vccnz .LBB114_527
; %bb.526:
	scratch_load_b64 v[103:104], v107, off
	ds_load_b64 v[109:110], v106
	s_waitcnt vmcnt(0) lgkmcnt(0)
	v_mul_f64 v[103:104], v[103:104], v[109:110]
	s_cbranch_execz .LBB114_528
	s_branch .LBB114_529
.LBB114_527:
                                        ; implicit-def: $vgpr103_vgpr104
.LBB114_528:
	ds_load_b64 v[103:104], v106
.LBB114_529:
	s_mov_b32 s1, exec_lo
	v_cmpx_ne_u32_e32 3, v0
	s_cbranch_execz .LBB114_533
; %bb.530:
	v_add_nc_u32_e32 v109, 0x1a8, v105
	v_add3_u32 v110, 0, v105, 8
	v_mov_b32_e32 v111, v0
	s_mov_b32 s2, 0
.LBB114_531:                            ; =>This Inner Loop Header: Depth=1
	scratch_load_b64 v[112:113], v110, off
	ds_load_b64 v[114:115], v109
	v_add_nc_u32_e32 v111, 1, v111
	v_add_nc_u32_e32 v109, 8, v109
	v_add_nc_u32_e32 v110, 8, v110
	s_delay_alu instid0(VALU_DEP_3)
	v_cmp_lt_u32_e32 vcc_lo, 2, v111
	s_or_b32 s2, vcc_lo, s2
	s_waitcnt vmcnt(0) lgkmcnt(0)
	v_fma_f64 v[103:104], v[112:113], v[114:115], v[103:104]
	s_and_not1_b32 exec_lo, exec_lo, s2
	s_cbranch_execnz .LBB114_531
; %bb.532:
	s_or_b32 exec_lo, exec_lo, s2
.LBB114_533:
	s_delay_alu instid0(SALU_CYCLE_1)
	s_or_b32 exec_lo, exec_lo, s1
	v_mov_b32_e32 v109, 0
	ds_load_b64 v[109:110], v109 offset:32
	s_waitcnt lgkmcnt(0)
	v_mul_f64 v[103:104], v[103:104], v[109:110]
	scratch_store_b64 off, v[103:104], off offset:32
.LBB114_534:
	s_or_b32 exec_lo, exec_lo, s0
	scratch_load_b64 v[103:104], off, off offset:40
	s_mov_b32 s0, exec_lo
	s_waitcnt vmcnt(0)
	ds_store_b64 v106, v[103:104]
	s_waitcnt lgkmcnt(0)
	s_waitcnt_vscnt null, 0x0
	s_barrier
	buffer_gl0_inv
	v_cmpx_gt_u32_e32 5, v0
	s_cbranch_execz .LBB114_544
; %bb.535:
	v_cmp_ne_u32_e32 vcc_lo, 1, v108
	s_cbranch_vccnz .LBB114_537
; %bb.536:
	scratch_load_b64 v[103:104], v107, off
	ds_load_b64 v[109:110], v106
	s_waitcnt vmcnt(0) lgkmcnt(0)
	v_mul_f64 v[103:104], v[103:104], v[109:110]
	s_cbranch_execz .LBB114_538
	s_branch .LBB114_539
.LBB114_537:
                                        ; implicit-def: $vgpr103_vgpr104
.LBB114_538:
	ds_load_b64 v[103:104], v106
.LBB114_539:
	s_mov_b32 s1, exec_lo
	v_cmpx_ne_u32_e32 4, v0
	s_cbranch_execz .LBB114_543
; %bb.540:
	v_add_nc_u32_e32 v109, 0x1a8, v105
	v_add3_u32 v110, 0, v105, 8
	v_mov_b32_e32 v111, v0
	s_mov_b32 s2, 0
.LBB114_541:                            ; =>This Inner Loop Header: Depth=1
	scratch_load_b64 v[112:113], v110, off
	ds_load_b64 v[114:115], v109
	v_add_nc_u32_e32 v111, 1, v111
	v_add_nc_u32_e32 v109, 8, v109
	v_add_nc_u32_e32 v110, 8, v110
	s_delay_alu instid0(VALU_DEP_3)
	v_cmp_lt_u32_e32 vcc_lo, 3, v111
	s_or_b32 s2, vcc_lo, s2
	s_waitcnt vmcnt(0) lgkmcnt(0)
	v_fma_f64 v[103:104], v[112:113], v[114:115], v[103:104]
	s_and_not1_b32 exec_lo, exec_lo, s2
	s_cbranch_execnz .LBB114_541
; %bb.542:
	s_or_b32 exec_lo, exec_lo, s2
.LBB114_543:
	s_delay_alu instid0(SALU_CYCLE_1)
	s_or_b32 exec_lo, exec_lo, s1
	v_mov_b32_e32 v109, 0
	ds_load_b64 v[109:110], v109 offset:40
	s_waitcnt lgkmcnt(0)
	v_mul_f64 v[103:104], v[103:104], v[109:110]
	scratch_store_b64 off, v[103:104], off offset:40
.LBB114_544:
	;; [unrolled: 58-line block ×45, first 2 shown]
	s_or_b32 exec_lo, exec_lo, s0
	scratch_load_b64 v[103:104], off, off offset:392
	v_cmp_gt_u32_e64 s0, 49, v0
	s_waitcnt vmcnt(0)
	ds_store_b64 v106, v[103:104]
	s_waitcnt lgkmcnt(0)
	s_waitcnt_vscnt null, 0x0
	s_barrier
	buffer_gl0_inv
	s_and_saveexec_b32 s1, s0
	s_cbranch_execz .LBB114_984
; %bb.975:
	v_cmp_ne_u32_e32 vcc_lo, 1, v108
	s_cbranch_vccnz .LBB114_977
; %bb.976:
	scratch_load_b64 v[103:104], v107, off
	ds_load_b64 v[109:110], v106
	s_waitcnt vmcnt(0) lgkmcnt(0)
	v_mul_f64 v[103:104], v[103:104], v[109:110]
	s_cbranch_execz .LBB114_978
	s_branch .LBB114_979
.LBB114_977:
                                        ; implicit-def: $vgpr103_vgpr104
.LBB114_978:
	ds_load_b64 v[103:104], v106
.LBB114_979:
	s_mov_b32 s2, exec_lo
	v_cmpx_ne_u32_e32 48, v0
	s_cbranch_execz .LBB114_983
; %bb.980:
	v_add_nc_u32_e32 v109, 0x1a8, v105
	v_add3_u32 v110, 0, v105, 8
	v_mov_b32_e32 v111, v0
	s_mov_b32 s3, 0
.LBB114_981:                            ; =>This Inner Loop Header: Depth=1
	scratch_load_b64 v[112:113], v110, off
	ds_load_b64 v[114:115], v109
	v_add_nc_u32_e32 v111, 1, v111
	v_add_nc_u32_e32 v109, 8, v109
	;; [unrolled: 1-line block ×3, first 2 shown]
	s_delay_alu instid0(VALU_DEP_3)
	v_cmp_lt_u32_e32 vcc_lo, 47, v111
	s_or_b32 s3, vcc_lo, s3
	s_waitcnt vmcnt(0) lgkmcnt(0)
	v_fma_f64 v[103:104], v[112:113], v[114:115], v[103:104]
	s_and_not1_b32 exec_lo, exec_lo, s3
	s_cbranch_execnz .LBB114_981
; %bb.982:
	s_or_b32 exec_lo, exec_lo, s3
.LBB114_983:
	s_delay_alu instid0(SALU_CYCLE_1)
	s_or_b32 exec_lo, exec_lo, s2
	v_mov_b32_e32 v109, 0
	ds_load_b64 v[109:110], v109 offset:392
	s_waitcnt lgkmcnt(0)
	v_mul_f64 v[103:104], v[103:104], v[109:110]
	scratch_store_b64 off, v[103:104], off offset:392
.LBB114_984:
	s_or_b32 exec_lo, exec_lo, s1
	scratch_load_b64 v[103:104], off, off offset:400
	s_mov_b32 s1, exec_lo
	s_waitcnt vmcnt(0)
	ds_store_b64 v106, v[103:104]
	s_waitcnt lgkmcnt(0)
	s_waitcnt_vscnt null, 0x0
	s_barrier
	buffer_gl0_inv
	v_cmpx_ne_u32_e32 50, v0
	s_cbranch_execz .LBB114_994
; %bb.985:
	v_cmp_ne_u32_e32 vcc_lo, 1, v108
	s_cbranch_vccnz .LBB114_987
; %bb.986:
	scratch_load_b64 v[103:104], v107, off
	ds_load_b64 v[107:108], v106
	s_waitcnt vmcnt(0) lgkmcnt(0)
	v_mul_f64 v[103:104], v[103:104], v[107:108]
	s_cbranch_execz .LBB114_988
	s_branch .LBB114_989
.LBB114_987:
                                        ; implicit-def: $vgpr103_vgpr104
.LBB114_988:
	ds_load_b64 v[103:104], v106
.LBB114_989:
	s_and_saveexec_b32 s2, s0
	s_cbranch_execz .LBB114_993
; %bb.990:
	v_add_nc_u32_e32 v106, 0x1a8, v105
	v_add3_u32 v105, 0, v105, 8
	s_mov_b32 s0, 0
.LBB114_991:                            ; =>This Inner Loop Header: Depth=1
	scratch_load_b64 v[107:108], v105, off
	ds_load_b64 v[109:110], v106
	v_add_nc_u32_e32 v0, 1, v0
	v_add_nc_u32_e32 v106, 8, v106
	;; [unrolled: 1-line block ×3, first 2 shown]
	s_delay_alu instid0(VALU_DEP_3)
	v_cmp_lt_u32_e32 vcc_lo, 48, v0
	s_or_b32 s0, vcc_lo, s0
	s_waitcnt vmcnt(0) lgkmcnt(0)
	v_fma_f64 v[103:104], v[107:108], v[109:110], v[103:104]
	s_and_not1_b32 exec_lo, exec_lo, s0
	s_cbranch_execnz .LBB114_991
; %bb.992:
	s_or_b32 exec_lo, exec_lo, s0
.LBB114_993:
	s_delay_alu instid0(SALU_CYCLE_1)
	s_or_b32 exec_lo, exec_lo, s2
	v_mov_b32_e32 v0, 0
	ds_load_b64 v[105:106], v0 offset:400
	s_waitcnt lgkmcnt(0)
	v_mul_f64 v[103:104], v[103:104], v[105:106]
	scratch_store_b64 off, v[103:104], off offset:400
.LBB114_994:
	s_or_b32 exec_lo, exec_lo, s1
.LBB114_995:
	s_clause 0xb
	scratch_load_b128 v[103:106], off, off
	scratch_load_b128 v[107:110], off, off offset:16
	scratch_load_b128 v[111:114], off, off offset:32
	;; [unrolled: 1-line block ×11, first 2 shown]
	s_waitcnt vmcnt(11)
	s_clause 0x1
	global_store_b64 v[15:16], v[103:104], off
	global_store_b64 v[7:8], v[105:106], off
	s_waitcnt vmcnt(10)
	s_clause 0x1
	global_store_b64 v[45:46], v[107:108], off
	global_store_b64 v[43:44], v[109:110], off
	;; [unrolled: 4-line block ×4, first 2 shown]
	scratch_load_b128 v[33:36], off, off offset:256
	s_waitcnt vmcnt(8)
	s_clause 0x1
	global_store_b64 v[29:30], v[119:120], off
	global_store_b64 v[19:20], v[121:122], off
	s_waitcnt vmcnt(7)
	s_clause 0x1
	global_store_b64 v[25:26], v[123:124], off
	global_store_b64 v[23:24], v[125:126], off
	;; [unrolled: 4-line block ×4, first 2 shown]
	s_clause 0xc
	scratch_load_b128 v[103:106], off, off offset:160
	scratch_load_b128 v[43:46], off, off offset:192
	scratch_load_b128 v[107:110], off, off offset:208
	scratch_load_b128 v[111:114], off, off offset:224
	scratch_load_b128 v[27:30], off, off offset:272
	scratch_load_b128 v[115:118], off, off offset:288
	scratch_load_b128 v[119:122], off, off offset:304
	scratch_load_b128 v[23:26], off, off offset:320
	scratch_load_b128 v[15:18], off, off offset:336
	scratch_load_b128 v[7:10], off, off offset:352
	scratch_load_b128 v[123:126], off, off offset:368
	scratch_load_b128 v[11:14], off, off offset:384
	scratch_load_b64 v[19:20], off, off offset:400
	s_waitcnt vmcnt(17)
	s_clause 0x1
	global_store_b64 v[3:4], v[135:136], off
	global_store_b64 v[5:6], v[137:138], off
	s_waitcnt vmcnt(16)
	s_clause 0x1
	global_store_b64 v[21:22], v[139:140], off
	global_store_b64 v[31:32], v[141:142], off
	;; [unrolled: 4-line block ×3, first 2 shown]
	global_store_b64 v[47:48], v[143:144], off
	global_store_b64 v[49:50], v[145:146], off
	s_waitcnt vmcnt(11)
	s_clause 0x1
	global_store_b64 v[51:52], v[43:44], off
	global_store_b64 v[53:54], v[45:46], off
	s_waitcnt vmcnt(10)
	s_clause 0x1
	;; [unrolled: 4-line block ×3, first 2 shown]
	global_store_b64 v[59:60], v[111:112], off
	global_store_b64 v[61:62], v[113:114], off
	;; [unrolled: 1-line block ×6, first 2 shown]
	s_waitcnt vmcnt(8)
	s_clause 0x1
	global_store_b64 v[71:72], v[27:28], off
	global_store_b64 v[73:74], v[29:30], off
	s_waitcnt vmcnt(7)
	s_clause 0x1
	global_store_b64 v[75:76], v[115:116], off
	global_store_b64 v[77:78], v[117:118], off
	;; [unrolled: 4-line block ×8, first 2 shown]
	s_waitcnt vmcnt(0)
	global_store_b64 v[1:2], v[19:20], off
.LBB114_996:
	s_endpgm
	.section	.rodata,"a",@progbits
	.p2align	6, 0x0
	.amdhsa_kernel _ZN9rocsolver6v33100L18trti2_kernel_smallILi51EdPKPdEEv13rocblas_fill_17rocblas_diagonal_T1_iil
		.amdhsa_group_segment_fixed_size 824
		.amdhsa_private_segment_fixed_size 416
		.amdhsa_kernarg_size 32
		.amdhsa_user_sgpr_count 15
		.amdhsa_user_sgpr_dispatch_ptr 0
		.amdhsa_user_sgpr_queue_ptr 0
		.amdhsa_user_sgpr_kernarg_segment_ptr 1
		.amdhsa_user_sgpr_dispatch_id 0
		.amdhsa_user_sgpr_private_segment_size 0
		.amdhsa_wavefront_size32 1
		.amdhsa_uses_dynamic_stack 0
		.amdhsa_enable_private_segment 1
		.amdhsa_system_sgpr_workgroup_id_x 1
		.amdhsa_system_sgpr_workgroup_id_y 0
		.amdhsa_system_sgpr_workgroup_id_z 0
		.amdhsa_system_sgpr_workgroup_info 0
		.amdhsa_system_vgpr_workitem_id 0
		.amdhsa_next_free_vgpr 152
		.amdhsa_next_free_sgpr 23
		.amdhsa_reserve_vcc 1
		.amdhsa_float_round_mode_32 0
		.amdhsa_float_round_mode_16_64 0
		.amdhsa_float_denorm_mode_32 3
		.amdhsa_float_denorm_mode_16_64 3
		.amdhsa_dx10_clamp 1
		.amdhsa_ieee_mode 1
		.amdhsa_fp16_overflow 0
		.amdhsa_workgroup_processor_mode 1
		.amdhsa_memory_ordered 1
		.amdhsa_forward_progress 0
		.amdhsa_shared_vgpr_count 0
		.amdhsa_exception_fp_ieee_invalid_op 0
		.amdhsa_exception_fp_denorm_src 0
		.amdhsa_exception_fp_ieee_div_zero 0
		.amdhsa_exception_fp_ieee_overflow 0
		.amdhsa_exception_fp_ieee_underflow 0
		.amdhsa_exception_fp_ieee_inexact 0
		.amdhsa_exception_int_div_zero 0
	.end_amdhsa_kernel
	.section	.text._ZN9rocsolver6v33100L18trti2_kernel_smallILi51EdPKPdEEv13rocblas_fill_17rocblas_diagonal_T1_iil,"axG",@progbits,_ZN9rocsolver6v33100L18trti2_kernel_smallILi51EdPKPdEEv13rocblas_fill_17rocblas_diagonal_T1_iil,comdat
.Lfunc_end114:
	.size	_ZN9rocsolver6v33100L18trti2_kernel_smallILi51EdPKPdEEv13rocblas_fill_17rocblas_diagonal_T1_iil, .Lfunc_end114-_ZN9rocsolver6v33100L18trti2_kernel_smallILi51EdPKPdEEv13rocblas_fill_17rocblas_diagonal_T1_iil
                                        ; -- End function
	.section	.AMDGPU.csdata,"",@progbits
; Kernel info:
; codeLenInByte = 27900
; NumSgprs: 25
; NumVgprs: 152
; ScratchSize: 416
; MemoryBound: 0
; FloatMode: 240
; IeeeMode: 1
; LDSByteSize: 824 bytes/workgroup (compile time only)
; SGPRBlocks: 3
; VGPRBlocks: 18
; NumSGPRsForWavesPerEU: 25
; NumVGPRsForWavesPerEU: 152
; Occupancy: 9
; WaveLimiterHint : 1
; COMPUTE_PGM_RSRC2:SCRATCH_EN: 1
; COMPUTE_PGM_RSRC2:USER_SGPR: 15
; COMPUTE_PGM_RSRC2:TRAP_HANDLER: 0
; COMPUTE_PGM_RSRC2:TGID_X_EN: 1
; COMPUTE_PGM_RSRC2:TGID_Y_EN: 0
; COMPUTE_PGM_RSRC2:TGID_Z_EN: 0
; COMPUTE_PGM_RSRC2:TIDIG_COMP_CNT: 0
	.section	.text._ZN9rocsolver6v33100L18trti2_kernel_smallILi52EdPKPdEEv13rocblas_fill_17rocblas_diagonal_T1_iil,"axG",@progbits,_ZN9rocsolver6v33100L18trti2_kernel_smallILi52EdPKPdEEv13rocblas_fill_17rocblas_diagonal_T1_iil,comdat
	.globl	_ZN9rocsolver6v33100L18trti2_kernel_smallILi52EdPKPdEEv13rocblas_fill_17rocblas_diagonal_T1_iil ; -- Begin function _ZN9rocsolver6v33100L18trti2_kernel_smallILi52EdPKPdEEv13rocblas_fill_17rocblas_diagonal_T1_iil
	.p2align	8
	.type	_ZN9rocsolver6v33100L18trti2_kernel_smallILi52EdPKPdEEv13rocblas_fill_17rocblas_diagonal_T1_iil,@function
_ZN9rocsolver6v33100L18trti2_kernel_smallILi52EdPKPdEEv13rocblas_fill_17rocblas_diagonal_T1_iil: ; @_ZN9rocsolver6v33100L18trti2_kernel_smallILi52EdPKPdEEv13rocblas_fill_17rocblas_diagonal_T1_iil
; %bb.0:
	s_mov_b32 s2, exec_lo
	v_cmpx_gt_u32_e32 52, v0
	s_cbranch_execz .LBB115_1016
; %bb.1:
	s_clause 0x1
	s_load_b64 s[4:5], s[0:1], 0x10
	s_load_b128 s[0:3], s[0:1], 0x0
	s_mov_b32 s6, s15
	s_ashr_i32 s7, s15, 31
	v_lshlrev_b32_e32 v107, 3, v0
	s_lshl_b64 s[8:9], s[6:7], 3
	s_waitcnt lgkmcnt(0)
	s_ashr_i32 s7, s4, 31
	s_add_u32 s2, s2, s8
	s_addc_u32 s3, s3, s9
	v_add3_u32 v1, s5, s5, v0
	s_load_b64 s[2:3], s[2:3], 0x0
	s_mov_b32 s6, s4
	s_mov_b32 s8, s5
	s_lshl_b64 s[6:7], s[6:7], 3
	v_ashrrev_i32_e32 v2, 31, v1
	v_add_nc_u32_e32 v3, s5, v1
	s_delay_alu instid0(VALU_DEP_2) | instskip(NEXT) | instid1(VALU_DEP_2)
	v_lshlrev_b64 v[1:2], 3, v[1:2]
	v_ashrrev_i32_e32 v4, 31, v3
	v_add_nc_u32_e32 v5, s5, v3
	s_delay_alu instid0(VALU_DEP_2) | instskip(NEXT) | instid1(VALU_DEP_2)
	v_lshlrev_b64 v[3:4], 3, v[3:4]
	v_ashrrev_i32_e32 v6, 31, v5
	s_waitcnt lgkmcnt(0)
	s_add_u32 s2, s2, s6
	s_addc_u32 s3, s3, s7
	v_add_co_u32 v27, s4, s2, v107
	s_ashr_i32 s9, s5, 31
	v_add_co_u32 v13, vcc_lo, s2, v1
	v_add_co_ci_u32_e64 v28, null, s3, 0, s4
	v_add_nc_u32_e32 v1, s5, v5
	s_lshl_b64 s[6:7], s[8:9], 3
	v_add_co_ci_u32_e32 v14, vcc_lo, s3, v2, vcc_lo
	v_add_co_u32 v31, vcc_lo, v27, s6
	v_add_co_ci_u32_e32 v32, vcc_lo, s7, v28, vcc_lo
	v_ashrrev_i32_e32 v2, 31, v1
	v_add_co_u32 v7, vcc_lo, s2, v3
	v_add_nc_u32_e32 v3, s5, v1
	v_add_co_ci_u32_e32 v8, vcc_lo, s3, v4, vcc_lo
	s_delay_alu instid0(VALU_DEP_4)
	v_lshlrev_b64 v[1:2], 3, v[1:2]
	s_clause 0x3
	global_load_b64 v[19:20], v107, s[2:3]
	global_load_b64 v[21:22], v[31:32], off
	global_load_b64 v[41:42], v[13:14], off
	;; [unrolled: 1-line block ×3, first 2 shown]
	v_add_nc_u32_e32 v15, s5, v3
	v_ashrrev_i32_e32 v4, 31, v3
	v_lshlrev_b64 v[9:10], 3, v[5:6]
	s_cmpk_lg_i32 s1, 0x84
	v_add_co_u32 v5, vcc_lo, s2, v1
	v_ashrrev_i32_e32 v16, 31, v15
	v_add_co_ci_u32_e32 v6, vcc_lo, s3, v2, vcc_lo
	v_lshlrev_b64 v[1:2], 3, v[3:4]
	v_add_co_u32 v17, vcc_lo, s2, v9
	s_delay_alu instid0(VALU_DEP_4) | instskip(SKIP_1) | instid1(VALU_DEP_4)
	v_lshlrev_b64 v[3:4], 3, v[15:16]
	v_add_co_ci_u32_e32 v18, vcc_lo, s3, v10, vcc_lo
	v_add_co_u32 v11, vcc_lo, s2, v1
	v_add_co_ci_u32_e32 v12, vcc_lo, s3, v2, vcc_lo
	s_delay_alu instid0(VALU_DEP_4)
	v_add_co_u32 v3, vcc_lo, s2, v3
	v_add_co_ci_u32_e32 v4, vcc_lo, s3, v4, vcc_lo
	s_clause 0x3
	global_load_b64 v[49:50], v[5:6], off
	global_load_b64 v[47:48], v[17:18], off
	;; [unrolled: 1-line block ×4, first 2 shown]
	v_add_nc_u32_e32 v1, s5, v15
	s_delay_alu instid0(VALU_DEP_1) | instskip(SKIP_1) | instid1(VALU_DEP_2)
	v_add_nc_u32_e32 v9, s5, v1
	v_ashrrev_i32_e32 v2, 31, v1
	v_add_nc_u32_e32 v15, s5, v9
	s_delay_alu instid0(VALU_DEP_2) | instskip(SKIP_1) | instid1(VALU_DEP_3)
	v_lshlrev_b64 v[1:2], 3, v[1:2]
	v_ashrrev_i32_e32 v10, 31, v9
	v_add_nc_u32_e32 v23, s5, v15
	v_ashrrev_i32_e32 v16, 31, v15
	s_delay_alu instid0(VALU_DEP_4) | instskip(SKIP_1) | instid1(VALU_DEP_4)
	v_add_co_u32 v45, vcc_lo, s2, v1
	v_add_co_ci_u32_e32 v46, vcc_lo, s3, v2, vcc_lo
	v_add_nc_u32_e32 v25, s5, v23
	v_lshlrev_b64 v[1:2], 3, v[9:10]
	v_ashrrev_i32_e32 v24, 31, v23
	v_lshlrev_b64 v[9:10], 3, v[15:16]
	global_load_b64 v[55:56], v[45:46], off
	v_add_nc_u32_e32 v29, s5, v25
	v_ashrrev_i32_e32 v26, 31, v25
	v_add_co_u32 v39, vcc_lo, s2, v1
	v_add_co_ci_u32_e32 v40, vcc_lo, s3, v2, vcc_lo
	s_delay_alu instid0(VALU_DEP_4)
	v_add_nc_u32_e32 v63, s5, v29
	v_lshlrev_b64 v[1:2], 3, v[23:24]
	v_add_co_u32 v33, vcc_lo, s2, v9
	global_load_b64 v[57:58], v[39:40], off
	v_add_nc_u32_e32 v65, s5, v63
	v_ashrrev_i32_e32 v30, 31, v29
	v_add_co_ci_u32_e32 v34, vcc_lo, s3, v10, vcc_lo
	v_lshlrev_b64 v[9:10], 3, v[25:26]
	s_delay_alu instid0(VALU_DEP_4) | instskip(SKIP_2) | instid1(VALU_DEP_3)
	v_add_nc_u32_e32 v67, s5, v65
	v_add_co_u32 v37, vcc_lo, s2, v1
	v_add_co_ci_u32_e32 v38, vcc_lo, s3, v2, vcc_lo
	v_add_nc_u32_e32 v69, s5, v67
	v_lshlrev_b64 v[1:2], 3, v[29:30]
	v_ashrrev_i32_e32 v64, 31, v63
	v_add_co_u32 v35, vcc_lo, s2, v9
	s_delay_alu instid0(VALU_DEP_4) | instskip(SKIP_3) | instid1(VALU_DEP_4)
	v_add_nc_u32_e32 v75, s5, v69
	v_ashrrev_i32_e32 v66, 31, v65
	v_add_co_ci_u32_e32 v36, vcc_lo, s3, v10, vcc_lo
	v_lshlrev_b64 v[9:10], 3, v[63:64]
	v_add_nc_u32_e32 v77, s5, v75
	v_add_co_u32 v25, vcc_lo, s2, v1
	v_add_co_ci_u32_e32 v26, vcc_lo, s3, v2, vcc_lo
	s_delay_alu instid0(VALU_DEP_3)
	v_add_nc_u32_e32 v79, s5, v77
	v_lshlrev_b64 v[1:2], 3, v[65:66]
	v_ashrrev_i32_e32 v68, 31, v67
	s_clause 0x1
	global_load_b64 v[59:60], v[33:34], off
	global_load_b64 v[61:62], v[37:38], off
	v_add_co_u32 v29, vcc_lo, s2, v9
	v_add_nc_u32_e32 v81, s5, v79
	v_add_co_ci_u32_e32 v30, vcc_lo, s3, v10, vcc_lo
	v_lshlrev_b64 v[9:10], 3, v[67:68]
	v_add_co_u32 v23, vcc_lo, s2, v1
	s_delay_alu instid0(VALU_DEP_4)
	v_add_nc_u32_e32 v83, s5, v81
	v_ashrrev_i32_e32 v70, 31, v69
	v_add_co_ci_u32_e32 v24, vcc_lo, s3, v2, vcc_lo
	s_clause 0x1
	global_load_b64 v[63:64], v[35:36], off
	global_load_b64 v[65:66], v[25:26], off
	v_add_nc_u32_e32 v85, s5, v83
	v_lshlrev_b64 v[67:68], 3, v[69:70]
	v_ashrrev_i32_e32 v76, 31, v75
	v_ashrrev_i32_e32 v78, 31, v77
	;; [unrolled: 1-line block ×3, first 2 shown]
	v_add_nc_u32_e32 v87, s5, v85
	v_ashrrev_i32_e32 v82, 31, v81
	v_ashrrev_i32_e32 v84, 31, v83
	;; [unrolled: 1-line block ×3, first 2 shown]
	s_delay_alu instid0(VALU_DEP_4) | instskip(SKIP_1) | instid1(VALU_DEP_2)
	v_add_nc_u32_e32 v89, s5, v87
	v_ashrrev_i32_e32 v88, 31, v87
	v_add_nc_u32_e32 v91, s5, v89
	v_ashrrev_i32_e32 v90, 31, v89
	s_delay_alu instid0(VALU_DEP_2) | instskip(SKIP_1) | instid1(VALU_DEP_2)
	v_add_nc_u32_e32 v93, s5, v91
	v_ashrrev_i32_e32 v92, 31, v91
	v_add_nc_u32_e32 v95, s5, v93
	v_ashrrev_i32_e32 v94, 31, v93
	s_delay_alu instid0(VALU_DEP_2) | instskip(SKIP_1) | instid1(VALU_DEP_2)
	v_add_nc_u32_e32 v97, s5, v95
	v_ashrrev_i32_e32 v96, 31, v95
	v_add_nc_u32_e32 v99, s5, v97
	v_ashrrev_i32_e32 v98, 31, v97
	s_delay_alu instid0(VALU_DEP_2) | instskip(SKIP_1) | instid1(VALU_DEP_2)
	v_add_nc_u32_e32 v101, s5, v99
	v_ashrrev_i32_e32 v100, 31, v99
	v_add_nc_u32_e32 v103, s5, v101
	v_ashrrev_i32_e32 v102, 31, v101
	s_delay_alu instid0(VALU_DEP_2) | instskip(SKIP_1) | instid1(VALU_DEP_2)
	v_add_nc_u32_e32 v105, s5, v103
	v_ashrrev_i32_e32 v104, 31, v103
	v_add_nc_u32_e32 v108, s5, v105
	v_ashrrev_i32_e32 v106, 31, v105
	s_delay_alu instid0(VALU_DEP_2) | instskip(NEXT) | instid1(VALU_DEP_1)
	v_add_nc_u32_e32 v114, s5, v108
	v_add_nc_u32_e32 v120, s5, v114
	v_ashrrev_i32_e32 v115, 31, v114
	s_delay_alu instid0(VALU_DEP_2) | instskip(SKIP_1) | instid1(VALU_DEP_2)
	v_add_nc_u32_e32 v122, s5, v120
	v_ashrrev_i32_e32 v121, 31, v120
	v_add_nc_u32_e32 v124, s5, v122
	v_ashrrev_i32_e32 v123, 31, v122
	s_delay_alu instid0(VALU_DEP_2) | instskip(SKIP_1) | instid1(VALU_DEP_2)
	v_add_nc_u32_e32 v126, s5, v124
	v_ashrrev_i32_e32 v125, 31, v124
	;; [unrolled: 5-line block ×8, first 2 shown]
	v_ashrrev_i32_e32 v16, 31, v15
	s_delay_alu instid0(VALU_DEP_1) | instskip(SKIP_2) | instid1(VALU_DEP_3)
	v_lshlrev_b64 v[1:2], 3, v[15:16]
	v_add_co_u32 v15, vcc_lo, s2, v9
	v_add_co_ci_u32_e32 v16, vcc_lo, s3, v10, vcc_lo
	v_add_co_u32 v1, vcc_lo, s2, v1
	s_delay_alu instid0(VALU_DEP_4)
	v_add_co_ci_u32_e32 v2, vcc_lo, s3, v2, vcc_lo
	v_add_co_u32 v9, vcc_lo, s2, v67
	v_add_co_ci_u32_e32 v10, vcc_lo, s3, v68, vcc_lo
	global_load_b64 v[110:111], v[1:2], off
	s_waitcnt vmcnt(13)
	scratch_store_b128 off, v[19:22], off
	s_waitcnt vmcnt(11)
	scratch_store_b128 off, v[41:44], off offset:16
	s_clause 0x3
	global_load_b64 v[67:68], v[29:30], off
	global_load_b64 v[69:70], v[23:24], off
	;; [unrolled: 1-line block ×4, first 2 shown]
	v_lshlrev_b64 v[19:20], 3, v[75:76]
	v_lshlrev_b64 v[21:22], 3, v[77:78]
	;; [unrolled: 1-line block ×4, first 2 shown]
	s_delay_alu instid0(VALU_DEP_4)
	v_add_co_u32 v19, vcc_lo, s2, v19
	v_add_co_ci_u32_e32 v20, vcc_lo, s3, v20, vcc_lo
	v_add_co_u32 v21, vcc_lo, s2, v21
	v_add_co_ci_u32_e32 v22, vcc_lo, s3, v22, vcc_lo
	;; [unrolled: 2-line block ×4, first 2 shown]
	s_waitcnt vmcnt(13)
	scratch_store_b128 off, v[47:50], off offset:32
	s_clause 0x1
	global_load_b64 v[75:76], v[19:20], off
	global_load_b64 v[77:78], v[21:22], off
	s_waitcnt vmcnt(13)
	scratch_store_b128 off, v[51:54], off offset:48
	s_clause 0x1
	global_load_b64 v[79:80], v[41:42], off
	global_load_b64 v[81:82], v[43:44], off
	v_lshlrev_b64 v[47:48], 3, v[83:84]
	v_lshlrev_b64 v[49:50], 3, v[85:86]
	;; [unrolled: 1-line block ×4, first 2 shown]
	s_delay_alu instid0(VALU_DEP_4)
	v_add_co_u32 v47, vcc_lo, s2, v47
	v_add_co_ci_u32_e32 v48, vcc_lo, s3, v48, vcc_lo
	v_add_co_u32 v49, vcc_lo, s2, v49
	v_add_co_ci_u32_e32 v50, vcc_lo, s3, v50, vcc_lo
	;; [unrolled: 2-line block ×4, first 2 shown]
	s_waitcnt vmcnt(13)
	scratch_store_b128 off, v[55:58], off offset:64
	v_lshlrev_b64 v[55:56], 3, v[91:92]
	v_lshlrev_b64 v[57:58], 3, v[93:94]
	s_clause 0x2
	global_load_b64 v[83:84], v[47:48], off
	global_load_b64 v[85:86], v[49:50], off
	;; [unrolled: 1-line block ×3, first 2 shown]
	v_add_co_u32 v55, vcc_lo, s2, v55
	v_add_co_ci_u32_e32 v56, vcc_lo, s3, v56, vcc_lo
	v_add_co_u32 v57, vcc_lo, s2, v57
	v_add_co_ci_u32_e32 v58, vcc_lo, s3, v58, vcc_lo
	s_waitcnt vmcnt(14)
	scratch_store_b128 off, v[59:62], off offset:80
	v_lshlrev_b64 v[59:60], 3, v[95:96]
	v_lshlrev_b64 v[61:62], 3, v[97:98]
	s_delay_alu instid0(VALU_DEP_2) | instskip(NEXT) | instid1(VALU_DEP_3)
	v_add_co_u32 v59, vcc_lo, s2, v59
	v_add_co_ci_u32_e32 v60, vcc_lo, s3, v60, vcc_lo
	s_delay_alu instid0(VALU_DEP_3) | instskip(NEXT) | instid1(VALU_DEP_4)
	v_add_co_u32 v61, vcc_lo, s2, v61
	v_add_co_ci_u32_e32 v62, vcc_lo, s3, v62, vcc_lo
	s_waitcnt vmcnt(12)
	scratch_store_b128 off, v[63:66], off offset:96
	v_lshlrev_b64 v[63:64], 3, v[99:100]
	s_clause 0x2
	global_load_b64 v[89:90], v[53:54], off
	global_load_b64 v[91:92], v[55:56], off
	;; [unrolled: 1-line block ×3, first 2 shown]
	v_lshlrev_b64 v[65:66], 3, v[101:102]
	global_load_b64 v[95:96], v[59:60], off
	v_add_co_u32 v63, vcc_lo, s2, v63
	v_add_co_ci_u32_e32 v64, vcc_lo, s3, v64, vcc_lo
	v_add_co_u32 v65, vcc_lo, s2, v65
	v_add_co_ci_u32_e32 v66, vcc_lo, s3, v66, vcc_lo
	s_waitcnt vmcnt(13)
	scratch_store_b128 off, v[67:70], off offset:112
	v_lshlrev_b64 v[67:68], 3, v[103:104]
	s_waitcnt vmcnt(11)
	scratch_store_b128 off, v[71:74], off offset:128
	s_clause 0x2
	global_load_b64 v[97:98], v[61:62], off
	global_load_b64 v[99:100], v[63:64], off
	;; [unrolled: 1-line block ×3, first 2 shown]
	v_lshlrev_b64 v[69:70], 3, v[105:106]
	v_mov_b32_e32 v105, 0
	v_ashrrev_i32_e32 v109, 31, v108
	v_add_co_u32 v67, vcc_lo, s2, v67
	v_add_co_ci_u32_e32 v68, vcc_lo, s3, v68, vcc_lo
	s_delay_alu instid0(VALU_DEP_3) | instskip(SKIP_3) | instid1(VALU_DEP_4)
	v_lshlrev_b64 v[71:72], 3, v[108:109]
	v_add_co_u32 v69, vcc_lo, s2, v69
	v_lshlrev_b64 v[73:74], 3, v[114:115]
	v_add_co_ci_u32_e32 v70, vcc_lo, s3, v70, vcc_lo
	v_add_co_u32 v71, vcc_lo, s2, v71
	v_add_co_ci_u32_e32 v72, vcc_lo, s3, v72, vcc_lo
	s_delay_alu instid0(VALU_DEP_4)
	v_add_co_u32 v73, vcc_lo, s2, v73
	v_add_co_ci_u32_e32 v74, vcc_lo, s3, v74, vcc_lo
	s_clause 0x1
	global_load_b64 v[112:113], v[67:68], off
	global_load_b64 v[114:115], v[69:70], off
	s_waitcnt vmcnt(14)
	scratch_store_b128 off, v[75:78], off offset:144
	s_waitcnt vmcnt(12)
	scratch_store_b128 off, v[79:82], off offset:160
	s_clause 0x1
	global_load_b64 v[116:117], v[71:72], off
	global_load_b64 v[118:119], v[73:74], off
	v_lshlrev_b64 v[75:76], 3, v[120:121]
	v_lshlrev_b64 v[77:78], 3, v[122:123]
	;; [unrolled: 1-line block ×5, first 2 shown]
	v_mov_b32_e32 v106, 0xbff00000
	v_add_co_u32 v75, vcc_lo, s2, v75
	v_add_co_ci_u32_e32 v76, vcc_lo, s3, v76, vcc_lo
	v_add_co_u32 v77, vcc_lo, s2, v77
	v_add_co_ci_u32_e32 v78, vcc_lo, s3, v78, vcc_lo
	;; [unrolled: 2-line block ×4, first 2 shown]
	global_load_b64 v[120:121], v[75:76], off
	s_waitcnt vmcnt(13)
	scratch_store_b128 off, v[83:86], off offset:176
	v_lshlrev_b64 v[83:84], 3, v[128:129]
	v_lshlrev_b64 v[85:86], 3, v[130:131]
	s_waitcnt vmcnt(11)
	scratch_store_b128 off, v[87:90], off offset:192
	s_waitcnt vmcnt(9)
	scratch_store_b128 off, v[91:94], off offset:208
	v_add_co_u32 v83, vcc_lo, s2, v83
	v_add_co_ci_u32_e32 v84, vcc_lo, s3, v84, vcc_lo
	v_add_co_u32 v85, vcc_lo, s2, v85
	v_lshlrev_b64 v[89:90], 3, v[134:135]
	v_add_co_ci_u32_e32 v86, vcc_lo, s3, v86, vcc_lo
	v_add_co_u32 v87, vcc_lo, s2, v103
	v_lshlrev_b64 v[91:92], 3, v[136:137]
	v_add_co_ci_u32_e32 v88, vcc_lo, s3, v104, vcc_lo
	v_add_co_u32 v89, vcc_lo, s2, v89
	v_lshlrev_b64 v[93:94], 3, v[138:139]
	v_add_co_ci_u32_e32 v90, vcc_lo, s3, v90, vcc_lo
	v_add_co_u32 v91, vcc_lo, s2, v91
	v_lshlrev_b64 v[103:104], 3, v[140:141]
	v_add_co_ci_u32_e32 v92, vcc_lo, s3, v92, vcc_lo
	s_clause 0x3
	global_load_b64 v[122:123], v[77:78], off
	global_load_b64 v[124:125], v[79:80], off
	;; [unrolled: 1-line block ×4, first 2 shown]
	v_add_co_u32 v93, vcc_lo, s2, v93
	v_add_co_ci_u32_e32 v94, vcc_lo, s3, v94, vcc_lo
	s_waitcnt vmcnt(11)
	scratch_store_b128 off, v[95:98], off offset:224
	s_waitcnt vmcnt(9)
	scratch_store_b128 off, v[99:102], off offset:240
	v_lshlrev_b64 v[97:98], 3, v[142:143]
	v_add_co_u32 v95, vcc_lo, s2, v103
	v_lshlrev_b64 v[99:100], 3, v[144:145]
	v_add_co_ci_u32_e32 v96, vcc_lo, s3, v104, vcc_lo
	s_delay_alu instid0(VALU_DEP_4)
	v_add_co_u32 v97, vcc_lo, s2, v97
	v_add_co_ci_u32_e32 v98, vcc_lo, s3, v98, vcc_lo
	v_lshlrev_b64 v[103:104], 3, v[146:147]
	v_add_co_u32 v101, vcc_lo, s2, v99
	v_add_co_ci_u32_e32 v102, vcc_lo, s3, v100, vcc_lo
	v_lshlrev_b64 v[99:100], 3, v[148:149]
	s_delay_alu instid0(VALU_DEP_4)
	v_add_co_u32 v103, vcc_lo, s2, v103
	v_add_co_ci_u32_e32 v104, vcc_lo, s3, v104, vcc_lo
	s_clause 0x3
	global_load_b64 v[130:131], v[85:86], off
	global_load_b64 v[132:133], v[87:88], off
	;; [unrolled: 1-line block ×4, first 2 shown]
	v_add_co_u32 v99, vcc_lo, s2, v99
	v_add_co_ci_u32_e32 v100, vcc_lo, s3, v100, vcc_lo
	s_waitcnt vmcnt(11)
	scratch_store_b128 off, v[112:115], off offset:256
	s_clause 0x2
	global_load_b64 v[138:139], v[93:94], off
	global_load_b64 v[112:113], v[95:96], off
	;; [unrolled: 1-line block ×3, first 2 shown]
	s_waitcnt vmcnt(12)
	scratch_store_b128 off, v[116:119], off offset:272
	s_clause 0x2
	global_load_b64 v[116:117], v[101:102], off
	global_load_b64 v[118:119], v[103:104], off
	;; [unrolled: 1-line block ×3, first 2 shown]
	s_cselect_b32 s2, -1, 0
	s_cmpk_eq_i32 s1, 0x84
	s_waitcnt vmcnt(13)
	scratch_store_b128 off, v[120:123], off offset:288
	s_waitcnt vmcnt(11)
	scratch_store_b128 off, v[124:127], off offset:304
	;; [unrolled: 2-line block ×8, first 2 shown]
	s_cbranch_scc1 .LBB115_3
; %bb.2:
	scratch_load_b64 v[105:106], v107, off
	s_waitcnt vmcnt(0)
	v_div_scale_f64 v[108:109], null, v[105:106], v[105:106], 1.0
	v_div_scale_f64 v[114:115], vcc_lo, 1.0, v[105:106], 1.0
	s_delay_alu instid0(VALU_DEP_2) | instskip(SKIP_2) | instid1(VALU_DEP_1)
	v_rcp_f64_e32 v[110:111], v[108:109]
	s_waitcnt_depctr 0xfff
	v_fma_f64 v[112:113], -v[108:109], v[110:111], 1.0
	v_fma_f64 v[110:111], v[110:111], v[112:113], v[110:111]
	s_delay_alu instid0(VALU_DEP_1) | instskip(NEXT) | instid1(VALU_DEP_1)
	v_fma_f64 v[112:113], -v[108:109], v[110:111], 1.0
	v_fma_f64 v[110:111], v[110:111], v[112:113], v[110:111]
	s_delay_alu instid0(VALU_DEP_1) | instskip(NEXT) | instid1(VALU_DEP_1)
	v_mul_f64 v[112:113], v[114:115], v[110:111]
	v_fma_f64 v[108:109], -v[108:109], v[112:113], v[114:115]
	s_delay_alu instid0(VALU_DEP_1) | instskip(NEXT) | instid1(VALU_DEP_1)
	v_div_fmas_f64 v[108:109], v[108:109], v[110:111], v[112:113]
	v_div_fixup_f64 v[105:106], v[108:109], v[105:106], 1.0
	scratch_store_b64 v107, v[105:106], off
	v_xor_b32_e32 v106, 0x80000000, v106
.LBB115_3:
	v_add_nc_u32_e32 v108, 0x1a0, v107
	v_add_nc_u32_e32 v109, 0, v107
	s_cmpk_eq_i32 s0, 0x79
	s_mov_b32 s0, -1
	ds_store_b64 v107, v[105:106]
	s_cbranch_scc1 .LBB115_509
; %bb.4:
	scratch_load_b64 v[105:106], off, off offset:400
	v_cmp_eq_u32_e64 s0, 51, v0
	s_movk_i32 s1, 0x50
	s_movk_i32 s3, 0x60
	;; [unrolled: 1-line block ×20, first 2 shown]
	s_waitcnt vmcnt(0)
	ds_store_b64 v108, v[105:106]
	s_waitcnt lgkmcnt(0)
	s_waitcnt_vscnt null, 0x0
	s_barrier
	buffer_gl0_inv
	s_and_saveexec_b32 s22, s0
	s_cbranch_execz .LBB115_10
; %bb.5:
	s_and_b32 vcc_lo, exec_lo, s2
	s_cbranch_vccz .LBB115_7
; %bb.6:
	scratch_load_b64 v[105:106], v109, off
	ds_load_b64 v[110:111], v108
	s_waitcnt vmcnt(0) lgkmcnt(0)
	v_mul_f64 v[105:106], v[105:106], v[110:111]
	s_cbranch_execz .LBB115_8
	s_branch .LBB115_9
.LBB115_7:
                                        ; implicit-def: $vgpr105_vgpr106
.LBB115_8:
	ds_load_b64 v[105:106], v108
.LBB115_9:
	v_mov_b32_e32 v110, 0
	ds_load_b64 v[110:111], v110 offset:400
	s_waitcnt lgkmcnt(0)
	v_mul_f64 v[105:106], v[105:106], v[110:111]
	scratch_store_b64 off, v[105:106], off offset:400
.LBB115_10:
	s_or_b32 exec_lo, exec_lo, s22
	scratch_load_b64 v[105:106], off, off offset:392
	v_add_nc_u32_e64 v110, 0, 16
	v_add_nc_u32_e64 v111, 0, 32
	;; [unrolled: 1-line block ×24, first 2 shown]
	v_cmp_lt_u32_e64 s1, 49, v0
	s_waitcnt vmcnt(0)
	ds_store_b64 v108, v[105:106]
	s_waitcnt lgkmcnt(0)
	s_waitcnt_vscnt null, 0x0
	s_barrier
	buffer_gl0_inv
	s_and_saveexec_b32 s3, s1
	s_cbranch_execz .LBB115_18
; %bb.11:
	s_and_not1_b32 vcc_lo, exec_lo, s2
	s_cbranch_vccnz .LBB115_13
; %bb.12:
	scratch_load_b64 v[105:106], v109, off
	ds_load_b64 v[134:135], v108
	s_waitcnt vmcnt(0) lgkmcnt(0)
	v_mul_f64 v[105:106], v[105:106], v[134:135]
	s_cbranch_execz .LBB115_14
	s_branch .LBB115_15
.LBB115_13:
                                        ; implicit-def: $vgpr105_vgpr106
.LBB115_14:
	ds_load_b64 v[105:106], v108
.LBB115_15:
	s_and_saveexec_b32 s4, s0
	s_cbranch_execz .LBB115_17
; %bb.16:
	scratch_load_b64 v[134:135], off, off offset:400
	v_mov_b32_e32 v136, 0
	ds_load_b64 v[136:137], v136 offset:816
	s_waitcnt vmcnt(0) lgkmcnt(0)
	v_fma_f64 v[105:106], v[134:135], v[136:137], v[105:106]
.LBB115_17:
	s_or_b32 exec_lo, exec_lo, s4
	v_mov_b32_e32 v134, 0
	ds_load_b64 v[134:135], v134 offset:392
	s_waitcnt lgkmcnt(0)
	v_mul_f64 v[105:106], v[105:106], v[134:135]
	scratch_store_b64 off, v[105:106], off offset:392
.LBB115_18:
	s_or_b32 exec_lo, exec_lo, s3
	scratch_load_b64 v[105:106], off, off offset:384
	v_cmp_lt_u32_e64 s0, 48, v0
	s_waitcnt vmcnt(0)
	ds_store_b64 v108, v[105:106]
	s_waitcnt lgkmcnt(0)
	s_waitcnt_vscnt null, 0x0
	s_barrier
	buffer_gl0_inv
	s_and_saveexec_b32 s3, s0
	s_cbranch_execz .LBB115_28
; %bb.19:
	s_and_not1_b32 vcc_lo, exec_lo, s2
	s_cbranch_vccnz .LBB115_21
; %bb.20:
	scratch_load_b64 v[105:106], v109, off
	ds_load_b64 v[134:135], v108
	s_waitcnt vmcnt(0) lgkmcnt(0)
	v_mul_f64 v[105:106], v[105:106], v[134:135]
	s_cbranch_execz .LBB115_22
	s_branch .LBB115_23
.LBB115_21:
                                        ; implicit-def: $vgpr105_vgpr106
.LBB115_22:
	ds_load_b64 v[105:106], v108
.LBB115_23:
	s_and_saveexec_b32 s4, s1
	s_cbranch_execz .LBB115_27
; %bb.24:
	v_mov_b32_e32 v134, 0
	v_subrev_nc_u32_e32 v135, 49, v0
	s_movk_i32 s5, 0x328
	s_mov_b32 s1, 0
	s_delay_alu instid0(VALU_DEP_2)
	v_add_nc_u32_e32 v134, 0x188, v134
.LBB115_25:                             ; =>This Inner Loop Header: Depth=1
	scratch_load_b64 v[136:137], v134, off
	v_dual_mov_b32 v138, s5 :: v_dual_add_nc_u32 v135, -1, v135
	v_add_nc_u32_e32 v134, 8, v134
	s_add_i32 s5, s5, 8
	ds_load_b64 v[138:139], v138
	v_cmp_eq_u32_e32 vcc_lo, 0, v135
	s_or_b32 s1, vcc_lo, s1
	s_waitcnt vmcnt(0) lgkmcnt(0)
	v_fma_f64 v[105:106], v[136:137], v[138:139], v[105:106]
	s_and_not1_b32 exec_lo, exec_lo, s1
	s_cbranch_execnz .LBB115_25
; %bb.26:
	s_or_b32 exec_lo, exec_lo, s1
.LBB115_27:
	s_delay_alu instid0(SALU_CYCLE_1)
	s_or_b32 exec_lo, exec_lo, s4
	v_mov_b32_e32 v134, 0
	ds_load_b64 v[134:135], v134 offset:384
	s_waitcnt lgkmcnt(0)
	v_mul_f64 v[105:106], v[105:106], v[134:135]
	scratch_store_b64 off, v[105:106], off offset:384
.LBB115_28:
	s_or_b32 exec_lo, exec_lo, s3
	scratch_load_b64 v[105:106], off, off offset:376
	v_cmp_lt_u32_e64 s1, 47, v0
	s_waitcnt vmcnt(0)
	ds_store_b64 v108, v[105:106]
	s_waitcnt lgkmcnt(0)
	s_waitcnt_vscnt null, 0x0
	s_barrier
	buffer_gl0_inv
	s_and_saveexec_b32 s3, s1
	s_cbranch_execz .LBB115_38
; %bb.29:
	s_and_not1_b32 vcc_lo, exec_lo, s2
	s_cbranch_vccnz .LBB115_31
; %bb.30:
	scratch_load_b64 v[105:106], v109, off
	ds_load_b64 v[134:135], v108
	s_waitcnt vmcnt(0) lgkmcnt(0)
	v_mul_f64 v[105:106], v[105:106], v[134:135]
	s_cbranch_execz .LBB115_32
	s_branch .LBB115_33
.LBB115_31:
                                        ; implicit-def: $vgpr105_vgpr106
.LBB115_32:
	ds_load_b64 v[105:106], v108
.LBB115_33:
	s_and_saveexec_b32 s4, s0
	s_cbranch_execz .LBB115_37
; %bb.34:
	v_subrev_nc_u32_e32 v134, 48, v0
	s_movk_i32 s5, 0x320
	s_mov_b32 s0, 0
.LBB115_35:                             ; =>This Inner Loop Header: Depth=1
	scratch_load_b64 v[135:136], v133, off
	v_dual_mov_b32 v137, s5 :: v_dual_add_nc_u32 v134, -1, v134
	v_add_nc_u32_e32 v133, 8, v133
	s_add_i32 s5, s5, 8
	ds_load_b64 v[137:138], v137
	v_cmp_eq_u32_e32 vcc_lo, 0, v134
	s_or_b32 s0, vcc_lo, s0
	s_waitcnt vmcnt(0) lgkmcnt(0)
	v_fma_f64 v[105:106], v[135:136], v[137:138], v[105:106]
	s_and_not1_b32 exec_lo, exec_lo, s0
	s_cbranch_execnz .LBB115_35
; %bb.36:
	s_or_b32 exec_lo, exec_lo, s0
.LBB115_37:
	s_delay_alu instid0(SALU_CYCLE_1)
	s_or_b32 exec_lo, exec_lo, s4
	v_mov_b32_e32 v133, 0
	ds_load_b64 v[133:134], v133 offset:376
	s_waitcnt lgkmcnt(0)
	v_mul_f64 v[105:106], v[105:106], v[133:134]
	scratch_store_b64 off, v[105:106], off offset:376
.LBB115_38:
	s_or_b32 exec_lo, exec_lo, s3
	scratch_load_b64 v[105:106], off, off offset:368
	v_cmp_lt_u32_e64 s0, 46, v0
	s_waitcnt vmcnt(0)
	ds_store_b64 v108, v[105:106]
	s_waitcnt lgkmcnt(0)
	s_waitcnt_vscnt null, 0x0
	s_barrier
	buffer_gl0_inv
	s_and_saveexec_b32 s3, s0
	s_cbranch_execz .LBB115_48
; %bb.39:
	s_and_not1_b32 vcc_lo, exec_lo, s2
	s_cbranch_vccnz .LBB115_41
; %bb.40:
	scratch_load_b64 v[105:106], v109, off
	ds_load_b64 v[133:134], v108
	s_waitcnt vmcnt(0) lgkmcnt(0)
	v_mul_f64 v[105:106], v[105:106], v[133:134]
	s_cbranch_execz .LBB115_42
	s_branch .LBB115_43
.LBB115_41:
                                        ; implicit-def: $vgpr105_vgpr106
.LBB115_42:
	ds_load_b64 v[105:106], v108
.LBB115_43:
	s_and_saveexec_b32 s4, s1
	s_cbranch_execz .LBB115_47
; %bb.44:
	v_mov_b32_e32 v133, 0
	v_subrev_nc_u32_e32 v134, 47, v0
	s_movk_i32 s5, 0x318
	s_mov_b32 s1, 0
	s_delay_alu instid0(VALU_DEP_2)
	v_add_nc_u32_e32 v133, 0x178, v133
.LBB115_45:                             ; =>This Inner Loop Header: Depth=1
	scratch_load_b64 v[135:136], v133, off
	v_dual_mov_b32 v137, s5 :: v_dual_add_nc_u32 v134, -1, v134
	v_add_nc_u32_e32 v133, 8, v133
	s_add_i32 s5, s5, 8
	ds_load_b64 v[137:138], v137
	v_cmp_eq_u32_e32 vcc_lo, 0, v134
	s_or_b32 s1, vcc_lo, s1
	s_waitcnt vmcnt(0) lgkmcnt(0)
	v_fma_f64 v[105:106], v[135:136], v[137:138], v[105:106]
	s_and_not1_b32 exec_lo, exec_lo, s1
	s_cbranch_execnz .LBB115_45
; %bb.46:
	s_or_b32 exec_lo, exec_lo, s1
.LBB115_47:
	s_delay_alu instid0(SALU_CYCLE_1)
	s_or_b32 exec_lo, exec_lo, s4
	v_mov_b32_e32 v133, 0
	ds_load_b64 v[133:134], v133 offset:368
	s_waitcnt lgkmcnt(0)
	v_mul_f64 v[105:106], v[105:106], v[133:134]
	scratch_store_b64 off, v[105:106], off offset:368
.LBB115_48:
	s_or_b32 exec_lo, exec_lo, s3
	scratch_load_b64 v[105:106], off, off offset:360
	v_cmp_lt_u32_e64 s1, 45, v0
	s_waitcnt vmcnt(0)
	ds_store_b64 v108, v[105:106]
	s_waitcnt lgkmcnt(0)
	s_waitcnt_vscnt null, 0x0
	s_barrier
	buffer_gl0_inv
	s_and_saveexec_b32 s3, s1
	s_cbranch_execz .LBB115_58
; %bb.49:
	s_and_not1_b32 vcc_lo, exec_lo, s2
	s_cbranch_vccnz .LBB115_51
; %bb.50:
	scratch_load_b64 v[105:106], v109, off
	ds_load_b64 v[133:134], v108
	s_waitcnt vmcnt(0) lgkmcnt(0)
	v_mul_f64 v[105:106], v[105:106], v[133:134]
	s_cbranch_execz .LBB115_52
	s_branch .LBB115_53
.LBB115_51:
                                        ; implicit-def: $vgpr105_vgpr106
.LBB115_52:
	ds_load_b64 v[105:106], v108
.LBB115_53:
	s_and_saveexec_b32 s4, s0
	s_cbranch_execz .LBB115_57
; %bb.54:
	v_subrev_nc_u32_e32 v133, 46, v0
	s_movk_i32 s5, 0x310
	s_mov_b32 s0, 0
.LBB115_55:                             ; =>This Inner Loop Header: Depth=1
	scratch_load_b64 v[134:135], v132, off
	v_dual_mov_b32 v136, s5 :: v_dual_add_nc_u32 v133, -1, v133
	v_add_nc_u32_e32 v132, 8, v132
	s_add_i32 s5, s5, 8
	ds_load_b64 v[136:137], v136
	v_cmp_eq_u32_e32 vcc_lo, 0, v133
	s_or_b32 s0, vcc_lo, s0
	s_waitcnt vmcnt(0) lgkmcnt(0)
	v_fma_f64 v[105:106], v[134:135], v[136:137], v[105:106]
	s_and_not1_b32 exec_lo, exec_lo, s0
	s_cbranch_execnz .LBB115_55
; %bb.56:
	s_or_b32 exec_lo, exec_lo, s0
.LBB115_57:
	s_delay_alu instid0(SALU_CYCLE_1)
	s_or_b32 exec_lo, exec_lo, s4
	v_mov_b32_e32 v132, 0
	ds_load_b64 v[132:133], v132 offset:360
	s_waitcnt lgkmcnt(0)
	v_mul_f64 v[105:106], v[105:106], v[132:133]
	scratch_store_b64 off, v[105:106], off offset:360
.LBB115_58:
	s_or_b32 exec_lo, exec_lo, s3
	scratch_load_b64 v[105:106], off, off offset:352
	v_cmp_lt_u32_e64 s0, 44, v0
	s_waitcnt vmcnt(0)
	ds_store_b64 v108, v[105:106]
	s_waitcnt lgkmcnt(0)
	s_waitcnt_vscnt null, 0x0
	s_barrier
	buffer_gl0_inv
	s_and_saveexec_b32 s3, s0
	s_cbranch_execz .LBB115_68
; %bb.59:
	s_and_not1_b32 vcc_lo, exec_lo, s2
	s_cbranch_vccnz .LBB115_61
; %bb.60:
	scratch_load_b64 v[105:106], v109, off
	ds_load_b64 v[132:133], v108
	s_waitcnt vmcnt(0) lgkmcnt(0)
	v_mul_f64 v[105:106], v[105:106], v[132:133]
	s_cbranch_execz .LBB115_62
	s_branch .LBB115_63
.LBB115_61:
                                        ; implicit-def: $vgpr105_vgpr106
.LBB115_62:
	ds_load_b64 v[105:106], v108
.LBB115_63:
	s_and_saveexec_b32 s4, s1
	s_cbranch_execz .LBB115_67
; %bb.64:
	v_mov_b32_e32 v132, 0
	v_subrev_nc_u32_e32 v133, 45, v0
	s_movk_i32 s5, 0x308
	s_mov_b32 s1, 0
	s_delay_alu instid0(VALU_DEP_2)
	v_add_nc_u32_e32 v132, 0x168, v132
.LBB115_65:                             ; =>This Inner Loop Header: Depth=1
	scratch_load_b64 v[134:135], v132, off
	v_dual_mov_b32 v136, s5 :: v_dual_add_nc_u32 v133, -1, v133
	v_add_nc_u32_e32 v132, 8, v132
	s_add_i32 s5, s5, 8
	ds_load_b64 v[136:137], v136
	v_cmp_eq_u32_e32 vcc_lo, 0, v133
	s_or_b32 s1, vcc_lo, s1
	s_waitcnt vmcnt(0) lgkmcnt(0)
	v_fma_f64 v[105:106], v[134:135], v[136:137], v[105:106]
	s_and_not1_b32 exec_lo, exec_lo, s1
	s_cbranch_execnz .LBB115_65
; %bb.66:
	s_or_b32 exec_lo, exec_lo, s1
.LBB115_67:
	s_delay_alu instid0(SALU_CYCLE_1)
	s_or_b32 exec_lo, exec_lo, s4
	v_mov_b32_e32 v132, 0
	ds_load_b64 v[132:133], v132 offset:352
	s_waitcnt lgkmcnt(0)
	v_mul_f64 v[105:106], v[105:106], v[132:133]
	scratch_store_b64 off, v[105:106], off offset:352
.LBB115_68:
	s_or_b32 exec_lo, exec_lo, s3
	scratch_load_b64 v[105:106], off, off offset:344
	v_cmp_lt_u32_e64 s1, 43, v0
	s_waitcnt vmcnt(0)
	ds_store_b64 v108, v[105:106]
	s_waitcnt lgkmcnt(0)
	s_waitcnt_vscnt null, 0x0
	s_barrier
	buffer_gl0_inv
	s_and_saveexec_b32 s3, s1
	s_cbranch_execz .LBB115_78
; %bb.69:
	s_and_not1_b32 vcc_lo, exec_lo, s2
	s_cbranch_vccnz .LBB115_71
; %bb.70:
	scratch_load_b64 v[105:106], v109, off
	ds_load_b64 v[132:133], v108
	s_waitcnt vmcnt(0) lgkmcnt(0)
	v_mul_f64 v[105:106], v[105:106], v[132:133]
	s_cbranch_execz .LBB115_72
	s_branch .LBB115_73
.LBB115_71:
                                        ; implicit-def: $vgpr105_vgpr106
.LBB115_72:
	ds_load_b64 v[105:106], v108
.LBB115_73:
	s_and_saveexec_b32 s4, s0
	s_cbranch_execz .LBB115_77
; %bb.74:
	v_subrev_nc_u32_e32 v132, 44, v0
	s_movk_i32 s5, 0x300
	s_mov_b32 s0, 0
.LBB115_75:                             ; =>This Inner Loop Header: Depth=1
	scratch_load_b64 v[133:134], v131, off
	v_dual_mov_b32 v135, s5 :: v_dual_add_nc_u32 v132, -1, v132
	v_add_nc_u32_e32 v131, 8, v131
	s_add_i32 s5, s5, 8
	ds_load_b64 v[135:136], v135
	v_cmp_eq_u32_e32 vcc_lo, 0, v132
	s_or_b32 s0, vcc_lo, s0
	s_waitcnt vmcnt(0) lgkmcnt(0)
	v_fma_f64 v[105:106], v[133:134], v[135:136], v[105:106]
	s_and_not1_b32 exec_lo, exec_lo, s0
	s_cbranch_execnz .LBB115_75
; %bb.76:
	s_or_b32 exec_lo, exec_lo, s0
.LBB115_77:
	s_delay_alu instid0(SALU_CYCLE_1)
	s_or_b32 exec_lo, exec_lo, s4
	v_mov_b32_e32 v131, 0
	ds_load_b64 v[131:132], v131 offset:344
	s_waitcnt lgkmcnt(0)
	v_mul_f64 v[105:106], v[105:106], v[131:132]
	scratch_store_b64 off, v[105:106], off offset:344
.LBB115_78:
	s_or_b32 exec_lo, exec_lo, s3
	scratch_load_b64 v[105:106], off, off offset:336
	v_cmp_lt_u32_e64 s0, 42, v0
	s_waitcnt vmcnt(0)
	ds_store_b64 v108, v[105:106]
	s_waitcnt lgkmcnt(0)
	s_waitcnt_vscnt null, 0x0
	s_barrier
	buffer_gl0_inv
	s_and_saveexec_b32 s3, s0
	s_cbranch_execz .LBB115_88
; %bb.79:
	s_and_not1_b32 vcc_lo, exec_lo, s2
	s_cbranch_vccnz .LBB115_81
; %bb.80:
	scratch_load_b64 v[105:106], v109, off
	ds_load_b64 v[131:132], v108
	s_waitcnt vmcnt(0) lgkmcnt(0)
	v_mul_f64 v[105:106], v[105:106], v[131:132]
	s_cbranch_execz .LBB115_82
	s_branch .LBB115_83
.LBB115_81:
                                        ; implicit-def: $vgpr105_vgpr106
.LBB115_82:
	ds_load_b64 v[105:106], v108
.LBB115_83:
	s_and_saveexec_b32 s4, s1
	s_cbranch_execz .LBB115_87
; %bb.84:
	v_mov_b32_e32 v131, 0
	v_subrev_nc_u32_e32 v132, 43, v0
	s_movk_i32 s5, 0x2f8
	s_mov_b32 s1, 0
	s_delay_alu instid0(VALU_DEP_2)
	v_add_nc_u32_e32 v131, 0x158, v131
.LBB115_85:                             ; =>This Inner Loop Header: Depth=1
	scratch_load_b64 v[133:134], v131, off
	v_dual_mov_b32 v135, s5 :: v_dual_add_nc_u32 v132, -1, v132
	v_add_nc_u32_e32 v131, 8, v131
	s_add_i32 s5, s5, 8
	ds_load_b64 v[135:136], v135
	v_cmp_eq_u32_e32 vcc_lo, 0, v132
	s_or_b32 s1, vcc_lo, s1
	s_waitcnt vmcnt(0) lgkmcnt(0)
	v_fma_f64 v[105:106], v[133:134], v[135:136], v[105:106]
	s_and_not1_b32 exec_lo, exec_lo, s1
	s_cbranch_execnz .LBB115_85
; %bb.86:
	s_or_b32 exec_lo, exec_lo, s1
.LBB115_87:
	s_delay_alu instid0(SALU_CYCLE_1)
	s_or_b32 exec_lo, exec_lo, s4
	v_mov_b32_e32 v131, 0
	ds_load_b64 v[131:132], v131 offset:336
	s_waitcnt lgkmcnt(0)
	v_mul_f64 v[105:106], v[105:106], v[131:132]
	scratch_store_b64 off, v[105:106], off offset:336
.LBB115_88:
	s_or_b32 exec_lo, exec_lo, s3
	scratch_load_b64 v[105:106], off, off offset:328
	v_cmp_lt_u32_e64 s1, 41, v0
	s_waitcnt vmcnt(0)
	ds_store_b64 v108, v[105:106]
	s_waitcnt lgkmcnt(0)
	s_waitcnt_vscnt null, 0x0
	s_barrier
	buffer_gl0_inv
	s_and_saveexec_b32 s3, s1
	s_cbranch_execz .LBB115_98
; %bb.89:
	s_and_not1_b32 vcc_lo, exec_lo, s2
	s_cbranch_vccnz .LBB115_91
; %bb.90:
	scratch_load_b64 v[105:106], v109, off
	ds_load_b64 v[131:132], v108
	s_waitcnt vmcnt(0) lgkmcnt(0)
	v_mul_f64 v[105:106], v[105:106], v[131:132]
	s_cbranch_execz .LBB115_92
	s_branch .LBB115_93
.LBB115_91:
                                        ; implicit-def: $vgpr105_vgpr106
.LBB115_92:
	ds_load_b64 v[105:106], v108
.LBB115_93:
	s_and_saveexec_b32 s4, s0
	s_cbranch_execz .LBB115_97
; %bb.94:
	v_subrev_nc_u32_e32 v131, 42, v0
	s_movk_i32 s5, 0x2f0
	s_mov_b32 s0, 0
.LBB115_95:                             ; =>This Inner Loop Header: Depth=1
	scratch_load_b64 v[132:133], v130, off
	v_dual_mov_b32 v134, s5 :: v_dual_add_nc_u32 v131, -1, v131
	v_add_nc_u32_e32 v130, 8, v130
	s_add_i32 s5, s5, 8
	ds_load_b64 v[134:135], v134
	v_cmp_eq_u32_e32 vcc_lo, 0, v131
	s_or_b32 s0, vcc_lo, s0
	s_waitcnt vmcnt(0) lgkmcnt(0)
	v_fma_f64 v[105:106], v[132:133], v[134:135], v[105:106]
	s_and_not1_b32 exec_lo, exec_lo, s0
	s_cbranch_execnz .LBB115_95
; %bb.96:
	s_or_b32 exec_lo, exec_lo, s0
.LBB115_97:
	s_delay_alu instid0(SALU_CYCLE_1)
	s_or_b32 exec_lo, exec_lo, s4
	v_mov_b32_e32 v130, 0
	ds_load_b64 v[130:131], v130 offset:328
	s_waitcnt lgkmcnt(0)
	v_mul_f64 v[105:106], v[105:106], v[130:131]
	scratch_store_b64 off, v[105:106], off offset:328
.LBB115_98:
	s_or_b32 exec_lo, exec_lo, s3
	scratch_load_b64 v[105:106], off, off offset:320
	v_cmp_lt_u32_e64 s0, 40, v0
	s_waitcnt vmcnt(0)
	ds_store_b64 v108, v[105:106]
	s_waitcnt lgkmcnt(0)
	s_waitcnt_vscnt null, 0x0
	s_barrier
	buffer_gl0_inv
	s_and_saveexec_b32 s3, s0
	s_cbranch_execz .LBB115_108
; %bb.99:
	s_and_not1_b32 vcc_lo, exec_lo, s2
	s_cbranch_vccnz .LBB115_101
; %bb.100:
	scratch_load_b64 v[105:106], v109, off
	ds_load_b64 v[130:131], v108
	s_waitcnt vmcnt(0) lgkmcnt(0)
	v_mul_f64 v[105:106], v[105:106], v[130:131]
	s_cbranch_execz .LBB115_102
	s_branch .LBB115_103
.LBB115_101:
                                        ; implicit-def: $vgpr105_vgpr106
.LBB115_102:
	ds_load_b64 v[105:106], v108
.LBB115_103:
	s_and_saveexec_b32 s4, s1
	s_cbranch_execz .LBB115_107
; %bb.104:
	v_mov_b32_e32 v130, 0
	v_subrev_nc_u32_e32 v131, 41, v0
	s_movk_i32 s5, 0x2e8
	s_mov_b32 s1, 0
	s_delay_alu instid0(VALU_DEP_2)
	v_add_nc_u32_e32 v130, 0x148, v130
.LBB115_105:                            ; =>This Inner Loop Header: Depth=1
	scratch_load_b64 v[132:133], v130, off
	v_dual_mov_b32 v134, s5 :: v_dual_add_nc_u32 v131, -1, v131
	v_add_nc_u32_e32 v130, 8, v130
	s_add_i32 s5, s5, 8
	ds_load_b64 v[134:135], v134
	v_cmp_eq_u32_e32 vcc_lo, 0, v131
	s_or_b32 s1, vcc_lo, s1
	s_waitcnt vmcnt(0) lgkmcnt(0)
	v_fma_f64 v[105:106], v[132:133], v[134:135], v[105:106]
	s_and_not1_b32 exec_lo, exec_lo, s1
	s_cbranch_execnz .LBB115_105
; %bb.106:
	s_or_b32 exec_lo, exec_lo, s1
.LBB115_107:
	s_delay_alu instid0(SALU_CYCLE_1)
	s_or_b32 exec_lo, exec_lo, s4
	v_mov_b32_e32 v130, 0
	ds_load_b64 v[130:131], v130 offset:320
	s_waitcnt lgkmcnt(0)
	v_mul_f64 v[105:106], v[105:106], v[130:131]
	scratch_store_b64 off, v[105:106], off offset:320
.LBB115_108:
	s_or_b32 exec_lo, exec_lo, s3
	scratch_load_b64 v[105:106], off, off offset:312
	v_cmp_lt_u32_e64 s1, 39, v0
	s_waitcnt vmcnt(0)
	ds_store_b64 v108, v[105:106]
	s_waitcnt lgkmcnt(0)
	s_waitcnt_vscnt null, 0x0
	s_barrier
	buffer_gl0_inv
	s_and_saveexec_b32 s3, s1
	s_cbranch_execz .LBB115_118
; %bb.109:
	s_and_not1_b32 vcc_lo, exec_lo, s2
	s_cbranch_vccnz .LBB115_111
; %bb.110:
	scratch_load_b64 v[105:106], v109, off
	ds_load_b64 v[130:131], v108
	s_waitcnt vmcnt(0) lgkmcnt(0)
	v_mul_f64 v[105:106], v[105:106], v[130:131]
	s_cbranch_execz .LBB115_112
	s_branch .LBB115_113
.LBB115_111:
                                        ; implicit-def: $vgpr105_vgpr106
.LBB115_112:
	ds_load_b64 v[105:106], v108
.LBB115_113:
	s_and_saveexec_b32 s4, s0
	s_cbranch_execz .LBB115_117
; %bb.114:
	v_subrev_nc_u32_e32 v130, 40, v0
	s_movk_i32 s5, 0x2e0
	s_mov_b32 s0, 0
.LBB115_115:                            ; =>This Inner Loop Header: Depth=1
	scratch_load_b64 v[131:132], v129, off
	v_dual_mov_b32 v133, s5 :: v_dual_add_nc_u32 v130, -1, v130
	v_add_nc_u32_e32 v129, 8, v129
	s_add_i32 s5, s5, 8
	ds_load_b64 v[133:134], v133
	v_cmp_eq_u32_e32 vcc_lo, 0, v130
	s_or_b32 s0, vcc_lo, s0
	s_waitcnt vmcnt(0) lgkmcnt(0)
	v_fma_f64 v[105:106], v[131:132], v[133:134], v[105:106]
	s_and_not1_b32 exec_lo, exec_lo, s0
	s_cbranch_execnz .LBB115_115
; %bb.116:
	s_or_b32 exec_lo, exec_lo, s0
.LBB115_117:
	s_delay_alu instid0(SALU_CYCLE_1)
	s_or_b32 exec_lo, exec_lo, s4
	v_mov_b32_e32 v129, 0
	ds_load_b64 v[129:130], v129 offset:312
	s_waitcnt lgkmcnt(0)
	v_mul_f64 v[105:106], v[105:106], v[129:130]
	scratch_store_b64 off, v[105:106], off offset:312
.LBB115_118:
	s_or_b32 exec_lo, exec_lo, s3
	scratch_load_b64 v[105:106], off, off offset:304
	v_cmp_lt_u32_e64 s0, 38, v0
	s_waitcnt vmcnt(0)
	ds_store_b64 v108, v[105:106]
	s_waitcnt lgkmcnt(0)
	s_waitcnt_vscnt null, 0x0
	s_barrier
	buffer_gl0_inv
	s_and_saveexec_b32 s3, s0
	s_cbranch_execz .LBB115_128
; %bb.119:
	s_and_not1_b32 vcc_lo, exec_lo, s2
	s_cbranch_vccnz .LBB115_121
; %bb.120:
	scratch_load_b64 v[105:106], v109, off
	ds_load_b64 v[129:130], v108
	s_waitcnt vmcnt(0) lgkmcnt(0)
	v_mul_f64 v[105:106], v[105:106], v[129:130]
	s_cbranch_execz .LBB115_122
	s_branch .LBB115_123
.LBB115_121:
                                        ; implicit-def: $vgpr105_vgpr106
.LBB115_122:
	ds_load_b64 v[105:106], v108
.LBB115_123:
	s_and_saveexec_b32 s4, s1
	s_cbranch_execz .LBB115_127
; %bb.124:
	v_mov_b32_e32 v129, 0
	v_subrev_nc_u32_e32 v130, 39, v0
	s_movk_i32 s5, 0x2d8
	s_mov_b32 s1, 0
	s_delay_alu instid0(VALU_DEP_2)
	v_add_nc_u32_e32 v129, 0x138, v129
.LBB115_125:                            ; =>This Inner Loop Header: Depth=1
	scratch_load_b64 v[131:132], v129, off
	v_dual_mov_b32 v133, s5 :: v_dual_add_nc_u32 v130, -1, v130
	v_add_nc_u32_e32 v129, 8, v129
	s_add_i32 s5, s5, 8
	ds_load_b64 v[133:134], v133
	v_cmp_eq_u32_e32 vcc_lo, 0, v130
	s_or_b32 s1, vcc_lo, s1
	s_waitcnt vmcnt(0) lgkmcnt(0)
	v_fma_f64 v[105:106], v[131:132], v[133:134], v[105:106]
	s_and_not1_b32 exec_lo, exec_lo, s1
	s_cbranch_execnz .LBB115_125
; %bb.126:
	s_or_b32 exec_lo, exec_lo, s1
.LBB115_127:
	s_delay_alu instid0(SALU_CYCLE_1)
	s_or_b32 exec_lo, exec_lo, s4
	v_mov_b32_e32 v129, 0
	ds_load_b64 v[129:130], v129 offset:304
	s_waitcnt lgkmcnt(0)
	v_mul_f64 v[105:106], v[105:106], v[129:130]
	scratch_store_b64 off, v[105:106], off offset:304
.LBB115_128:
	s_or_b32 exec_lo, exec_lo, s3
	scratch_load_b64 v[105:106], off, off offset:296
	v_cmp_lt_u32_e64 s1, 37, v0
	s_waitcnt vmcnt(0)
	ds_store_b64 v108, v[105:106]
	s_waitcnt lgkmcnt(0)
	s_waitcnt_vscnt null, 0x0
	s_barrier
	buffer_gl0_inv
	s_and_saveexec_b32 s3, s1
	s_cbranch_execz .LBB115_138
; %bb.129:
	s_and_not1_b32 vcc_lo, exec_lo, s2
	s_cbranch_vccnz .LBB115_131
; %bb.130:
	scratch_load_b64 v[105:106], v109, off
	ds_load_b64 v[129:130], v108
	s_waitcnt vmcnt(0) lgkmcnt(0)
	v_mul_f64 v[105:106], v[105:106], v[129:130]
	s_cbranch_execz .LBB115_132
	s_branch .LBB115_133
.LBB115_131:
                                        ; implicit-def: $vgpr105_vgpr106
.LBB115_132:
	ds_load_b64 v[105:106], v108
.LBB115_133:
	s_and_saveexec_b32 s4, s0
	s_cbranch_execz .LBB115_137
; %bb.134:
	v_subrev_nc_u32_e32 v129, 38, v0
	s_movk_i32 s5, 0x2d0
	s_mov_b32 s0, 0
.LBB115_135:                            ; =>This Inner Loop Header: Depth=1
	scratch_load_b64 v[130:131], v128, off
	v_dual_mov_b32 v132, s5 :: v_dual_add_nc_u32 v129, -1, v129
	v_add_nc_u32_e32 v128, 8, v128
	s_add_i32 s5, s5, 8
	ds_load_b64 v[132:133], v132
	v_cmp_eq_u32_e32 vcc_lo, 0, v129
	s_or_b32 s0, vcc_lo, s0
	s_waitcnt vmcnt(0) lgkmcnt(0)
	v_fma_f64 v[105:106], v[130:131], v[132:133], v[105:106]
	s_and_not1_b32 exec_lo, exec_lo, s0
	s_cbranch_execnz .LBB115_135
; %bb.136:
	s_or_b32 exec_lo, exec_lo, s0
.LBB115_137:
	s_delay_alu instid0(SALU_CYCLE_1)
	s_or_b32 exec_lo, exec_lo, s4
	v_mov_b32_e32 v128, 0
	ds_load_b64 v[128:129], v128 offset:296
	s_waitcnt lgkmcnt(0)
	v_mul_f64 v[105:106], v[105:106], v[128:129]
	scratch_store_b64 off, v[105:106], off offset:296
.LBB115_138:
	s_or_b32 exec_lo, exec_lo, s3
	scratch_load_b64 v[105:106], off, off offset:288
	v_cmp_lt_u32_e64 s0, 36, v0
	s_waitcnt vmcnt(0)
	ds_store_b64 v108, v[105:106]
	s_waitcnt lgkmcnt(0)
	s_waitcnt_vscnt null, 0x0
	s_barrier
	buffer_gl0_inv
	s_and_saveexec_b32 s3, s0
	s_cbranch_execz .LBB115_148
; %bb.139:
	s_and_not1_b32 vcc_lo, exec_lo, s2
	s_cbranch_vccnz .LBB115_141
; %bb.140:
	scratch_load_b64 v[105:106], v109, off
	ds_load_b64 v[128:129], v108
	s_waitcnt vmcnt(0) lgkmcnt(0)
	v_mul_f64 v[105:106], v[105:106], v[128:129]
	s_cbranch_execz .LBB115_142
	s_branch .LBB115_143
.LBB115_141:
                                        ; implicit-def: $vgpr105_vgpr106
.LBB115_142:
	ds_load_b64 v[105:106], v108
.LBB115_143:
	s_and_saveexec_b32 s4, s1
	s_cbranch_execz .LBB115_147
; %bb.144:
	v_mov_b32_e32 v128, 0
	v_subrev_nc_u32_e32 v129, 37, v0
	s_movk_i32 s5, 0x2c8
	s_mov_b32 s1, 0
	s_delay_alu instid0(VALU_DEP_2)
	v_add_nc_u32_e32 v128, 0x128, v128
.LBB115_145:                            ; =>This Inner Loop Header: Depth=1
	scratch_load_b64 v[130:131], v128, off
	v_dual_mov_b32 v132, s5 :: v_dual_add_nc_u32 v129, -1, v129
	v_add_nc_u32_e32 v128, 8, v128
	s_add_i32 s5, s5, 8
	ds_load_b64 v[132:133], v132
	v_cmp_eq_u32_e32 vcc_lo, 0, v129
	s_or_b32 s1, vcc_lo, s1
	s_waitcnt vmcnt(0) lgkmcnt(0)
	v_fma_f64 v[105:106], v[130:131], v[132:133], v[105:106]
	s_and_not1_b32 exec_lo, exec_lo, s1
	s_cbranch_execnz .LBB115_145
; %bb.146:
	s_or_b32 exec_lo, exec_lo, s1
.LBB115_147:
	s_delay_alu instid0(SALU_CYCLE_1)
	s_or_b32 exec_lo, exec_lo, s4
	v_mov_b32_e32 v128, 0
	ds_load_b64 v[128:129], v128 offset:288
	s_waitcnt lgkmcnt(0)
	v_mul_f64 v[105:106], v[105:106], v[128:129]
	scratch_store_b64 off, v[105:106], off offset:288
.LBB115_148:
	s_or_b32 exec_lo, exec_lo, s3
	scratch_load_b64 v[105:106], off, off offset:280
	v_cmp_lt_u32_e64 s1, 35, v0
	s_waitcnt vmcnt(0)
	ds_store_b64 v108, v[105:106]
	s_waitcnt lgkmcnt(0)
	s_waitcnt_vscnt null, 0x0
	s_barrier
	buffer_gl0_inv
	s_and_saveexec_b32 s3, s1
	s_cbranch_execz .LBB115_158
; %bb.149:
	s_and_not1_b32 vcc_lo, exec_lo, s2
	s_cbranch_vccnz .LBB115_151
; %bb.150:
	scratch_load_b64 v[105:106], v109, off
	ds_load_b64 v[128:129], v108
	s_waitcnt vmcnt(0) lgkmcnt(0)
	v_mul_f64 v[105:106], v[105:106], v[128:129]
	s_cbranch_execz .LBB115_152
	s_branch .LBB115_153
.LBB115_151:
                                        ; implicit-def: $vgpr105_vgpr106
.LBB115_152:
	ds_load_b64 v[105:106], v108
.LBB115_153:
	s_and_saveexec_b32 s4, s0
	s_cbranch_execz .LBB115_157
; %bb.154:
	v_subrev_nc_u32_e32 v128, 36, v0
	s_movk_i32 s5, 0x2c0
	s_mov_b32 s0, 0
.LBB115_155:                            ; =>This Inner Loop Header: Depth=1
	scratch_load_b64 v[129:130], v127, off
	v_dual_mov_b32 v131, s5 :: v_dual_add_nc_u32 v128, -1, v128
	v_add_nc_u32_e32 v127, 8, v127
	s_add_i32 s5, s5, 8
	ds_load_b64 v[131:132], v131
	v_cmp_eq_u32_e32 vcc_lo, 0, v128
	s_or_b32 s0, vcc_lo, s0
	s_waitcnt vmcnt(0) lgkmcnt(0)
	v_fma_f64 v[105:106], v[129:130], v[131:132], v[105:106]
	s_and_not1_b32 exec_lo, exec_lo, s0
	s_cbranch_execnz .LBB115_155
; %bb.156:
	s_or_b32 exec_lo, exec_lo, s0
.LBB115_157:
	s_delay_alu instid0(SALU_CYCLE_1)
	s_or_b32 exec_lo, exec_lo, s4
	v_mov_b32_e32 v127, 0
	ds_load_b64 v[127:128], v127 offset:280
	s_waitcnt lgkmcnt(0)
	v_mul_f64 v[105:106], v[105:106], v[127:128]
	scratch_store_b64 off, v[105:106], off offset:280
.LBB115_158:
	s_or_b32 exec_lo, exec_lo, s3
	scratch_load_b64 v[105:106], off, off offset:272
	v_cmp_lt_u32_e64 s0, 34, v0
	s_waitcnt vmcnt(0)
	ds_store_b64 v108, v[105:106]
	s_waitcnt lgkmcnt(0)
	s_waitcnt_vscnt null, 0x0
	s_barrier
	buffer_gl0_inv
	s_and_saveexec_b32 s3, s0
	s_cbranch_execz .LBB115_168
; %bb.159:
	s_and_not1_b32 vcc_lo, exec_lo, s2
	s_cbranch_vccnz .LBB115_161
; %bb.160:
	scratch_load_b64 v[105:106], v109, off
	ds_load_b64 v[127:128], v108
	s_waitcnt vmcnt(0) lgkmcnt(0)
	v_mul_f64 v[105:106], v[105:106], v[127:128]
	s_cbranch_execz .LBB115_162
	s_branch .LBB115_163
.LBB115_161:
                                        ; implicit-def: $vgpr105_vgpr106
.LBB115_162:
	ds_load_b64 v[105:106], v108
.LBB115_163:
	s_and_saveexec_b32 s4, s1
	s_cbranch_execz .LBB115_167
; %bb.164:
	v_mov_b32_e32 v127, 0
	v_subrev_nc_u32_e32 v128, 35, v0
	s_movk_i32 s5, 0x2b8
	s_mov_b32 s1, 0
	s_delay_alu instid0(VALU_DEP_2)
	v_add_nc_u32_e32 v127, 0x118, v127
.LBB115_165:                            ; =>This Inner Loop Header: Depth=1
	scratch_load_b64 v[129:130], v127, off
	v_dual_mov_b32 v131, s5 :: v_dual_add_nc_u32 v128, -1, v128
	v_add_nc_u32_e32 v127, 8, v127
	s_add_i32 s5, s5, 8
	ds_load_b64 v[131:132], v131
	v_cmp_eq_u32_e32 vcc_lo, 0, v128
	s_or_b32 s1, vcc_lo, s1
	s_waitcnt vmcnt(0) lgkmcnt(0)
	v_fma_f64 v[105:106], v[129:130], v[131:132], v[105:106]
	s_and_not1_b32 exec_lo, exec_lo, s1
	s_cbranch_execnz .LBB115_165
; %bb.166:
	s_or_b32 exec_lo, exec_lo, s1
.LBB115_167:
	s_delay_alu instid0(SALU_CYCLE_1)
	s_or_b32 exec_lo, exec_lo, s4
	v_mov_b32_e32 v127, 0
	ds_load_b64 v[127:128], v127 offset:272
	s_waitcnt lgkmcnt(0)
	v_mul_f64 v[105:106], v[105:106], v[127:128]
	scratch_store_b64 off, v[105:106], off offset:272
.LBB115_168:
	s_or_b32 exec_lo, exec_lo, s3
	scratch_load_b64 v[105:106], off, off offset:264
	v_cmp_lt_u32_e64 s1, 33, v0
	s_waitcnt vmcnt(0)
	ds_store_b64 v108, v[105:106]
	s_waitcnt lgkmcnt(0)
	s_waitcnt_vscnt null, 0x0
	s_barrier
	buffer_gl0_inv
	s_and_saveexec_b32 s3, s1
	s_cbranch_execz .LBB115_178
; %bb.169:
	s_and_not1_b32 vcc_lo, exec_lo, s2
	s_cbranch_vccnz .LBB115_171
; %bb.170:
	scratch_load_b64 v[105:106], v109, off
	ds_load_b64 v[127:128], v108
	s_waitcnt vmcnt(0) lgkmcnt(0)
	v_mul_f64 v[105:106], v[105:106], v[127:128]
	s_cbranch_execz .LBB115_172
	s_branch .LBB115_173
.LBB115_171:
                                        ; implicit-def: $vgpr105_vgpr106
.LBB115_172:
	ds_load_b64 v[105:106], v108
.LBB115_173:
	s_and_saveexec_b32 s4, s0
	s_cbranch_execz .LBB115_177
; %bb.174:
	v_subrev_nc_u32_e32 v127, 34, v0
	s_movk_i32 s5, 0x2b0
	s_mov_b32 s0, 0
.LBB115_175:                            ; =>This Inner Loop Header: Depth=1
	scratch_load_b64 v[128:129], v126, off
	v_dual_mov_b32 v130, s5 :: v_dual_add_nc_u32 v127, -1, v127
	v_add_nc_u32_e32 v126, 8, v126
	s_add_i32 s5, s5, 8
	ds_load_b64 v[130:131], v130
	v_cmp_eq_u32_e32 vcc_lo, 0, v127
	s_or_b32 s0, vcc_lo, s0
	s_waitcnt vmcnt(0) lgkmcnt(0)
	v_fma_f64 v[105:106], v[128:129], v[130:131], v[105:106]
	s_and_not1_b32 exec_lo, exec_lo, s0
	s_cbranch_execnz .LBB115_175
; %bb.176:
	s_or_b32 exec_lo, exec_lo, s0
.LBB115_177:
	s_delay_alu instid0(SALU_CYCLE_1)
	s_or_b32 exec_lo, exec_lo, s4
	v_mov_b32_e32 v126, 0
	ds_load_b64 v[126:127], v126 offset:264
	s_waitcnt lgkmcnt(0)
	v_mul_f64 v[105:106], v[105:106], v[126:127]
	scratch_store_b64 off, v[105:106], off offset:264
.LBB115_178:
	s_or_b32 exec_lo, exec_lo, s3
	scratch_load_b64 v[105:106], off, off offset:256
	v_cmp_lt_u32_e64 s0, 32, v0
	s_waitcnt vmcnt(0)
	ds_store_b64 v108, v[105:106]
	s_waitcnt lgkmcnt(0)
	s_waitcnt_vscnt null, 0x0
	s_barrier
	buffer_gl0_inv
	s_and_saveexec_b32 s3, s0
	s_cbranch_execz .LBB115_188
; %bb.179:
	s_and_not1_b32 vcc_lo, exec_lo, s2
	s_cbranch_vccnz .LBB115_181
; %bb.180:
	scratch_load_b64 v[105:106], v109, off
	ds_load_b64 v[126:127], v108
	s_waitcnt vmcnt(0) lgkmcnt(0)
	v_mul_f64 v[105:106], v[105:106], v[126:127]
	s_cbranch_execz .LBB115_182
	s_branch .LBB115_183
.LBB115_181:
                                        ; implicit-def: $vgpr105_vgpr106
.LBB115_182:
	ds_load_b64 v[105:106], v108
.LBB115_183:
	s_and_saveexec_b32 s4, s1
	s_cbranch_execz .LBB115_187
; %bb.184:
	v_mov_b32_e32 v126, 0
	v_subrev_nc_u32_e32 v127, 33, v0
	s_movk_i32 s5, 0x2a8
	s_mov_b32 s1, 0
	s_delay_alu instid0(VALU_DEP_2)
	v_add_nc_u32_e32 v126, 0x108, v126
.LBB115_185:                            ; =>This Inner Loop Header: Depth=1
	scratch_load_b64 v[128:129], v126, off
	v_dual_mov_b32 v130, s5 :: v_dual_add_nc_u32 v127, -1, v127
	v_add_nc_u32_e32 v126, 8, v126
	s_add_i32 s5, s5, 8
	ds_load_b64 v[130:131], v130
	v_cmp_eq_u32_e32 vcc_lo, 0, v127
	s_or_b32 s1, vcc_lo, s1
	s_waitcnt vmcnt(0) lgkmcnt(0)
	v_fma_f64 v[105:106], v[128:129], v[130:131], v[105:106]
	s_and_not1_b32 exec_lo, exec_lo, s1
	s_cbranch_execnz .LBB115_185
; %bb.186:
	s_or_b32 exec_lo, exec_lo, s1
.LBB115_187:
	s_delay_alu instid0(SALU_CYCLE_1)
	s_or_b32 exec_lo, exec_lo, s4
	v_mov_b32_e32 v126, 0
	ds_load_b64 v[126:127], v126 offset:256
	s_waitcnt lgkmcnt(0)
	v_mul_f64 v[105:106], v[105:106], v[126:127]
	scratch_store_b64 off, v[105:106], off offset:256
.LBB115_188:
	s_or_b32 exec_lo, exec_lo, s3
	scratch_load_b64 v[105:106], off, off offset:248
	v_cmp_lt_u32_e64 s1, 31, v0
	s_waitcnt vmcnt(0)
	ds_store_b64 v108, v[105:106]
	s_waitcnt lgkmcnt(0)
	s_waitcnt_vscnt null, 0x0
	s_barrier
	buffer_gl0_inv
	s_and_saveexec_b32 s3, s1
	s_cbranch_execz .LBB115_198
; %bb.189:
	s_and_not1_b32 vcc_lo, exec_lo, s2
	s_cbranch_vccnz .LBB115_191
; %bb.190:
	scratch_load_b64 v[105:106], v109, off
	ds_load_b64 v[126:127], v108
	s_waitcnt vmcnt(0) lgkmcnt(0)
	v_mul_f64 v[105:106], v[105:106], v[126:127]
	s_cbranch_execz .LBB115_192
	s_branch .LBB115_193
.LBB115_191:
                                        ; implicit-def: $vgpr105_vgpr106
.LBB115_192:
	ds_load_b64 v[105:106], v108
.LBB115_193:
	s_and_saveexec_b32 s4, s0
	s_cbranch_execz .LBB115_197
; %bb.194:
	v_subrev_nc_u32_e32 v126, 32, v0
	s_movk_i32 s5, 0x2a0
	s_mov_b32 s0, 0
.LBB115_195:                            ; =>This Inner Loop Header: Depth=1
	scratch_load_b64 v[127:128], v125, off
	v_dual_mov_b32 v129, s5 :: v_dual_add_nc_u32 v126, -1, v126
	v_add_nc_u32_e32 v125, 8, v125
	s_add_i32 s5, s5, 8
	ds_load_b64 v[129:130], v129
	v_cmp_eq_u32_e32 vcc_lo, 0, v126
	s_or_b32 s0, vcc_lo, s0
	s_waitcnt vmcnt(0) lgkmcnt(0)
	v_fma_f64 v[105:106], v[127:128], v[129:130], v[105:106]
	s_and_not1_b32 exec_lo, exec_lo, s0
	s_cbranch_execnz .LBB115_195
; %bb.196:
	s_or_b32 exec_lo, exec_lo, s0
.LBB115_197:
	s_delay_alu instid0(SALU_CYCLE_1)
	s_or_b32 exec_lo, exec_lo, s4
	v_mov_b32_e32 v125, 0
	ds_load_b64 v[125:126], v125 offset:248
	s_waitcnt lgkmcnt(0)
	v_mul_f64 v[105:106], v[105:106], v[125:126]
	scratch_store_b64 off, v[105:106], off offset:248
.LBB115_198:
	s_or_b32 exec_lo, exec_lo, s3
	scratch_load_b64 v[105:106], off, off offset:240
	v_cmp_lt_u32_e64 s0, 30, v0
	s_waitcnt vmcnt(0)
	ds_store_b64 v108, v[105:106]
	s_waitcnt lgkmcnt(0)
	s_waitcnt_vscnt null, 0x0
	s_barrier
	buffer_gl0_inv
	s_and_saveexec_b32 s3, s0
	s_cbranch_execz .LBB115_208
; %bb.199:
	s_and_not1_b32 vcc_lo, exec_lo, s2
	s_cbranch_vccnz .LBB115_201
; %bb.200:
	scratch_load_b64 v[105:106], v109, off
	ds_load_b64 v[125:126], v108
	s_waitcnt vmcnt(0) lgkmcnt(0)
	v_mul_f64 v[105:106], v[105:106], v[125:126]
	s_cbranch_execz .LBB115_202
	s_branch .LBB115_203
.LBB115_201:
                                        ; implicit-def: $vgpr105_vgpr106
.LBB115_202:
	ds_load_b64 v[105:106], v108
.LBB115_203:
	s_and_saveexec_b32 s4, s1
	s_cbranch_execz .LBB115_207
; %bb.204:
	v_mov_b32_e32 v125, 0
	v_subrev_nc_u32_e32 v126, 31, v0
	s_movk_i32 s5, 0x298
	s_mov_b32 s1, 0
	s_delay_alu instid0(VALU_DEP_2)
	v_add_nc_u32_e32 v125, 0xf8, v125
.LBB115_205:                            ; =>This Inner Loop Header: Depth=1
	scratch_load_b64 v[127:128], v125, off
	v_dual_mov_b32 v129, s5 :: v_dual_add_nc_u32 v126, -1, v126
	v_add_nc_u32_e32 v125, 8, v125
	s_add_i32 s5, s5, 8
	ds_load_b64 v[129:130], v129
	v_cmp_eq_u32_e32 vcc_lo, 0, v126
	s_or_b32 s1, vcc_lo, s1
	s_waitcnt vmcnt(0) lgkmcnt(0)
	v_fma_f64 v[105:106], v[127:128], v[129:130], v[105:106]
	s_and_not1_b32 exec_lo, exec_lo, s1
	s_cbranch_execnz .LBB115_205
; %bb.206:
	s_or_b32 exec_lo, exec_lo, s1
.LBB115_207:
	s_delay_alu instid0(SALU_CYCLE_1)
	s_or_b32 exec_lo, exec_lo, s4
	v_mov_b32_e32 v125, 0
	ds_load_b64 v[125:126], v125 offset:240
	s_waitcnt lgkmcnt(0)
	v_mul_f64 v[105:106], v[105:106], v[125:126]
	scratch_store_b64 off, v[105:106], off offset:240
.LBB115_208:
	s_or_b32 exec_lo, exec_lo, s3
	scratch_load_b64 v[105:106], off, off offset:232
	v_cmp_lt_u32_e64 s1, 29, v0
	s_waitcnt vmcnt(0)
	ds_store_b64 v108, v[105:106]
	s_waitcnt lgkmcnt(0)
	s_waitcnt_vscnt null, 0x0
	s_barrier
	buffer_gl0_inv
	s_and_saveexec_b32 s3, s1
	s_cbranch_execz .LBB115_218
; %bb.209:
	s_and_not1_b32 vcc_lo, exec_lo, s2
	s_cbranch_vccnz .LBB115_211
; %bb.210:
	scratch_load_b64 v[105:106], v109, off
	ds_load_b64 v[125:126], v108
	s_waitcnt vmcnt(0) lgkmcnt(0)
	v_mul_f64 v[105:106], v[105:106], v[125:126]
	s_cbranch_execz .LBB115_212
	s_branch .LBB115_213
.LBB115_211:
                                        ; implicit-def: $vgpr105_vgpr106
.LBB115_212:
	ds_load_b64 v[105:106], v108
.LBB115_213:
	s_and_saveexec_b32 s4, s0
	s_cbranch_execz .LBB115_217
; %bb.214:
	v_subrev_nc_u32_e32 v125, 30, v0
	s_movk_i32 s5, 0x290
	s_mov_b32 s0, 0
.LBB115_215:                            ; =>This Inner Loop Header: Depth=1
	scratch_load_b64 v[126:127], v124, off
	v_dual_mov_b32 v128, s5 :: v_dual_add_nc_u32 v125, -1, v125
	v_add_nc_u32_e32 v124, 8, v124
	s_add_i32 s5, s5, 8
	ds_load_b64 v[128:129], v128
	v_cmp_eq_u32_e32 vcc_lo, 0, v125
	s_or_b32 s0, vcc_lo, s0
	s_waitcnt vmcnt(0) lgkmcnt(0)
	v_fma_f64 v[105:106], v[126:127], v[128:129], v[105:106]
	s_and_not1_b32 exec_lo, exec_lo, s0
	s_cbranch_execnz .LBB115_215
; %bb.216:
	s_or_b32 exec_lo, exec_lo, s0
.LBB115_217:
	s_delay_alu instid0(SALU_CYCLE_1)
	s_or_b32 exec_lo, exec_lo, s4
	v_mov_b32_e32 v124, 0
	ds_load_b64 v[124:125], v124 offset:232
	s_waitcnt lgkmcnt(0)
	v_mul_f64 v[105:106], v[105:106], v[124:125]
	scratch_store_b64 off, v[105:106], off offset:232
.LBB115_218:
	s_or_b32 exec_lo, exec_lo, s3
	scratch_load_b64 v[105:106], off, off offset:224
	v_cmp_lt_u32_e64 s0, 28, v0
	s_waitcnt vmcnt(0)
	ds_store_b64 v108, v[105:106]
	s_waitcnt lgkmcnt(0)
	s_waitcnt_vscnt null, 0x0
	s_barrier
	buffer_gl0_inv
	s_and_saveexec_b32 s3, s0
	s_cbranch_execz .LBB115_228
; %bb.219:
	s_and_not1_b32 vcc_lo, exec_lo, s2
	s_cbranch_vccnz .LBB115_221
; %bb.220:
	scratch_load_b64 v[105:106], v109, off
	ds_load_b64 v[124:125], v108
	s_waitcnt vmcnt(0) lgkmcnt(0)
	v_mul_f64 v[105:106], v[105:106], v[124:125]
	s_cbranch_execz .LBB115_222
	s_branch .LBB115_223
.LBB115_221:
                                        ; implicit-def: $vgpr105_vgpr106
.LBB115_222:
	ds_load_b64 v[105:106], v108
.LBB115_223:
	s_and_saveexec_b32 s4, s1
	s_cbranch_execz .LBB115_227
; %bb.224:
	v_mov_b32_e32 v124, 0
	v_subrev_nc_u32_e32 v125, 29, v0
	s_movk_i32 s5, 0x288
	s_mov_b32 s1, 0
	s_delay_alu instid0(VALU_DEP_2)
	v_add_nc_u32_e32 v124, 0xe8, v124
.LBB115_225:                            ; =>This Inner Loop Header: Depth=1
	scratch_load_b64 v[126:127], v124, off
	v_dual_mov_b32 v128, s5 :: v_dual_add_nc_u32 v125, -1, v125
	v_add_nc_u32_e32 v124, 8, v124
	s_add_i32 s5, s5, 8
	ds_load_b64 v[128:129], v128
	v_cmp_eq_u32_e32 vcc_lo, 0, v125
	s_or_b32 s1, vcc_lo, s1
	s_waitcnt vmcnt(0) lgkmcnt(0)
	v_fma_f64 v[105:106], v[126:127], v[128:129], v[105:106]
	s_and_not1_b32 exec_lo, exec_lo, s1
	s_cbranch_execnz .LBB115_225
; %bb.226:
	s_or_b32 exec_lo, exec_lo, s1
.LBB115_227:
	s_delay_alu instid0(SALU_CYCLE_1)
	s_or_b32 exec_lo, exec_lo, s4
	v_mov_b32_e32 v124, 0
	ds_load_b64 v[124:125], v124 offset:224
	s_waitcnt lgkmcnt(0)
	v_mul_f64 v[105:106], v[105:106], v[124:125]
	scratch_store_b64 off, v[105:106], off offset:224
.LBB115_228:
	s_or_b32 exec_lo, exec_lo, s3
	scratch_load_b64 v[105:106], off, off offset:216
	v_cmp_lt_u32_e64 s1, 27, v0
	s_waitcnt vmcnt(0)
	ds_store_b64 v108, v[105:106]
	s_waitcnt lgkmcnt(0)
	s_waitcnt_vscnt null, 0x0
	s_barrier
	buffer_gl0_inv
	s_and_saveexec_b32 s3, s1
	s_cbranch_execz .LBB115_238
; %bb.229:
	s_and_not1_b32 vcc_lo, exec_lo, s2
	s_cbranch_vccnz .LBB115_231
; %bb.230:
	scratch_load_b64 v[105:106], v109, off
	ds_load_b64 v[124:125], v108
	s_waitcnt vmcnt(0) lgkmcnt(0)
	v_mul_f64 v[105:106], v[105:106], v[124:125]
	s_cbranch_execz .LBB115_232
	s_branch .LBB115_233
.LBB115_231:
                                        ; implicit-def: $vgpr105_vgpr106
.LBB115_232:
	ds_load_b64 v[105:106], v108
.LBB115_233:
	s_and_saveexec_b32 s4, s0
	s_cbranch_execz .LBB115_237
; %bb.234:
	v_subrev_nc_u32_e32 v124, 28, v0
	s_movk_i32 s5, 0x280
	s_mov_b32 s0, 0
.LBB115_235:                            ; =>This Inner Loop Header: Depth=1
	scratch_load_b64 v[125:126], v123, off
	v_dual_mov_b32 v127, s5 :: v_dual_add_nc_u32 v124, -1, v124
	v_add_nc_u32_e32 v123, 8, v123
	s_add_i32 s5, s5, 8
	ds_load_b64 v[127:128], v127
	v_cmp_eq_u32_e32 vcc_lo, 0, v124
	s_or_b32 s0, vcc_lo, s0
	s_waitcnt vmcnt(0) lgkmcnt(0)
	v_fma_f64 v[105:106], v[125:126], v[127:128], v[105:106]
	s_and_not1_b32 exec_lo, exec_lo, s0
	s_cbranch_execnz .LBB115_235
; %bb.236:
	s_or_b32 exec_lo, exec_lo, s0
.LBB115_237:
	s_delay_alu instid0(SALU_CYCLE_1)
	s_or_b32 exec_lo, exec_lo, s4
	v_mov_b32_e32 v123, 0
	ds_load_b64 v[123:124], v123 offset:216
	s_waitcnt lgkmcnt(0)
	v_mul_f64 v[105:106], v[105:106], v[123:124]
	scratch_store_b64 off, v[105:106], off offset:216
.LBB115_238:
	s_or_b32 exec_lo, exec_lo, s3
	scratch_load_b64 v[105:106], off, off offset:208
	v_cmp_lt_u32_e64 s0, 26, v0
	s_waitcnt vmcnt(0)
	ds_store_b64 v108, v[105:106]
	s_waitcnt lgkmcnt(0)
	s_waitcnt_vscnt null, 0x0
	s_barrier
	buffer_gl0_inv
	s_and_saveexec_b32 s3, s0
	s_cbranch_execz .LBB115_248
; %bb.239:
	s_and_not1_b32 vcc_lo, exec_lo, s2
	s_cbranch_vccnz .LBB115_241
; %bb.240:
	scratch_load_b64 v[105:106], v109, off
	ds_load_b64 v[123:124], v108
	s_waitcnt vmcnt(0) lgkmcnt(0)
	v_mul_f64 v[105:106], v[105:106], v[123:124]
	s_cbranch_execz .LBB115_242
	s_branch .LBB115_243
.LBB115_241:
                                        ; implicit-def: $vgpr105_vgpr106
.LBB115_242:
	ds_load_b64 v[105:106], v108
.LBB115_243:
	s_and_saveexec_b32 s4, s1
	s_cbranch_execz .LBB115_247
; %bb.244:
	v_mov_b32_e32 v123, 0
	v_subrev_nc_u32_e32 v124, 27, v0
	s_movk_i32 s5, 0x278
	s_mov_b32 s1, 0
	s_delay_alu instid0(VALU_DEP_2)
	v_add_nc_u32_e32 v123, 0xd8, v123
.LBB115_245:                            ; =>This Inner Loop Header: Depth=1
	scratch_load_b64 v[125:126], v123, off
	v_dual_mov_b32 v127, s5 :: v_dual_add_nc_u32 v124, -1, v124
	v_add_nc_u32_e32 v123, 8, v123
	s_add_i32 s5, s5, 8
	ds_load_b64 v[127:128], v127
	v_cmp_eq_u32_e32 vcc_lo, 0, v124
	s_or_b32 s1, vcc_lo, s1
	s_waitcnt vmcnt(0) lgkmcnt(0)
	v_fma_f64 v[105:106], v[125:126], v[127:128], v[105:106]
	s_and_not1_b32 exec_lo, exec_lo, s1
	s_cbranch_execnz .LBB115_245
; %bb.246:
	s_or_b32 exec_lo, exec_lo, s1
.LBB115_247:
	s_delay_alu instid0(SALU_CYCLE_1)
	s_or_b32 exec_lo, exec_lo, s4
	v_mov_b32_e32 v123, 0
	ds_load_b64 v[123:124], v123 offset:208
	s_waitcnt lgkmcnt(0)
	v_mul_f64 v[105:106], v[105:106], v[123:124]
	scratch_store_b64 off, v[105:106], off offset:208
.LBB115_248:
	s_or_b32 exec_lo, exec_lo, s3
	scratch_load_b64 v[105:106], off, off offset:200
	v_cmp_lt_u32_e64 s1, 25, v0
	s_waitcnt vmcnt(0)
	ds_store_b64 v108, v[105:106]
	s_waitcnt lgkmcnt(0)
	s_waitcnt_vscnt null, 0x0
	s_barrier
	buffer_gl0_inv
	s_and_saveexec_b32 s3, s1
	s_cbranch_execz .LBB115_258
; %bb.249:
	s_and_not1_b32 vcc_lo, exec_lo, s2
	s_cbranch_vccnz .LBB115_251
; %bb.250:
	scratch_load_b64 v[105:106], v109, off
	ds_load_b64 v[123:124], v108
	s_waitcnt vmcnt(0) lgkmcnt(0)
	v_mul_f64 v[105:106], v[105:106], v[123:124]
	s_cbranch_execz .LBB115_252
	s_branch .LBB115_253
.LBB115_251:
                                        ; implicit-def: $vgpr105_vgpr106
.LBB115_252:
	ds_load_b64 v[105:106], v108
.LBB115_253:
	s_and_saveexec_b32 s4, s0
	s_cbranch_execz .LBB115_257
; %bb.254:
	v_subrev_nc_u32_e32 v123, 26, v0
	s_movk_i32 s5, 0x270
	s_mov_b32 s0, 0
.LBB115_255:                            ; =>This Inner Loop Header: Depth=1
	scratch_load_b64 v[124:125], v122, off
	v_dual_mov_b32 v126, s5 :: v_dual_add_nc_u32 v123, -1, v123
	v_add_nc_u32_e32 v122, 8, v122
	s_add_i32 s5, s5, 8
	ds_load_b64 v[126:127], v126
	v_cmp_eq_u32_e32 vcc_lo, 0, v123
	s_or_b32 s0, vcc_lo, s0
	s_waitcnt vmcnt(0) lgkmcnt(0)
	v_fma_f64 v[105:106], v[124:125], v[126:127], v[105:106]
	s_and_not1_b32 exec_lo, exec_lo, s0
	s_cbranch_execnz .LBB115_255
; %bb.256:
	s_or_b32 exec_lo, exec_lo, s0
.LBB115_257:
	s_delay_alu instid0(SALU_CYCLE_1)
	s_or_b32 exec_lo, exec_lo, s4
	v_mov_b32_e32 v122, 0
	ds_load_b64 v[122:123], v122 offset:200
	s_waitcnt lgkmcnt(0)
	v_mul_f64 v[105:106], v[105:106], v[122:123]
	scratch_store_b64 off, v[105:106], off offset:200
.LBB115_258:
	s_or_b32 exec_lo, exec_lo, s3
	scratch_load_b64 v[105:106], off, off offset:192
	v_cmp_lt_u32_e64 s0, 24, v0
	s_waitcnt vmcnt(0)
	ds_store_b64 v108, v[105:106]
	s_waitcnt lgkmcnt(0)
	s_waitcnt_vscnt null, 0x0
	s_barrier
	buffer_gl0_inv
	s_and_saveexec_b32 s3, s0
	s_cbranch_execz .LBB115_268
; %bb.259:
	s_and_not1_b32 vcc_lo, exec_lo, s2
	s_cbranch_vccnz .LBB115_261
; %bb.260:
	scratch_load_b64 v[105:106], v109, off
	ds_load_b64 v[122:123], v108
	s_waitcnt vmcnt(0) lgkmcnt(0)
	v_mul_f64 v[105:106], v[105:106], v[122:123]
	s_cbranch_execz .LBB115_262
	s_branch .LBB115_263
.LBB115_261:
                                        ; implicit-def: $vgpr105_vgpr106
.LBB115_262:
	ds_load_b64 v[105:106], v108
.LBB115_263:
	s_and_saveexec_b32 s4, s1
	s_cbranch_execz .LBB115_267
; %bb.264:
	v_mov_b32_e32 v122, 0
	v_subrev_nc_u32_e32 v123, 25, v0
	s_movk_i32 s5, 0x268
	s_mov_b32 s1, 0
	s_delay_alu instid0(VALU_DEP_2)
	v_add_nc_u32_e32 v122, 0xc8, v122
.LBB115_265:                            ; =>This Inner Loop Header: Depth=1
	scratch_load_b64 v[124:125], v122, off
	v_dual_mov_b32 v126, s5 :: v_dual_add_nc_u32 v123, -1, v123
	v_add_nc_u32_e32 v122, 8, v122
	s_add_i32 s5, s5, 8
	ds_load_b64 v[126:127], v126
	v_cmp_eq_u32_e32 vcc_lo, 0, v123
	s_or_b32 s1, vcc_lo, s1
	s_waitcnt vmcnt(0) lgkmcnt(0)
	v_fma_f64 v[105:106], v[124:125], v[126:127], v[105:106]
	s_and_not1_b32 exec_lo, exec_lo, s1
	s_cbranch_execnz .LBB115_265
; %bb.266:
	s_or_b32 exec_lo, exec_lo, s1
.LBB115_267:
	s_delay_alu instid0(SALU_CYCLE_1)
	s_or_b32 exec_lo, exec_lo, s4
	v_mov_b32_e32 v122, 0
	ds_load_b64 v[122:123], v122 offset:192
	s_waitcnt lgkmcnt(0)
	v_mul_f64 v[105:106], v[105:106], v[122:123]
	scratch_store_b64 off, v[105:106], off offset:192
.LBB115_268:
	s_or_b32 exec_lo, exec_lo, s3
	scratch_load_b64 v[105:106], off, off offset:184
	v_cmp_lt_u32_e64 s1, 23, v0
	s_waitcnt vmcnt(0)
	ds_store_b64 v108, v[105:106]
	s_waitcnt lgkmcnt(0)
	s_waitcnt_vscnt null, 0x0
	s_barrier
	buffer_gl0_inv
	s_and_saveexec_b32 s3, s1
	s_cbranch_execz .LBB115_278
; %bb.269:
	s_and_not1_b32 vcc_lo, exec_lo, s2
	s_cbranch_vccnz .LBB115_271
; %bb.270:
	scratch_load_b64 v[105:106], v109, off
	ds_load_b64 v[122:123], v108
	s_waitcnt vmcnt(0) lgkmcnt(0)
	v_mul_f64 v[105:106], v[105:106], v[122:123]
	s_cbranch_execz .LBB115_272
	s_branch .LBB115_273
.LBB115_271:
                                        ; implicit-def: $vgpr105_vgpr106
.LBB115_272:
	ds_load_b64 v[105:106], v108
.LBB115_273:
	s_and_saveexec_b32 s4, s0
	s_cbranch_execz .LBB115_277
; %bb.274:
	v_subrev_nc_u32_e32 v122, 24, v0
	s_movk_i32 s5, 0x260
	s_mov_b32 s0, 0
.LBB115_275:                            ; =>This Inner Loop Header: Depth=1
	scratch_load_b64 v[123:124], v121, off
	v_dual_mov_b32 v125, s5 :: v_dual_add_nc_u32 v122, -1, v122
	v_add_nc_u32_e32 v121, 8, v121
	s_add_i32 s5, s5, 8
	ds_load_b64 v[125:126], v125
	v_cmp_eq_u32_e32 vcc_lo, 0, v122
	s_or_b32 s0, vcc_lo, s0
	s_waitcnt vmcnt(0) lgkmcnt(0)
	v_fma_f64 v[105:106], v[123:124], v[125:126], v[105:106]
	s_and_not1_b32 exec_lo, exec_lo, s0
	s_cbranch_execnz .LBB115_275
; %bb.276:
	s_or_b32 exec_lo, exec_lo, s0
.LBB115_277:
	s_delay_alu instid0(SALU_CYCLE_1)
	s_or_b32 exec_lo, exec_lo, s4
	v_mov_b32_e32 v121, 0
	ds_load_b64 v[121:122], v121 offset:184
	s_waitcnt lgkmcnt(0)
	v_mul_f64 v[105:106], v[105:106], v[121:122]
	scratch_store_b64 off, v[105:106], off offset:184
.LBB115_278:
	s_or_b32 exec_lo, exec_lo, s3
	scratch_load_b64 v[105:106], off, off offset:176
	v_cmp_lt_u32_e64 s0, 22, v0
	s_waitcnt vmcnt(0)
	ds_store_b64 v108, v[105:106]
	s_waitcnt lgkmcnt(0)
	s_waitcnt_vscnt null, 0x0
	s_barrier
	buffer_gl0_inv
	s_and_saveexec_b32 s3, s0
	s_cbranch_execz .LBB115_288
; %bb.279:
	s_and_not1_b32 vcc_lo, exec_lo, s2
	s_cbranch_vccnz .LBB115_281
; %bb.280:
	scratch_load_b64 v[105:106], v109, off
	ds_load_b64 v[121:122], v108
	s_waitcnt vmcnt(0) lgkmcnt(0)
	v_mul_f64 v[105:106], v[105:106], v[121:122]
	s_cbranch_execz .LBB115_282
	s_branch .LBB115_283
.LBB115_281:
                                        ; implicit-def: $vgpr105_vgpr106
.LBB115_282:
	ds_load_b64 v[105:106], v108
.LBB115_283:
	s_and_saveexec_b32 s4, s1
	s_cbranch_execz .LBB115_287
; %bb.284:
	v_mov_b32_e32 v121, 0
	v_subrev_nc_u32_e32 v122, 23, v0
	s_movk_i32 s5, 0x258
	s_mov_b32 s1, 0
	s_delay_alu instid0(VALU_DEP_2)
	v_add_nc_u32_e32 v121, 0xb8, v121
.LBB115_285:                            ; =>This Inner Loop Header: Depth=1
	scratch_load_b64 v[123:124], v121, off
	v_dual_mov_b32 v125, s5 :: v_dual_add_nc_u32 v122, -1, v122
	v_add_nc_u32_e32 v121, 8, v121
	s_add_i32 s5, s5, 8
	ds_load_b64 v[125:126], v125
	v_cmp_eq_u32_e32 vcc_lo, 0, v122
	s_or_b32 s1, vcc_lo, s1
	s_waitcnt vmcnt(0) lgkmcnt(0)
	v_fma_f64 v[105:106], v[123:124], v[125:126], v[105:106]
	s_and_not1_b32 exec_lo, exec_lo, s1
	s_cbranch_execnz .LBB115_285
; %bb.286:
	s_or_b32 exec_lo, exec_lo, s1
.LBB115_287:
	s_delay_alu instid0(SALU_CYCLE_1)
	s_or_b32 exec_lo, exec_lo, s4
	v_mov_b32_e32 v121, 0
	ds_load_b64 v[121:122], v121 offset:176
	s_waitcnt lgkmcnt(0)
	v_mul_f64 v[105:106], v[105:106], v[121:122]
	scratch_store_b64 off, v[105:106], off offset:176
.LBB115_288:
	s_or_b32 exec_lo, exec_lo, s3
	scratch_load_b64 v[105:106], off, off offset:168
	v_cmp_lt_u32_e64 s1, 21, v0
	s_waitcnt vmcnt(0)
	ds_store_b64 v108, v[105:106]
	s_waitcnt lgkmcnt(0)
	s_waitcnt_vscnt null, 0x0
	s_barrier
	buffer_gl0_inv
	s_and_saveexec_b32 s3, s1
	s_cbranch_execz .LBB115_298
; %bb.289:
	s_and_not1_b32 vcc_lo, exec_lo, s2
	s_cbranch_vccnz .LBB115_291
; %bb.290:
	scratch_load_b64 v[105:106], v109, off
	ds_load_b64 v[121:122], v108
	s_waitcnt vmcnt(0) lgkmcnt(0)
	v_mul_f64 v[105:106], v[105:106], v[121:122]
	s_cbranch_execz .LBB115_292
	s_branch .LBB115_293
.LBB115_291:
                                        ; implicit-def: $vgpr105_vgpr106
.LBB115_292:
	ds_load_b64 v[105:106], v108
.LBB115_293:
	s_and_saveexec_b32 s4, s0
	s_cbranch_execz .LBB115_297
; %bb.294:
	v_subrev_nc_u32_e32 v121, 22, v0
	s_movk_i32 s5, 0x250
	s_mov_b32 s0, 0
.LBB115_295:                            ; =>This Inner Loop Header: Depth=1
	scratch_load_b64 v[122:123], v120, off
	v_dual_mov_b32 v124, s5 :: v_dual_add_nc_u32 v121, -1, v121
	v_add_nc_u32_e32 v120, 8, v120
	s_add_i32 s5, s5, 8
	ds_load_b64 v[124:125], v124
	v_cmp_eq_u32_e32 vcc_lo, 0, v121
	s_or_b32 s0, vcc_lo, s0
	s_waitcnt vmcnt(0) lgkmcnt(0)
	v_fma_f64 v[105:106], v[122:123], v[124:125], v[105:106]
	s_and_not1_b32 exec_lo, exec_lo, s0
	s_cbranch_execnz .LBB115_295
; %bb.296:
	s_or_b32 exec_lo, exec_lo, s0
.LBB115_297:
	s_delay_alu instid0(SALU_CYCLE_1)
	s_or_b32 exec_lo, exec_lo, s4
	v_mov_b32_e32 v120, 0
	ds_load_b64 v[120:121], v120 offset:168
	s_waitcnt lgkmcnt(0)
	v_mul_f64 v[105:106], v[105:106], v[120:121]
	scratch_store_b64 off, v[105:106], off offset:168
.LBB115_298:
	s_or_b32 exec_lo, exec_lo, s3
	scratch_load_b64 v[105:106], off, off offset:160
	v_cmp_lt_u32_e64 s0, 20, v0
	s_waitcnt vmcnt(0)
	ds_store_b64 v108, v[105:106]
	s_waitcnt lgkmcnt(0)
	s_waitcnt_vscnt null, 0x0
	s_barrier
	buffer_gl0_inv
	s_and_saveexec_b32 s3, s0
	s_cbranch_execz .LBB115_308
; %bb.299:
	s_and_not1_b32 vcc_lo, exec_lo, s2
	s_cbranch_vccnz .LBB115_301
; %bb.300:
	scratch_load_b64 v[105:106], v109, off
	ds_load_b64 v[120:121], v108
	s_waitcnt vmcnt(0) lgkmcnt(0)
	v_mul_f64 v[105:106], v[105:106], v[120:121]
	s_cbranch_execz .LBB115_302
	s_branch .LBB115_303
.LBB115_301:
                                        ; implicit-def: $vgpr105_vgpr106
.LBB115_302:
	ds_load_b64 v[105:106], v108
.LBB115_303:
	s_and_saveexec_b32 s4, s1
	s_cbranch_execz .LBB115_307
; %bb.304:
	v_mov_b32_e32 v120, 0
	v_subrev_nc_u32_e32 v121, 21, v0
	s_movk_i32 s5, 0x248
	s_mov_b32 s1, 0
	s_delay_alu instid0(VALU_DEP_2)
	v_add_nc_u32_e32 v120, 0xa8, v120
.LBB115_305:                            ; =>This Inner Loop Header: Depth=1
	scratch_load_b64 v[122:123], v120, off
	v_dual_mov_b32 v124, s5 :: v_dual_add_nc_u32 v121, -1, v121
	v_add_nc_u32_e32 v120, 8, v120
	s_add_i32 s5, s5, 8
	ds_load_b64 v[124:125], v124
	v_cmp_eq_u32_e32 vcc_lo, 0, v121
	s_or_b32 s1, vcc_lo, s1
	s_waitcnt vmcnt(0) lgkmcnt(0)
	v_fma_f64 v[105:106], v[122:123], v[124:125], v[105:106]
	s_and_not1_b32 exec_lo, exec_lo, s1
	s_cbranch_execnz .LBB115_305
; %bb.306:
	s_or_b32 exec_lo, exec_lo, s1
.LBB115_307:
	s_delay_alu instid0(SALU_CYCLE_1)
	s_or_b32 exec_lo, exec_lo, s4
	v_mov_b32_e32 v120, 0
	ds_load_b64 v[120:121], v120 offset:160
	s_waitcnt lgkmcnt(0)
	v_mul_f64 v[105:106], v[105:106], v[120:121]
	scratch_store_b64 off, v[105:106], off offset:160
.LBB115_308:
	s_or_b32 exec_lo, exec_lo, s3
	scratch_load_b64 v[105:106], off, off offset:152
	v_cmp_lt_u32_e64 s1, 19, v0
	s_waitcnt vmcnt(0)
	ds_store_b64 v108, v[105:106]
	s_waitcnt lgkmcnt(0)
	s_waitcnt_vscnt null, 0x0
	s_barrier
	buffer_gl0_inv
	s_and_saveexec_b32 s3, s1
	s_cbranch_execz .LBB115_318
; %bb.309:
	s_and_not1_b32 vcc_lo, exec_lo, s2
	s_cbranch_vccnz .LBB115_311
; %bb.310:
	scratch_load_b64 v[105:106], v109, off
	ds_load_b64 v[120:121], v108
	s_waitcnt vmcnt(0) lgkmcnt(0)
	v_mul_f64 v[105:106], v[105:106], v[120:121]
	s_cbranch_execz .LBB115_312
	s_branch .LBB115_313
.LBB115_311:
                                        ; implicit-def: $vgpr105_vgpr106
.LBB115_312:
	ds_load_b64 v[105:106], v108
.LBB115_313:
	s_and_saveexec_b32 s4, s0
	s_cbranch_execz .LBB115_317
; %bb.314:
	v_subrev_nc_u32_e32 v120, 20, v0
	s_movk_i32 s5, 0x240
	s_mov_b32 s0, 0
.LBB115_315:                            ; =>This Inner Loop Header: Depth=1
	scratch_load_b64 v[121:122], v119, off
	v_dual_mov_b32 v123, s5 :: v_dual_add_nc_u32 v120, -1, v120
	v_add_nc_u32_e32 v119, 8, v119
	s_add_i32 s5, s5, 8
	ds_load_b64 v[123:124], v123
	v_cmp_eq_u32_e32 vcc_lo, 0, v120
	s_or_b32 s0, vcc_lo, s0
	s_waitcnt vmcnt(0) lgkmcnt(0)
	v_fma_f64 v[105:106], v[121:122], v[123:124], v[105:106]
	s_and_not1_b32 exec_lo, exec_lo, s0
	s_cbranch_execnz .LBB115_315
; %bb.316:
	s_or_b32 exec_lo, exec_lo, s0
.LBB115_317:
	s_delay_alu instid0(SALU_CYCLE_1)
	s_or_b32 exec_lo, exec_lo, s4
	v_mov_b32_e32 v119, 0
	ds_load_b64 v[119:120], v119 offset:152
	s_waitcnt lgkmcnt(0)
	v_mul_f64 v[105:106], v[105:106], v[119:120]
	scratch_store_b64 off, v[105:106], off offset:152
.LBB115_318:
	s_or_b32 exec_lo, exec_lo, s3
	scratch_load_b64 v[105:106], off, off offset:144
	v_cmp_lt_u32_e64 s0, 18, v0
	s_waitcnt vmcnt(0)
	ds_store_b64 v108, v[105:106]
	s_waitcnt lgkmcnt(0)
	s_waitcnt_vscnt null, 0x0
	s_barrier
	buffer_gl0_inv
	s_and_saveexec_b32 s3, s0
	s_cbranch_execz .LBB115_328
; %bb.319:
	s_and_not1_b32 vcc_lo, exec_lo, s2
	s_cbranch_vccnz .LBB115_321
; %bb.320:
	scratch_load_b64 v[105:106], v109, off
	ds_load_b64 v[119:120], v108
	s_waitcnt vmcnt(0) lgkmcnt(0)
	v_mul_f64 v[105:106], v[105:106], v[119:120]
	s_cbranch_execz .LBB115_322
	s_branch .LBB115_323
.LBB115_321:
                                        ; implicit-def: $vgpr105_vgpr106
.LBB115_322:
	ds_load_b64 v[105:106], v108
.LBB115_323:
	s_and_saveexec_b32 s4, s1
	s_cbranch_execz .LBB115_327
; %bb.324:
	v_mov_b32_e32 v119, 0
	v_subrev_nc_u32_e32 v120, 19, v0
	s_movk_i32 s5, 0x238
	s_mov_b32 s1, 0
	s_delay_alu instid0(VALU_DEP_2)
	v_add_nc_u32_e32 v119, 0x98, v119
.LBB115_325:                            ; =>This Inner Loop Header: Depth=1
	scratch_load_b64 v[121:122], v119, off
	v_dual_mov_b32 v123, s5 :: v_dual_add_nc_u32 v120, -1, v120
	v_add_nc_u32_e32 v119, 8, v119
	s_add_i32 s5, s5, 8
	ds_load_b64 v[123:124], v123
	v_cmp_eq_u32_e32 vcc_lo, 0, v120
	s_or_b32 s1, vcc_lo, s1
	s_waitcnt vmcnt(0) lgkmcnt(0)
	v_fma_f64 v[105:106], v[121:122], v[123:124], v[105:106]
	s_and_not1_b32 exec_lo, exec_lo, s1
	s_cbranch_execnz .LBB115_325
; %bb.326:
	s_or_b32 exec_lo, exec_lo, s1
.LBB115_327:
	s_delay_alu instid0(SALU_CYCLE_1)
	s_or_b32 exec_lo, exec_lo, s4
	v_mov_b32_e32 v119, 0
	ds_load_b64 v[119:120], v119 offset:144
	s_waitcnt lgkmcnt(0)
	v_mul_f64 v[105:106], v[105:106], v[119:120]
	scratch_store_b64 off, v[105:106], off offset:144
.LBB115_328:
	s_or_b32 exec_lo, exec_lo, s3
	scratch_load_b64 v[105:106], off, off offset:136
	v_cmp_lt_u32_e64 s1, 17, v0
	s_waitcnt vmcnt(0)
	ds_store_b64 v108, v[105:106]
	s_waitcnt lgkmcnt(0)
	s_waitcnt_vscnt null, 0x0
	s_barrier
	buffer_gl0_inv
	s_and_saveexec_b32 s3, s1
	s_cbranch_execz .LBB115_338
; %bb.329:
	s_and_not1_b32 vcc_lo, exec_lo, s2
	s_cbranch_vccnz .LBB115_331
; %bb.330:
	scratch_load_b64 v[105:106], v109, off
	ds_load_b64 v[119:120], v108
	s_waitcnt vmcnt(0) lgkmcnt(0)
	v_mul_f64 v[105:106], v[105:106], v[119:120]
	s_cbranch_execz .LBB115_332
	s_branch .LBB115_333
.LBB115_331:
                                        ; implicit-def: $vgpr105_vgpr106
.LBB115_332:
	ds_load_b64 v[105:106], v108
.LBB115_333:
	s_and_saveexec_b32 s4, s0
	s_cbranch_execz .LBB115_337
; %bb.334:
	v_subrev_nc_u32_e32 v119, 18, v0
	s_movk_i32 s5, 0x230
	s_mov_b32 s0, 0
.LBB115_335:                            ; =>This Inner Loop Header: Depth=1
	scratch_load_b64 v[120:121], v118, off
	v_dual_mov_b32 v122, s5 :: v_dual_add_nc_u32 v119, -1, v119
	v_add_nc_u32_e32 v118, 8, v118
	s_add_i32 s5, s5, 8
	ds_load_b64 v[122:123], v122
	v_cmp_eq_u32_e32 vcc_lo, 0, v119
	s_or_b32 s0, vcc_lo, s0
	s_waitcnt vmcnt(0) lgkmcnt(0)
	v_fma_f64 v[105:106], v[120:121], v[122:123], v[105:106]
	s_and_not1_b32 exec_lo, exec_lo, s0
	s_cbranch_execnz .LBB115_335
; %bb.336:
	s_or_b32 exec_lo, exec_lo, s0
.LBB115_337:
	s_delay_alu instid0(SALU_CYCLE_1)
	s_or_b32 exec_lo, exec_lo, s4
	v_mov_b32_e32 v118, 0
	ds_load_b64 v[118:119], v118 offset:136
	s_waitcnt lgkmcnt(0)
	v_mul_f64 v[105:106], v[105:106], v[118:119]
	scratch_store_b64 off, v[105:106], off offset:136
.LBB115_338:
	s_or_b32 exec_lo, exec_lo, s3
	scratch_load_b64 v[105:106], off, off offset:128
	v_cmp_lt_u32_e64 s0, 16, v0
	s_waitcnt vmcnt(0)
	ds_store_b64 v108, v[105:106]
	s_waitcnt lgkmcnt(0)
	s_waitcnt_vscnt null, 0x0
	s_barrier
	buffer_gl0_inv
	s_and_saveexec_b32 s3, s0
	s_cbranch_execz .LBB115_348
; %bb.339:
	s_and_not1_b32 vcc_lo, exec_lo, s2
	s_cbranch_vccnz .LBB115_341
; %bb.340:
	scratch_load_b64 v[105:106], v109, off
	ds_load_b64 v[118:119], v108
	s_waitcnt vmcnt(0) lgkmcnt(0)
	v_mul_f64 v[105:106], v[105:106], v[118:119]
	s_cbranch_execz .LBB115_342
	s_branch .LBB115_343
.LBB115_341:
                                        ; implicit-def: $vgpr105_vgpr106
.LBB115_342:
	ds_load_b64 v[105:106], v108
.LBB115_343:
	s_and_saveexec_b32 s4, s1
	s_cbranch_execz .LBB115_347
; %bb.344:
	v_mov_b32_e32 v118, 0
	v_subrev_nc_u32_e32 v119, 17, v0
	s_movk_i32 s5, 0x228
	s_mov_b32 s1, 0
	s_delay_alu instid0(VALU_DEP_2)
	v_add_nc_u32_e32 v118, 0x88, v118
.LBB115_345:                            ; =>This Inner Loop Header: Depth=1
	scratch_load_b64 v[120:121], v118, off
	v_dual_mov_b32 v122, s5 :: v_dual_add_nc_u32 v119, -1, v119
	v_add_nc_u32_e32 v118, 8, v118
	s_add_i32 s5, s5, 8
	ds_load_b64 v[122:123], v122
	v_cmp_eq_u32_e32 vcc_lo, 0, v119
	s_or_b32 s1, vcc_lo, s1
	s_waitcnt vmcnt(0) lgkmcnt(0)
	v_fma_f64 v[105:106], v[120:121], v[122:123], v[105:106]
	s_and_not1_b32 exec_lo, exec_lo, s1
	s_cbranch_execnz .LBB115_345
; %bb.346:
	s_or_b32 exec_lo, exec_lo, s1
.LBB115_347:
	s_delay_alu instid0(SALU_CYCLE_1)
	s_or_b32 exec_lo, exec_lo, s4
	v_mov_b32_e32 v118, 0
	ds_load_b64 v[118:119], v118 offset:128
	s_waitcnt lgkmcnt(0)
	v_mul_f64 v[105:106], v[105:106], v[118:119]
	scratch_store_b64 off, v[105:106], off offset:128
.LBB115_348:
	s_or_b32 exec_lo, exec_lo, s3
	scratch_load_b64 v[105:106], off, off offset:120
	v_cmp_lt_u32_e64 s1, 15, v0
	s_waitcnt vmcnt(0)
	ds_store_b64 v108, v[105:106]
	s_waitcnt lgkmcnt(0)
	s_waitcnt_vscnt null, 0x0
	s_barrier
	buffer_gl0_inv
	s_and_saveexec_b32 s3, s1
	s_cbranch_execz .LBB115_358
; %bb.349:
	s_and_not1_b32 vcc_lo, exec_lo, s2
	s_cbranch_vccnz .LBB115_351
; %bb.350:
	scratch_load_b64 v[105:106], v109, off
	ds_load_b64 v[118:119], v108
	s_waitcnt vmcnt(0) lgkmcnt(0)
	v_mul_f64 v[105:106], v[105:106], v[118:119]
	s_cbranch_execz .LBB115_352
	s_branch .LBB115_353
.LBB115_351:
                                        ; implicit-def: $vgpr105_vgpr106
.LBB115_352:
	ds_load_b64 v[105:106], v108
.LBB115_353:
	s_and_saveexec_b32 s4, s0
	s_cbranch_execz .LBB115_357
; %bb.354:
	v_add_nc_u32_e32 v118, -16, v0
	s_movk_i32 s5, 0x220
	s_mov_b32 s0, 0
.LBB115_355:                            ; =>This Inner Loop Header: Depth=1
	scratch_load_b64 v[119:120], v117, off
	v_dual_mov_b32 v121, s5 :: v_dual_add_nc_u32 v118, -1, v118
	v_add_nc_u32_e32 v117, 8, v117
	s_add_i32 s5, s5, 8
	ds_load_b64 v[121:122], v121
	v_cmp_eq_u32_e32 vcc_lo, 0, v118
	s_or_b32 s0, vcc_lo, s0
	s_waitcnt vmcnt(0) lgkmcnt(0)
	v_fma_f64 v[105:106], v[119:120], v[121:122], v[105:106]
	s_and_not1_b32 exec_lo, exec_lo, s0
	s_cbranch_execnz .LBB115_355
; %bb.356:
	s_or_b32 exec_lo, exec_lo, s0
.LBB115_357:
	s_delay_alu instid0(SALU_CYCLE_1)
	s_or_b32 exec_lo, exec_lo, s4
	v_mov_b32_e32 v117, 0
	ds_load_b64 v[117:118], v117 offset:120
	s_waitcnt lgkmcnt(0)
	v_mul_f64 v[105:106], v[105:106], v[117:118]
	scratch_store_b64 off, v[105:106], off offset:120
.LBB115_358:
	s_or_b32 exec_lo, exec_lo, s3
	scratch_load_b64 v[105:106], off, off offset:112
	v_cmp_lt_u32_e64 s0, 14, v0
	s_waitcnt vmcnt(0)
	ds_store_b64 v108, v[105:106]
	s_waitcnt lgkmcnt(0)
	s_waitcnt_vscnt null, 0x0
	s_barrier
	buffer_gl0_inv
	s_and_saveexec_b32 s3, s0
	s_cbranch_execz .LBB115_368
; %bb.359:
	s_and_not1_b32 vcc_lo, exec_lo, s2
	s_cbranch_vccnz .LBB115_361
; %bb.360:
	scratch_load_b64 v[105:106], v109, off
	ds_load_b64 v[117:118], v108
	s_waitcnt vmcnt(0) lgkmcnt(0)
	v_mul_f64 v[105:106], v[105:106], v[117:118]
	s_cbranch_execz .LBB115_362
	s_branch .LBB115_363
.LBB115_361:
                                        ; implicit-def: $vgpr105_vgpr106
.LBB115_362:
	ds_load_b64 v[105:106], v108
.LBB115_363:
	s_and_saveexec_b32 s4, s1
	s_cbranch_execz .LBB115_367
; %bb.364:
	v_dual_mov_b32 v117, 0 :: v_dual_add_nc_u32 v118, -15, v0
	s_movk_i32 s5, 0x218
	s_mov_b32 s1, 0
	s_delay_alu instid0(VALU_DEP_1)
	v_add_nc_u32_e32 v117, 0x78, v117
.LBB115_365:                            ; =>This Inner Loop Header: Depth=1
	scratch_load_b64 v[119:120], v117, off
	v_dual_mov_b32 v121, s5 :: v_dual_add_nc_u32 v118, -1, v118
	v_add_nc_u32_e32 v117, 8, v117
	s_add_i32 s5, s5, 8
	ds_load_b64 v[121:122], v121
	v_cmp_eq_u32_e32 vcc_lo, 0, v118
	s_or_b32 s1, vcc_lo, s1
	s_waitcnt vmcnt(0) lgkmcnt(0)
	v_fma_f64 v[105:106], v[119:120], v[121:122], v[105:106]
	s_and_not1_b32 exec_lo, exec_lo, s1
	s_cbranch_execnz .LBB115_365
; %bb.366:
	s_or_b32 exec_lo, exec_lo, s1
.LBB115_367:
	s_delay_alu instid0(SALU_CYCLE_1)
	s_or_b32 exec_lo, exec_lo, s4
	v_mov_b32_e32 v117, 0
	ds_load_b64 v[117:118], v117 offset:112
	s_waitcnt lgkmcnt(0)
	v_mul_f64 v[105:106], v[105:106], v[117:118]
	scratch_store_b64 off, v[105:106], off offset:112
.LBB115_368:
	s_or_b32 exec_lo, exec_lo, s3
	scratch_load_b64 v[105:106], off, off offset:104
	v_cmp_lt_u32_e64 s1, 13, v0
	s_waitcnt vmcnt(0)
	ds_store_b64 v108, v[105:106]
	s_waitcnt lgkmcnt(0)
	s_waitcnt_vscnt null, 0x0
	s_barrier
	buffer_gl0_inv
	s_and_saveexec_b32 s3, s1
	s_cbranch_execz .LBB115_378
; %bb.369:
	s_and_not1_b32 vcc_lo, exec_lo, s2
	s_cbranch_vccnz .LBB115_371
; %bb.370:
	scratch_load_b64 v[105:106], v109, off
	ds_load_b64 v[117:118], v108
	s_waitcnt vmcnt(0) lgkmcnt(0)
	v_mul_f64 v[105:106], v[105:106], v[117:118]
	s_cbranch_execz .LBB115_372
	s_branch .LBB115_373
.LBB115_371:
                                        ; implicit-def: $vgpr105_vgpr106
.LBB115_372:
	ds_load_b64 v[105:106], v108
.LBB115_373:
	s_and_saveexec_b32 s4, s0
	s_cbranch_execz .LBB115_377
; %bb.374:
	v_add_nc_u32_e32 v117, -14, v0
	s_movk_i32 s5, 0x210
	s_mov_b32 s0, 0
.LBB115_375:                            ; =>This Inner Loop Header: Depth=1
	scratch_load_b64 v[118:119], v116, off
	v_dual_mov_b32 v120, s5 :: v_dual_add_nc_u32 v117, -1, v117
	v_add_nc_u32_e32 v116, 8, v116
	s_add_i32 s5, s5, 8
	ds_load_b64 v[120:121], v120
	v_cmp_eq_u32_e32 vcc_lo, 0, v117
	s_or_b32 s0, vcc_lo, s0
	s_waitcnt vmcnt(0) lgkmcnt(0)
	v_fma_f64 v[105:106], v[118:119], v[120:121], v[105:106]
	s_and_not1_b32 exec_lo, exec_lo, s0
	s_cbranch_execnz .LBB115_375
; %bb.376:
	s_or_b32 exec_lo, exec_lo, s0
.LBB115_377:
	s_delay_alu instid0(SALU_CYCLE_1)
	s_or_b32 exec_lo, exec_lo, s4
	v_mov_b32_e32 v116, 0
	ds_load_b64 v[116:117], v116 offset:104
	s_waitcnt lgkmcnt(0)
	v_mul_f64 v[105:106], v[105:106], v[116:117]
	scratch_store_b64 off, v[105:106], off offset:104
.LBB115_378:
	s_or_b32 exec_lo, exec_lo, s3
	scratch_load_b64 v[105:106], off, off offset:96
	v_cmp_lt_u32_e64 s0, 12, v0
	s_waitcnt vmcnt(0)
	ds_store_b64 v108, v[105:106]
	s_waitcnt lgkmcnt(0)
	s_waitcnt_vscnt null, 0x0
	s_barrier
	buffer_gl0_inv
	s_and_saveexec_b32 s3, s0
	s_cbranch_execz .LBB115_388
; %bb.379:
	s_and_not1_b32 vcc_lo, exec_lo, s2
	s_cbranch_vccnz .LBB115_381
; %bb.380:
	scratch_load_b64 v[105:106], v109, off
	ds_load_b64 v[116:117], v108
	s_waitcnt vmcnt(0) lgkmcnt(0)
	v_mul_f64 v[105:106], v[105:106], v[116:117]
	s_cbranch_execz .LBB115_382
	s_branch .LBB115_383
.LBB115_381:
                                        ; implicit-def: $vgpr105_vgpr106
.LBB115_382:
	ds_load_b64 v[105:106], v108
.LBB115_383:
	s_and_saveexec_b32 s4, s1
	s_cbranch_execz .LBB115_387
; %bb.384:
	v_dual_mov_b32 v116, 0 :: v_dual_add_nc_u32 v117, -13, v0
	s_movk_i32 s5, 0x208
	s_mov_b32 s1, 0
	s_delay_alu instid0(VALU_DEP_1)
	v_add_nc_u32_e32 v116, 0x68, v116
.LBB115_385:                            ; =>This Inner Loop Header: Depth=1
	scratch_load_b64 v[118:119], v116, off
	v_dual_mov_b32 v120, s5 :: v_dual_add_nc_u32 v117, -1, v117
	v_add_nc_u32_e32 v116, 8, v116
	s_add_i32 s5, s5, 8
	ds_load_b64 v[120:121], v120
	v_cmp_eq_u32_e32 vcc_lo, 0, v117
	s_or_b32 s1, vcc_lo, s1
	s_waitcnt vmcnt(0) lgkmcnt(0)
	v_fma_f64 v[105:106], v[118:119], v[120:121], v[105:106]
	s_and_not1_b32 exec_lo, exec_lo, s1
	s_cbranch_execnz .LBB115_385
; %bb.386:
	s_or_b32 exec_lo, exec_lo, s1
.LBB115_387:
	s_delay_alu instid0(SALU_CYCLE_1)
	s_or_b32 exec_lo, exec_lo, s4
	v_mov_b32_e32 v116, 0
	ds_load_b64 v[116:117], v116 offset:96
	s_waitcnt lgkmcnt(0)
	v_mul_f64 v[105:106], v[105:106], v[116:117]
	scratch_store_b64 off, v[105:106], off offset:96
.LBB115_388:
	s_or_b32 exec_lo, exec_lo, s3
	scratch_load_b64 v[105:106], off, off offset:88
	v_cmp_lt_u32_e64 s1, 11, v0
	s_waitcnt vmcnt(0)
	ds_store_b64 v108, v[105:106]
	s_waitcnt lgkmcnt(0)
	s_waitcnt_vscnt null, 0x0
	s_barrier
	buffer_gl0_inv
	s_and_saveexec_b32 s3, s1
	s_cbranch_execz .LBB115_398
; %bb.389:
	s_and_not1_b32 vcc_lo, exec_lo, s2
	s_cbranch_vccnz .LBB115_391
; %bb.390:
	scratch_load_b64 v[105:106], v109, off
	ds_load_b64 v[116:117], v108
	s_waitcnt vmcnt(0) lgkmcnt(0)
	v_mul_f64 v[105:106], v[105:106], v[116:117]
	s_cbranch_execz .LBB115_392
	s_branch .LBB115_393
.LBB115_391:
                                        ; implicit-def: $vgpr105_vgpr106
.LBB115_392:
	ds_load_b64 v[105:106], v108
.LBB115_393:
	s_and_saveexec_b32 s4, s0
	s_cbranch_execz .LBB115_397
; %bb.394:
	v_add_nc_u32_e32 v116, -12, v0
	s_movk_i32 s5, 0x200
	s_mov_b32 s0, 0
.LBB115_395:                            ; =>This Inner Loop Header: Depth=1
	scratch_load_b64 v[117:118], v115, off
	v_dual_mov_b32 v119, s5 :: v_dual_add_nc_u32 v116, -1, v116
	v_add_nc_u32_e32 v115, 8, v115
	s_add_i32 s5, s5, 8
	ds_load_b64 v[119:120], v119
	v_cmp_eq_u32_e32 vcc_lo, 0, v116
	s_or_b32 s0, vcc_lo, s0
	s_waitcnt vmcnt(0) lgkmcnt(0)
	v_fma_f64 v[105:106], v[117:118], v[119:120], v[105:106]
	s_and_not1_b32 exec_lo, exec_lo, s0
	s_cbranch_execnz .LBB115_395
; %bb.396:
	s_or_b32 exec_lo, exec_lo, s0
.LBB115_397:
	s_delay_alu instid0(SALU_CYCLE_1)
	s_or_b32 exec_lo, exec_lo, s4
	v_mov_b32_e32 v115, 0
	ds_load_b64 v[115:116], v115 offset:88
	s_waitcnt lgkmcnt(0)
	v_mul_f64 v[105:106], v[105:106], v[115:116]
	scratch_store_b64 off, v[105:106], off offset:88
.LBB115_398:
	s_or_b32 exec_lo, exec_lo, s3
	scratch_load_b64 v[105:106], off, off offset:80
	v_cmp_lt_u32_e64 s0, 10, v0
	s_waitcnt vmcnt(0)
	ds_store_b64 v108, v[105:106]
	s_waitcnt lgkmcnt(0)
	s_waitcnt_vscnt null, 0x0
	s_barrier
	buffer_gl0_inv
	s_and_saveexec_b32 s3, s0
	s_cbranch_execz .LBB115_408
; %bb.399:
	s_and_not1_b32 vcc_lo, exec_lo, s2
	s_cbranch_vccnz .LBB115_401
; %bb.400:
	scratch_load_b64 v[105:106], v109, off
	ds_load_b64 v[115:116], v108
	s_waitcnt vmcnt(0) lgkmcnt(0)
	v_mul_f64 v[105:106], v[105:106], v[115:116]
	s_cbranch_execz .LBB115_402
	s_branch .LBB115_403
.LBB115_401:
                                        ; implicit-def: $vgpr105_vgpr106
.LBB115_402:
	ds_load_b64 v[105:106], v108
.LBB115_403:
	s_and_saveexec_b32 s4, s1
	s_cbranch_execz .LBB115_407
; %bb.404:
	v_dual_mov_b32 v115, 0 :: v_dual_add_nc_u32 v116, -11, v0
	s_movk_i32 s5, 0x1f8
	s_mov_b32 s1, 0
	s_delay_alu instid0(VALU_DEP_1)
	v_add_nc_u32_e32 v115, 0x58, v115
.LBB115_405:                            ; =>This Inner Loop Header: Depth=1
	scratch_load_b64 v[117:118], v115, off
	v_dual_mov_b32 v119, s5 :: v_dual_add_nc_u32 v116, -1, v116
	v_add_nc_u32_e32 v115, 8, v115
	s_add_i32 s5, s5, 8
	ds_load_b64 v[119:120], v119
	v_cmp_eq_u32_e32 vcc_lo, 0, v116
	s_or_b32 s1, vcc_lo, s1
	s_waitcnt vmcnt(0) lgkmcnt(0)
	v_fma_f64 v[105:106], v[117:118], v[119:120], v[105:106]
	s_and_not1_b32 exec_lo, exec_lo, s1
	s_cbranch_execnz .LBB115_405
; %bb.406:
	s_or_b32 exec_lo, exec_lo, s1
.LBB115_407:
	s_delay_alu instid0(SALU_CYCLE_1)
	s_or_b32 exec_lo, exec_lo, s4
	v_mov_b32_e32 v115, 0
	ds_load_b64 v[115:116], v115 offset:80
	s_waitcnt lgkmcnt(0)
	v_mul_f64 v[105:106], v[105:106], v[115:116]
	scratch_store_b64 off, v[105:106], off offset:80
.LBB115_408:
	s_or_b32 exec_lo, exec_lo, s3
	scratch_load_b64 v[105:106], off, off offset:72
	v_cmp_lt_u32_e64 s1, 9, v0
	s_waitcnt vmcnt(0)
	ds_store_b64 v108, v[105:106]
	s_waitcnt lgkmcnt(0)
	s_waitcnt_vscnt null, 0x0
	s_barrier
	buffer_gl0_inv
	s_and_saveexec_b32 s3, s1
	s_cbranch_execz .LBB115_418
; %bb.409:
	s_and_not1_b32 vcc_lo, exec_lo, s2
	s_cbranch_vccnz .LBB115_411
; %bb.410:
	scratch_load_b64 v[105:106], v109, off
	ds_load_b64 v[115:116], v108
	s_waitcnt vmcnt(0) lgkmcnt(0)
	v_mul_f64 v[105:106], v[105:106], v[115:116]
	s_cbranch_execz .LBB115_412
	s_branch .LBB115_413
.LBB115_411:
                                        ; implicit-def: $vgpr105_vgpr106
.LBB115_412:
	ds_load_b64 v[105:106], v108
.LBB115_413:
	s_and_saveexec_b32 s4, s0
	s_cbranch_execz .LBB115_417
; %bb.414:
	v_add_nc_u32_e32 v115, -10, v0
	s_movk_i32 s5, 0x1f0
	s_mov_b32 s0, 0
.LBB115_415:                            ; =>This Inner Loop Header: Depth=1
	scratch_load_b64 v[116:117], v114, off
	v_dual_mov_b32 v118, s5 :: v_dual_add_nc_u32 v115, -1, v115
	v_add_nc_u32_e32 v114, 8, v114
	s_add_i32 s5, s5, 8
	ds_load_b64 v[118:119], v118
	v_cmp_eq_u32_e32 vcc_lo, 0, v115
	s_or_b32 s0, vcc_lo, s0
	s_waitcnt vmcnt(0) lgkmcnt(0)
	v_fma_f64 v[105:106], v[116:117], v[118:119], v[105:106]
	s_and_not1_b32 exec_lo, exec_lo, s0
	s_cbranch_execnz .LBB115_415
; %bb.416:
	s_or_b32 exec_lo, exec_lo, s0
.LBB115_417:
	s_delay_alu instid0(SALU_CYCLE_1)
	s_or_b32 exec_lo, exec_lo, s4
	v_mov_b32_e32 v114, 0
	ds_load_b64 v[114:115], v114 offset:72
	s_waitcnt lgkmcnt(0)
	v_mul_f64 v[105:106], v[105:106], v[114:115]
	scratch_store_b64 off, v[105:106], off offset:72
.LBB115_418:
	s_or_b32 exec_lo, exec_lo, s3
	scratch_load_b64 v[105:106], off, off offset:64
	v_cmp_lt_u32_e64 s0, 8, v0
	s_waitcnt vmcnt(0)
	ds_store_b64 v108, v[105:106]
	s_waitcnt lgkmcnt(0)
	s_waitcnt_vscnt null, 0x0
	s_barrier
	buffer_gl0_inv
	s_and_saveexec_b32 s3, s0
	s_cbranch_execz .LBB115_428
; %bb.419:
	s_and_not1_b32 vcc_lo, exec_lo, s2
	s_cbranch_vccnz .LBB115_421
; %bb.420:
	scratch_load_b64 v[105:106], v109, off
	ds_load_b64 v[114:115], v108
	s_waitcnt vmcnt(0) lgkmcnt(0)
	v_mul_f64 v[105:106], v[105:106], v[114:115]
	s_cbranch_execz .LBB115_422
	s_branch .LBB115_423
.LBB115_421:
                                        ; implicit-def: $vgpr105_vgpr106
.LBB115_422:
	ds_load_b64 v[105:106], v108
.LBB115_423:
	s_and_saveexec_b32 s4, s1
	s_cbranch_execz .LBB115_427
; %bb.424:
	v_dual_mov_b32 v114, 0 :: v_dual_add_nc_u32 v115, -9, v0
	s_movk_i32 s5, 0x1e8
	s_mov_b32 s1, 0
	s_delay_alu instid0(VALU_DEP_1)
	v_add_nc_u32_e32 v114, 0x48, v114
.LBB115_425:                            ; =>This Inner Loop Header: Depth=1
	scratch_load_b64 v[116:117], v114, off
	v_dual_mov_b32 v118, s5 :: v_dual_add_nc_u32 v115, -1, v115
	v_add_nc_u32_e32 v114, 8, v114
	s_add_i32 s5, s5, 8
	ds_load_b64 v[118:119], v118
	v_cmp_eq_u32_e32 vcc_lo, 0, v115
	s_or_b32 s1, vcc_lo, s1
	s_waitcnt vmcnt(0) lgkmcnt(0)
	v_fma_f64 v[105:106], v[116:117], v[118:119], v[105:106]
	s_and_not1_b32 exec_lo, exec_lo, s1
	s_cbranch_execnz .LBB115_425
; %bb.426:
	s_or_b32 exec_lo, exec_lo, s1
.LBB115_427:
	s_delay_alu instid0(SALU_CYCLE_1)
	s_or_b32 exec_lo, exec_lo, s4
	v_mov_b32_e32 v114, 0
	ds_load_b64 v[114:115], v114 offset:64
	s_waitcnt lgkmcnt(0)
	v_mul_f64 v[105:106], v[105:106], v[114:115]
	scratch_store_b64 off, v[105:106], off offset:64
.LBB115_428:
	s_or_b32 exec_lo, exec_lo, s3
	scratch_load_b64 v[105:106], off, off offset:56
	v_cmp_lt_u32_e64 s1, 7, v0
	s_waitcnt vmcnt(0)
	ds_store_b64 v108, v[105:106]
	s_waitcnt lgkmcnt(0)
	s_waitcnt_vscnt null, 0x0
	s_barrier
	buffer_gl0_inv
	s_and_saveexec_b32 s3, s1
	s_cbranch_execz .LBB115_438
; %bb.429:
	s_and_not1_b32 vcc_lo, exec_lo, s2
	s_cbranch_vccnz .LBB115_431
; %bb.430:
	scratch_load_b64 v[105:106], v109, off
	ds_load_b64 v[114:115], v108
	s_waitcnt vmcnt(0) lgkmcnt(0)
	v_mul_f64 v[105:106], v[105:106], v[114:115]
	s_cbranch_execz .LBB115_432
	s_branch .LBB115_433
.LBB115_431:
                                        ; implicit-def: $vgpr105_vgpr106
.LBB115_432:
	ds_load_b64 v[105:106], v108
.LBB115_433:
	s_and_saveexec_b32 s4, s0
	s_cbranch_execz .LBB115_437
; %bb.434:
	v_add_nc_u32_e32 v114, -8, v0
	s_movk_i32 s5, 0x1e0
	s_mov_b32 s0, 0
.LBB115_435:                            ; =>This Inner Loop Header: Depth=1
	scratch_load_b64 v[115:116], v113, off
	v_dual_mov_b32 v117, s5 :: v_dual_add_nc_u32 v114, -1, v114
	v_add_nc_u32_e32 v113, 8, v113
	s_add_i32 s5, s5, 8
	ds_load_b64 v[117:118], v117
	v_cmp_eq_u32_e32 vcc_lo, 0, v114
	s_or_b32 s0, vcc_lo, s0
	s_waitcnt vmcnt(0) lgkmcnt(0)
	v_fma_f64 v[105:106], v[115:116], v[117:118], v[105:106]
	s_and_not1_b32 exec_lo, exec_lo, s0
	s_cbranch_execnz .LBB115_435
; %bb.436:
	s_or_b32 exec_lo, exec_lo, s0
.LBB115_437:
	s_delay_alu instid0(SALU_CYCLE_1)
	s_or_b32 exec_lo, exec_lo, s4
	v_mov_b32_e32 v113, 0
	ds_load_b64 v[113:114], v113 offset:56
	s_waitcnt lgkmcnt(0)
	v_mul_f64 v[105:106], v[105:106], v[113:114]
	scratch_store_b64 off, v[105:106], off offset:56
.LBB115_438:
	s_or_b32 exec_lo, exec_lo, s3
	scratch_load_b64 v[105:106], off, off offset:48
	v_cmp_lt_u32_e64 s0, 6, v0
	s_waitcnt vmcnt(0)
	ds_store_b64 v108, v[105:106]
	s_waitcnt lgkmcnt(0)
	s_waitcnt_vscnt null, 0x0
	s_barrier
	buffer_gl0_inv
	s_and_saveexec_b32 s3, s0
	s_cbranch_execz .LBB115_448
; %bb.439:
	s_and_not1_b32 vcc_lo, exec_lo, s2
	s_cbranch_vccnz .LBB115_441
; %bb.440:
	scratch_load_b64 v[105:106], v109, off
	ds_load_b64 v[113:114], v108
	s_waitcnt vmcnt(0) lgkmcnt(0)
	v_mul_f64 v[105:106], v[105:106], v[113:114]
	s_cbranch_execz .LBB115_442
	s_branch .LBB115_443
.LBB115_441:
                                        ; implicit-def: $vgpr105_vgpr106
.LBB115_442:
	ds_load_b64 v[105:106], v108
.LBB115_443:
	s_and_saveexec_b32 s4, s1
	s_cbranch_execz .LBB115_447
; %bb.444:
	v_add_nc_u32_e64 v113, 0, 56
	v_add_nc_u32_e32 v114, -7, v0
	s_movk_i32 s5, 0x1d8
	s_mov_b32 s1, 0
.LBB115_445:                            ; =>This Inner Loop Header: Depth=1
	scratch_load_b64 v[115:116], v113, off
	v_dual_mov_b32 v117, s5 :: v_dual_add_nc_u32 v114, -1, v114
	v_add_nc_u32_e32 v113, 8, v113
	s_add_i32 s5, s5, 8
	ds_load_b64 v[117:118], v117
	v_cmp_eq_u32_e32 vcc_lo, 0, v114
	s_or_b32 s1, vcc_lo, s1
	s_waitcnt vmcnt(0) lgkmcnt(0)
	v_fma_f64 v[105:106], v[115:116], v[117:118], v[105:106]
	s_and_not1_b32 exec_lo, exec_lo, s1
	s_cbranch_execnz .LBB115_445
; %bb.446:
	s_or_b32 exec_lo, exec_lo, s1
.LBB115_447:
	s_delay_alu instid0(SALU_CYCLE_1)
	s_or_b32 exec_lo, exec_lo, s4
	v_mov_b32_e32 v113, 0
	ds_load_b64 v[113:114], v113 offset:48
	s_waitcnt lgkmcnt(0)
	v_mul_f64 v[105:106], v[105:106], v[113:114]
	scratch_store_b64 off, v[105:106], off offset:48
.LBB115_448:
	s_or_b32 exec_lo, exec_lo, s3
	scratch_load_b64 v[105:106], off, off offset:40
	v_cmp_lt_u32_e64 s1, 5, v0
	s_waitcnt vmcnt(0)
	ds_store_b64 v108, v[105:106]
	s_waitcnt lgkmcnt(0)
	s_waitcnt_vscnt null, 0x0
	s_barrier
	buffer_gl0_inv
	s_and_saveexec_b32 s3, s1
	s_cbranch_execz .LBB115_458
; %bb.449:
	s_and_not1_b32 vcc_lo, exec_lo, s2
	s_cbranch_vccnz .LBB115_451
; %bb.450:
	scratch_load_b64 v[105:106], v109, off
	ds_load_b64 v[113:114], v108
	s_waitcnt vmcnt(0) lgkmcnt(0)
	v_mul_f64 v[105:106], v[105:106], v[113:114]
	s_cbranch_execz .LBB115_452
	s_branch .LBB115_453
.LBB115_451:
                                        ; implicit-def: $vgpr105_vgpr106
.LBB115_452:
	ds_load_b64 v[105:106], v108
.LBB115_453:
	s_and_saveexec_b32 s4, s0
	s_cbranch_execz .LBB115_457
; %bb.454:
	v_add_nc_u32_e32 v113, -6, v0
	s_movk_i32 s5, 0x1d0
	s_mov_b32 s0, 0
.LBB115_455:                            ; =>This Inner Loop Header: Depth=1
	scratch_load_b64 v[114:115], v112, off
	v_dual_mov_b32 v116, s5 :: v_dual_add_nc_u32 v113, -1, v113
	v_add_nc_u32_e32 v112, 8, v112
	s_add_i32 s5, s5, 8
	ds_load_b64 v[116:117], v116
	v_cmp_eq_u32_e32 vcc_lo, 0, v113
	s_or_b32 s0, vcc_lo, s0
	s_waitcnt vmcnt(0) lgkmcnt(0)
	v_fma_f64 v[105:106], v[114:115], v[116:117], v[105:106]
	s_and_not1_b32 exec_lo, exec_lo, s0
	s_cbranch_execnz .LBB115_455
; %bb.456:
	s_or_b32 exec_lo, exec_lo, s0
.LBB115_457:
	s_delay_alu instid0(SALU_CYCLE_1)
	s_or_b32 exec_lo, exec_lo, s4
	v_mov_b32_e32 v112, 0
	ds_load_b64 v[112:113], v112 offset:40
	s_waitcnt lgkmcnt(0)
	v_mul_f64 v[105:106], v[105:106], v[112:113]
	scratch_store_b64 off, v[105:106], off offset:40
.LBB115_458:
	s_or_b32 exec_lo, exec_lo, s3
	scratch_load_b64 v[105:106], off, off offset:32
	v_cmp_lt_u32_e64 s0, 4, v0
	s_waitcnt vmcnt(0)
	ds_store_b64 v108, v[105:106]
	s_waitcnt lgkmcnt(0)
	s_waitcnt_vscnt null, 0x0
	s_barrier
	buffer_gl0_inv
	s_and_saveexec_b32 s3, s0
	s_cbranch_execz .LBB115_468
; %bb.459:
	s_and_not1_b32 vcc_lo, exec_lo, s2
	s_cbranch_vccnz .LBB115_461
; %bb.460:
	scratch_load_b64 v[105:106], v109, off
	ds_load_b64 v[112:113], v108
	s_waitcnt vmcnt(0) lgkmcnt(0)
	v_mul_f64 v[105:106], v[105:106], v[112:113]
	s_cbranch_execz .LBB115_462
	s_branch .LBB115_463
.LBB115_461:
                                        ; implicit-def: $vgpr105_vgpr106
.LBB115_462:
	ds_load_b64 v[105:106], v108
.LBB115_463:
	s_and_saveexec_b32 s4, s1
	s_cbranch_execz .LBB115_467
; %bb.464:
	v_add_nc_u32_e64 v112, 0, 40
	v_add_nc_u32_e32 v113, -5, v0
	s_movk_i32 s5, 0x1c8
	s_mov_b32 s1, 0
.LBB115_465:                            ; =>This Inner Loop Header: Depth=1
	scratch_load_b64 v[114:115], v112, off
	v_dual_mov_b32 v116, s5 :: v_dual_add_nc_u32 v113, -1, v113
	v_add_nc_u32_e32 v112, 8, v112
	s_add_i32 s5, s5, 8
	ds_load_b64 v[116:117], v116
	v_cmp_eq_u32_e32 vcc_lo, 0, v113
	s_or_b32 s1, vcc_lo, s1
	s_waitcnt vmcnt(0) lgkmcnt(0)
	v_fma_f64 v[105:106], v[114:115], v[116:117], v[105:106]
	s_and_not1_b32 exec_lo, exec_lo, s1
	s_cbranch_execnz .LBB115_465
; %bb.466:
	s_or_b32 exec_lo, exec_lo, s1
.LBB115_467:
	s_delay_alu instid0(SALU_CYCLE_1)
	s_or_b32 exec_lo, exec_lo, s4
	v_mov_b32_e32 v112, 0
	ds_load_b64 v[112:113], v112 offset:32
	s_waitcnt lgkmcnt(0)
	v_mul_f64 v[105:106], v[105:106], v[112:113]
	scratch_store_b64 off, v[105:106], off offset:32
.LBB115_468:
	s_or_b32 exec_lo, exec_lo, s3
	scratch_load_b64 v[105:106], off, off offset:24
	v_cmp_lt_u32_e64 s1, 3, v0
	s_waitcnt vmcnt(0)
	ds_store_b64 v108, v[105:106]
	s_waitcnt lgkmcnt(0)
	s_waitcnt_vscnt null, 0x0
	s_barrier
	buffer_gl0_inv
	s_and_saveexec_b32 s3, s1
	s_cbranch_execz .LBB115_478
; %bb.469:
	s_and_not1_b32 vcc_lo, exec_lo, s2
	s_cbranch_vccnz .LBB115_471
; %bb.470:
	scratch_load_b64 v[105:106], v109, off
	ds_load_b64 v[112:113], v108
	s_waitcnt vmcnt(0) lgkmcnt(0)
	v_mul_f64 v[105:106], v[105:106], v[112:113]
	s_cbranch_execz .LBB115_472
	s_branch .LBB115_473
.LBB115_471:
                                        ; implicit-def: $vgpr105_vgpr106
.LBB115_472:
	ds_load_b64 v[105:106], v108
.LBB115_473:
	s_and_saveexec_b32 s4, s0
	s_cbranch_execz .LBB115_477
; %bb.474:
	v_add_nc_u32_e32 v112, -4, v0
	s_movk_i32 s5, 0x1c0
	s_mov_b32 s0, 0
.LBB115_475:                            ; =>This Inner Loop Header: Depth=1
	scratch_load_b64 v[113:114], v111, off
	v_dual_mov_b32 v115, s5 :: v_dual_add_nc_u32 v112, -1, v112
	v_add_nc_u32_e32 v111, 8, v111
	s_add_i32 s5, s5, 8
	ds_load_b64 v[115:116], v115
	v_cmp_eq_u32_e32 vcc_lo, 0, v112
	s_or_b32 s0, vcc_lo, s0
	s_waitcnt vmcnt(0) lgkmcnt(0)
	v_fma_f64 v[105:106], v[113:114], v[115:116], v[105:106]
	s_and_not1_b32 exec_lo, exec_lo, s0
	s_cbranch_execnz .LBB115_475
; %bb.476:
	s_or_b32 exec_lo, exec_lo, s0
.LBB115_477:
	s_delay_alu instid0(SALU_CYCLE_1)
	s_or_b32 exec_lo, exec_lo, s4
	v_mov_b32_e32 v111, 0
	ds_load_b64 v[111:112], v111 offset:24
	s_waitcnt lgkmcnt(0)
	v_mul_f64 v[105:106], v[105:106], v[111:112]
	scratch_store_b64 off, v[105:106], off offset:24
.LBB115_478:
	s_or_b32 exec_lo, exec_lo, s3
	scratch_load_b64 v[105:106], off, off offset:16
	v_cmp_lt_u32_e64 s0, 2, v0
	s_waitcnt vmcnt(0)
	ds_store_b64 v108, v[105:106]
	s_waitcnt lgkmcnt(0)
	s_waitcnt_vscnt null, 0x0
	s_barrier
	buffer_gl0_inv
	s_and_saveexec_b32 s3, s0
	s_cbranch_execz .LBB115_488
; %bb.479:
	s_and_not1_b32 vcc_lo, exec_lo, s2
	s_cbranch_vccnz .LBB115_481
; %bb.480:
	scratch_load_b64 v[105:106], v109, off
	ds_load_b64 v[111:112], v108
	s_waitcnt vmcnt(0) lgkmcnt(0)
	v_mul_f64 v[105:106], v[105:106], v[111:112]
	s_cbranch_execz .LBB115_482
	s_branch .LBB115_483
.LBB115_481:
                                        ; implicit-def: $vgpr105_vgpr106
.LBB115_482:
	ds_load_b64 v[105:106], v108
.LBB115_483:
	s_and_saveexec_b32 s4, s1
	s_cbranch_execz .LBB115_487
; %bb.484:
	v_add_nc_u32_e64 v111, 0, 24
	v_add_nc_u32_e32 v112, -3, v0
	s_movk_i32 s5, 0x1b8
	s_mov_b32 s1, 0
.LBB115_485:                            ; =>This Inner Loop Header: Depth=1
	scratch_load_b64 v[113:114], v111, off
	v_dual_mov_b32 v115, s5 :: v_dual_add_nc_u32 v112, -1, v112
	v_add_nc_u32_e32 v111, 8, v111
	s_add_i32 s5, s5, 8
	ds_load_b64 v[115:116], v115
	v_cmp_eq_u32_e32 vcc_lo, 0, v112
	s_or_b32 s1, vcc_lo, s1
	s_waitcnt vmcnt(0) lgkmcnt(0)
	v_fma_f64 v[105:106], v[113:114], v[115:116], v[105:106]
	s_and_not1_b32 exec_lo, exec_lo, s1
	s_cbranch_execnz .LBB115_485
; %bb.486:
	s_or_b32 exec_lo, exec_lo, s1
.LBB115_487:
	s_delay_alu instid0(SALU_CYCLE_1)
	s_or_b32 exec_lo, exec_lo, s4
	v_mov_b32_e32 v111, 0
	ds_load_b64 v[111:112], v111 offset:16
	s_waitcnt lgkmcnt(0)
	v_mul_f64 v[105:106], v[105:106], v[111:112]
	scratch_store_b64 off, v[105:106], off offset:16
.LBB115_488:
	s_or_b32 exec_lo, exec_lo, s3
	scratch_load_b64 v[105:106], off, off offset:8
	v_cmp_lt_u32_e64 s1, 1, v0
	s_waitcnt vmcnt(0)
	ds_store_b64 v108, v[105:106]
	s_waitcnt lgkmcnt(0)
	s_waitcnt_vscnt null, 0x0
	s_barrier
	buffer_gl0_inv
	s_and_saveexec_b32 s3, s1
	s_cbranch_execz .LBB115_498
; %bb.489:
	s_and_not1_b32 vcc_lo, exec_lo, s2
	s_cbranch_vccnz .LBB115_491
; %bb.490:
	scratch_load_b64 v[105:106], v109, off
	ds_load_b64 v[111:112], v108
	s_waitcnt vmcnt(0) lgkmcnt(0)
	v_mul_f64 v[105:106], v[105:106], v[111:112]
	s_cbranch_execz .LBB115_492
	s_branch .LBB115_493
.LBB115_491:
                                        ; implicit-def: $vgpr105_vgpr106
.LBB115_492:
	ds_load_b64 v[105:106], v108
.LBB115_493:
	s_and_saveexec_b32 s4, s0
	s_cbranch_execz .LBB115_497
; %bb.494:
	v_add_nc_u32_e32 v111, -2, v0
	s_movk_i32 s5, 0x1b0
	s_mov_b32 s0, 0
.LBB115_495:                            ; =>This Inner Loop Header: Depth=1
	scratch_load_b64 v[112:113], v110, off
	v_dual_mov_b32 v114, s5 :: v_dual_add_nc_u32 v111, -1, v111
	v_add_nc_u32_e32 v110, 8, v110
	s_add_i32 s5, s5, 8
	ds_load_b64 v[114:115], v114
	v_cmp_eq_u32_e32 vcc_lo, 0, v111
	s_or_b32 s0, vcc_lo, s0
	s_waitcnt vmcnt(0) lgkmcnt(0)
	v_fma_f64 v[105:106], v[112:113], v[114:115], v[105:106]
	s_and_not1_b32 exec_lo, exec_lo, s0
	s_cbranch_execnz .LBB115_495
; %bb.496:
	s_or_b32 exec_lo, exec_lo, s0
.LBB115_497:
	s_delay_alu instid0(SALU_CYCLE_1)
	s_or_b32 exec_lo, exec_lo, s4
	v_mov_b32_e32 v110, 0
	ds_load_b64 v[110:111], v110 offset:8
	s_waitcnt lgkmcnt(0)
	v_mul_f64 v[105:106], v[105:106], v[110:111]
	scratch_store_b64 off, v[105:106], off offset:8
.LBB115_498:
	s_or_b32 exec_lo, exec_lo, s3
	scratch_load_b64 v[105:106], off, off
	s_mov_b32 s0, 0
	s_mov_b32 s3, exec_lo
	s_waitcnt vmcnt(0)
	ds_store_b64 v108, v[105:106]
	s_waitcnt lgkmcnt(0)
	s_waitcnt_vscnt null, 0x0
	s_barrier
	buffer_gl0_inv
	v_cmpx_ne_u32_e32 0, v0
	s_cbranch_execz .LBB115_508
; %bb.499:
	s_and_not1_b32 vcc_lo, exec_lo, s2
	s_cbranch_vccnz .LBB115_501
; %bb.500:
	scratch_load_b64 v[105:106], v109, off
	ds_load_b64 v[110:111], v108
	s_waitcnt vmcnt(0) lgkmcnt(0)
	v_mul_f64 v[105:106], v[105:106], v[110:111]
	s_cbranch_execz .LBB115_502
	s_branch .LBB115_503
.LBB115_501:
                                        ; implicit-def: $vgpr105_vgpr106
.LBB115_502:
	ds_load_b64 v[105:106], v108
.LBB115_503:
	s_and_saveexec_b32 s4, s1
	s_cbranch_execz .LBB115_507
; %bb.504:
	v_or_b32_e64 v110, 0, 8
	v_add_nc_u32_e32 v111, -1, v0
	s_movk_i32 s5, 0x1a8
	s_mov_b32 s1, 0
.LBB115_505:                            ; =>This Inner Loop Header: Depth=1
	scratch_load_b64 v[112:113], v110, off
	v_dual_mov_b32 v114, s5 :: v_dual_add_nc_u32 v111, -1, v111
	v_add_nc_u32_e32 v110, 8, v110
	s_add_i32 s5, s5, 8
	ds_load_b64 v[114:115], v114
	v_cmp_eq_u32_e32 vcc_lo, 0, v111
	s_or_b32 s1, vcc_lo, s1
	s_waitcnt vmcnt(0) lgkmcnt(0)
	v_fma_f64 v[105:106], v[112:113], v[114:115], v[105:106]
	s_and_not1_b32 exec_lo, exec_lo, s1
	s_cbranch_execnz .LBB115_505
; %bb.506:
	s_or_b32 exec_lo, exec_lo, s1
.LBB115_507:
	s_delay_alu instid0(SALU_CYCLE_1)
	s_or_b32 exec_lo, exec_lo, s4
	v_mov_b32_e32 v110, 0
	ds_load_b64 v[110:111], v110
	s_waitcnt lgkmcnt(0)
	v_mul_f64 v[105:106], v[105:106], v[110:111]
	scratch_store_b64 off, v[105:106], off
.LBB115_508:
	s_or_b32 exec_lo, exec_lo, s3
.LBB115_509:
	s_delay_alu instid0(SALU_CYCLE_1)
	s_and_b32 vcc_lo, exec_lo, s0
	s_cbranch_vccz .LBB115_1015
; %bb.510:
	scratch_load_b64 v[105:106], off, off offset:8
	v_cmp_eq_u32_e64 s0, 0, v0
	s_waitcnt vmcnt(0)
	ds_store_b64 v108, v[105:106]
	s_waitcnt lgkmcnt(0)
	s_waitcnt_vscnt null, 0x0
	s_barrier
	buffer_gl0_inv
	s_and_saveexec_b32 s1, s0
	s_cbranch_execz .LBB115_516
; %bb.511:
	s_and_b32 vcc_lo, exec_lo, s2
	s_cbranch_vccz .LBB115_513
; %bb.512:
	scratch_load_b64 v[105:106], v109, off
	ds_load_b64 v[110:111], v108
	s_waitcnt vmcnt(0) lgkmcnt(0)
	v_mul_f64 v[105:106], v[105:106], v[110:111]
	s_cbranch_execz .LBB115_514
	s_branch .LBB115_515
.LBB115_513:
                                        ; implicit-def: $vgpr105_vgpr106
.LBB115_514:
	ds_load_b64 v[105:106], v108
.LBB115_515:
	v_mov_b32_e32 v110, 0
	ds_load_b64 v[110:111], v110 offset:8
	s_waitcnt lgkmcnt(0)
	v_mul_f64 v[105:106], v[105:106], v[110:111]
	scratch_store_b64 off, v[105:106], off offset:8
.LBB115_516:
	s_or_b32 exec_lo, exec_lo, s1
	scratch_load_b64 v[105:106], off, off offset:16
	v_cndmask_b32_e64 v110, 0, 1, s2
	s_mov_b32 s1, exec_lo
	s_waitcnt vmcnt(0)
	ds_store_b64 v108, v[105:106]
	s_waitcnt lgkmcnt(0)
	s_waitcnt_vscnt null, 0x0
	s_barrier
	buffer_gl0_inv
	v_cmpx_gt_u32_e32 2, v0
	s_cbranch_execz .LBB115_524
; %bb.517:
	s_and_not1_b32 vcc_lo, exec_lo, s2
	s_cbranch_vccnz .LBB115_519
; %bb.518:
	scratch_load_b64 v[105:106], v109, off
	ds_load_b64 v[111:112], v108
	s_waitcnt vmcnt(0) lgkmcnt(0)
	v_mul_f64 v[105:106], v[105:106], v[111:112]
	s_cbranch_execz .LBB115_520
	s_branch .LBB115_521
.LBB115_519:
                                        ; implicit-def: $vgpr105_vgpr106
.LBB115_520:
	ds_load_b64 v[105:106], v108
.LBB115_521:
	s_and_saveexec_b32 s2, s0
	s_cbranch_execz .LBB115_523
; %bb.522:
	scratch_load_b64 v[111:112], v109, off offset:8
	ds_load_b64 v[113:114], v108 offset:8
	s_waitcnt vmcnt(0) lgkmcnt(0)
	v_fma_f64 v[105:106], v[111:112], v[113:114], v[105:106]
.LBB115_523:
	s_or_b32 exec_lo, exec_lo, s2
	v_mov_b32_e32 v111, 0
	ds_load_b64 v[111:112], v111 offset:16
	s_waitcnt lgkmcnt(0)
	v_mul_f64 v[105:106], v[105:106], v[111:112]
	scratch_store_b64 off, v[105:106], off offset:16
.LBB115_524:
	s_or_b32 exec_lo, exec_lo, s1
	scratch_load_b64 v[105:106], off, off offset:24
	s_mov_b32 s1, exec_lo
	s_waitcnt vmcnt(0)
	ds_store_b64 v108, v[105:106]
	s_waitcnt lgkmcnt(0)
	s_waitcnt_vscnt null, 0x0
	s_barrier
	buffer_gl0_inv
	v_cmpx_gt_u32_e32 3, v0
	s_cbranch_execz .LBB115_534
; %bb.525:
	v_cmp_ne_u32_e32 vcc_lo, 1, v110
	s_cbranch_vccnz .LBB115_527
; %bb.526:
	scratch_load_b64 v[105:106], v109, off
	ds_load_b64 v[111:112], v108
	s_waitcnt vmcnt(0) lgkmcnt(0)
	v_mul_f64 v[105:106], v[105:106], v[111:112]
	s_cbranch_execz .LBB115_528
	s_branch .LBB115_529
.LBB115_527:
                                        ; implicit-def: $vgpr105_vgpr106
.LBB115_528:
	ds_load_b64 v[105:106], v108
.LBB115_529:
	s_mov_b32 s2, exec_lo
	v_cmpx_ne_u32_e32 2, v0
	s_cbranch_execz .LBB115_533
; %bb.530:
	scratch_load_b64 v[111:112], v109, off offset:8
	ds_load_b64 v[113:114], v108 offset:8
	s_waitcnt vmcnt(0) lgkmcnt(0)
	v_fma_f64 v[105:106], v[111:112], v[113:114], v[105:106]
	s_and_saveexec_b32 s3, s0
	s_cbranch_execz .LBB115_532
; %bb.531:
	scratch_load_b64 v[111:112], off, off offset:16
	v_mov_b32_e32 v113, 0
	ds_load_b64 v[113:114], v113 offset:432
	s_waitcnt vmcnt(0) lgkmcnt(0)
	v_fma_f64 v[105:106], v[111:112], v[113:114], v[105:106]
.LBB115_532:
	s_or_b32 exec_lo, exec_lo, s3
.LBB115_533:
	s_delay_alu instid0(SALU_CYCLE_1)
	s_or_b32 exec_lo, exec_lo, s2
	v_mov_b32_e32 v111, 0
	ds_load_b64 v[111:112], v111 offset:24
	s_waitcnt lgkmcnt(0)
	v_mul_f64 v[105:106], v[105:106], v[111:112]
	scratch_store_b64 off, v[105:106], off offset:24
.LBB115_534:
	s_or_b32 exec_lo, exec_lo, s1
	scratch_load_b64 v[105:106], off, off offset:32
	s_mov_b32 s0, exec_lo
	s_waitcnt vmcnt(0)
	ds_store_b64 v108, v[105:106]
	s_waitcnt lgkmcnt(0)
	s_waitcnt_vscnt null, 0x0
	s_barrier
	buffer_gl0_inv
	v_cmpx_gt_u32_e32 4, v0
	s_cbranch_execz .LBB115_544
; %bb.535:
	v_cmp_ne_u32_e32 vcc_lo, 1, v110
	s_cbranch_vccnz .LBB115_537
; %bb.536:
	scratch_load_b64 v[105:106], v109, off
	ds_load_b64 v[111:112], v108
	s_waitcnt vmcnt(0) lgkmcnt(0)
	v_mul_f64 v[105:106], v[105:106], v[111:112]
	s_cbranch_execz .LBB115_538
	s_branch .LBB115_539
.LBB115_537:
                                        ; implicit-def: $vgpr105_vgpr106
.LBB115_538:
	ds_load_b64 v[105:106], v108
.LBB115_539:
	s_mov_b32 s1, exec_lo
	v_cmpx_ne_u32_e32 3, v0
	s_cbranch_execz .LBB115_543
; %bb.540:
	v_add_nc_u32_e32 v111, 0x1a8, v107
	v_add3_u32 v112, 0, v107, 8
	v_mov_b32_e32 v113, v0
	s_mov_b32 s2, 0
.LBB115_541:                            ; =>This Inner Loop Header: Depth=1
	scratch_load_b64 v[114:115], v112, off
	ds_load_b64 v[116:117], v111
	v_add_nc_u32_e32 v113, 1, v113
	v_add_nc_u32_e32 v111, 8, v111
	v_add_nc_u32_e32 v112, 8, v112
	s_delay_alu instid0(VALU_DEP_3)
	v_cmp_lt_u32_e32 vcc_lo, 2, v113
	s_or_b32 s2, vcc_lo, s2
	s_waitcnt vmcnt(0) lgkmcnt(0)
	v_fma_f64 v[105:106], v[114:115], v[116:117], v[105:106]
	s_and_not1_b32 exec_lo, exec_lo, s2
	s_cbranch_execnz .LBB115_541
; %bb.542:
	s_or_b32 exec_lo, exec_lo, s2
.LBB115_543:
	s_delay_alu instid0(SALU_CYCLE_1)
	s_or_b32 exec_lo, exec_lo, s1
	v_mov_b32_e32 v111, 0
	ds_load_b64 v[111:112], v111 offset:32
	s_waitcnt lgkmcnt(0)
	v_mul_f64 v[105:106], v[105:106], v[111:112]
	scratch_store_b64 off, v[105:106], off offset:32
.LBB115_544:
	s_or_b32 exec_lo, exec_lo, s0
	scratch_load_b64 v[105:106], off, off offset:40
	s_mov_b32 s0, exec_lo
	s_waitcnt vmcnt(0)
	ds_store_b64 v108, v[105:106]
	s_waitcnt lgkmcnt(0)
	s_waitcnt_vscnt null, 0x0
	s_barrier
	buffer_gl0_inv
	v_cmpx_gt_u32_e32 5, v0
	s_cbranch_execz .LBB115_554
; %bb.545:
	v_cmp_ne_u32_e32 vcc_lo, 1, v110
	s_cbranch_vccnz .LBB115_547
; %bb.546:
	scratch_load_b64 v[105:106], v109, off
	ds_load_b64 v[111:112], v108
	s_waitcnt vmcnt(0) lgkmcnt(0)
	v_mul_f64 v[105:106], v[105:106], v[111:112]
	s_cbranch_execz .LBB115_548
	s_branch .LBB115_549
.LBB115_547:
                                        ; implicit-def: $vgpr105_vgpr106
.LBB115_548:
	ds_load_b64 v[105:106], v108
.LBB115_549:
	s_mov_b32 s1, exec_lo
	v_cmpx_ne_u32_e32 4, v0
	s_cbranch_execz .LBB115_553
; %bb.550:
	v_add_nc_u32_e32 v111, 0x1a8, v107
	v_add3_u32 v112, 0, v107, 8
	v_mov_b32_e32 v113, v0
	s_mov_b32 s2, 0
.LBB115_551:                            ; =>This Inner Loop Header: Depth=1
	scratch_load_b64 v[114:115], v112, off
	ds_load_b64 v[116:117], v111
	v_add_nc_u32_e32 v113, 1, v113
	v_add_nc_u32_e32 v111, 8, v111
	v_add_nc_u32_e32 v112, 8, v112
	s_delay_alu instid0(VALU_DEP_3)
	v_cmp_lt_u32_e32 vcc_lo, 3, v113
	s_or_b32 s2, vcc_lo, s2
	s_waitcnt vmcnt(0) lgkmcnt(0)
	v_fma_f64 v[105:106], v[114:115], v[116:117], v[105:106]
	s_and_not1_b32 exec_lo, exec_lo, s2
	s_cbranch_execnz .LBB115_551
; %bb.552:
	s_or_b32 exec_lo, exec_lo, s2
.LBB115_553:
	s_delay_alu instid0(SALU_CYCLE_1)
	s_or_b32 exec_lo, exec_lo, s1
	v_mov_b32_e32 v111, 0
	ds_load_b64 v[111:112], v111 offset:40
	s_waitcnt lgkmcnt(0)
	v_mul_f64 v[105:106], v[105:106], v[111:112]
	scratch_store_b64 off, v[105:106], off offset:40
.LBB115_554:
	;; [unrolled: 58-line block ×46, first 2 shown]
	s_or_b32 exec_lo, exec_lo, s0
	scratch_load_b64 v[105:106], off, off offset:400
	v_cmp_gt_u32_e64 s0, 50, v0
	s_waitcnt vmcnt(0)
	ds_store_b64 v108, v[105:106]
	s_waitcnt lgkmcnt(0)
	s_waitcnt_vscnt null, 0x0
	s_barrier
	buffer_gl0_inv
	s_and_saveexec_b32 s1, s0
	s_cbranch_execz .LBB115_1004
; %bb.995:
	v_cmp_ne_u32_e32 vcc_lo, 1, v110
	s_cbranch_vccnz .LBB115_997
; %bb.996:
	scratch_load_b64 v[105:106], v109, off
	ds_load_b64 v[111:112], v108
	s_waitcnt vmcnt(0) lgkmcnt(0)
	v_mul_f64 v[105:106], v[105:106], v[111:112]
	s_cbranch_execz .LBB115_998
	s_branch .LBB115_999
.LBB115_997:
                                        ; implicit-def: $vgpr105_vgpr106
.LBB115_998:
	ds_load_b64 v[105:106], v108
.LBB115_999:
	s_mov_b32 s2, exec_lo
	v_cmpx_ne_u32_e32 49, v0
	s_cbranch_execz .LBB115_1003
; %bb.1000:
	v_add_nc_u32_e32 v111, 0x1a8, v107
	v_add3_u32 v112, 0, v107, 8
	v_mov_b32_e32 v113, v0
	s_mov_b32 s3, 0
.LBB115_1001:                           ; =>This Inner Loop Header: Depth=1
	scratch_load_b64 v[114:115], v112, off
	ds_load_b64 v[116:117], v111
	v_add_nc_u32_e32 v113, 1, v113
	v_add_nc_u32_e32 v111, 8, v111
	;; [unrolled: 1-line block ×3, first 2 shown]
	s_delay_alu instid0(VALU_DEP_3)
	v_cmp_lt_u32_e32 vcc_lo, 48, v113
	s_or_b32 s3, vcc_lo, s3
	s_waitcnt vmcnt(0) lgkmcnt(0)
	v_fma_f64 v[105:106], v[114:115], v[116:117], v[105:106]
	s_and_not1_b32 exec_lo, exec_lo, s3
	s_cbranch_execnz .LBB115_1001
; %bb.1002:
	s_or_b32 exec_lo, exec_lo, s3
.LBB115_1003:
	s_delay_alu instid0(SALU_CYCLE_1)
	s_or_b32 exec_lo, exec_lo, s2
	v_mov_b32_e32 v111, 0
	ds_load_b64 v[111:112], v111 offset:400
	s_waitcnt lgkmcnt(0)
	v_mul_f64 v[105:106], v[105:106], v[111:112]
	scratch_store_b64 off, v[105:106], off offset:400
.LBB115_1004:
	s_or_b32 exec_lo, exec_lo, s1
	scratch_load_b64 v[105:106], off, off offset:408
	s_mov_b32 s1, exec_lo
	s_waitcnt vmcnt(0)
	ds_store_b64 v108, v[105:106]
	s_waitcnt lgkmcnt(0)
	s_waitcnt_vscnt null, 0x0
	s_barrier
	buffer_gl0_inv
	v_cmpx_ne_u32_e32 51, v0
	s_cbranch_execz .LBB115_1014
; %bb.1005:
	v_cmp_ne_u32_e32 vcc_lo, 1, v110
	s_cbranch_vccnz .LBB115_1007
; %bb.1006:
	scratch_load_b64 v[105:106], v109, off
	ds_load_b64 v[109:110], v108
	s_waitcnt vmcnt(0) lgkmcnt(0)
	v_mul_f64 v[105:106], v[105:106], v[109:110]
	s_cbranch_execz .LBB115_1008
	s_branch .LBB115_1009
.LBB115_1007:
                                        ; implicit-def: $vgpr105_vgpr106
.LBB115_1008:
	ds_load_b64 v[105:106], v108
.LBB115_1009:
	s_and_saveexec_b32 s2, s0
	s_cbranch_execz .LBB115_1013
; %bb.1010:
	v_add_nc_u32_e32 v108, 0x1a8, v107
	v_add3_u32 v107, 0, v107, 8
	s_mov_b32 s0, 0
.LBB115_1011:                           ; =>This Inner Loop Header: Depth=1
	scratch_load_b64 v[109:110], v107, off
	ds_load_b64 v[111:112], v108
	v_add_nc_u32_e32 v0, 1, v0
	v_add_nc_u32_e32 v108, 8, v108
	;; [unrolled: 1-line block ×3, first 2 shown]
	s_delay_alu instid0(VALU_DEP_3)
	v_cmp_lt_u32_e32 vcc_lo, 49, v0
	s_or_b32 s0, vcc_lo, s0
	s_waitcnt vmcnt(0) lgkmcnt(0)
	v_fma_f64 v[105:106], v[109:110], v[111:112], v[105:106]
	s_and_not1_b32 exec_lo, exec_lo, s0
	s_cbranch_execnz .LBB115_1011
; %bb.1012:
	s_or_b32 exec_lo, exec_lo, s0
.LBB115_1013:
	s_delay_alu instid0(SALU_CYCLE_1)
	s_or_b32 exec_lo, exec_lo, s2
	v_mov_b32_e32 v0, 0
	ds_load_b64 v[107:108], v0 offset:408
	s_waitcnt lgkmcnt(0)
	v_mul_f64 v[105:106], v[105:106], v[107:108]
	scratch_store_b64 off, v[105:106], off offset:408
.LBB115_1014:
	s_or_b32 exec_lo, exec_lo, s1
.LBB115_1015:
	s_clause 0x8
	scratch_load_b128 v[105:108], off, off
	scratch_load_b128 v[109:112], off, off offset:16
	scratch_load_b128 v[113:116], off, off offset:32
	;; [unrolled: 1-line block ×8, first 2 shown]
	s_waitcnt vmcnt(8)
	s_clause 0x1
	global_store_b64 v[27:28], v[105:106], off
	global_store_b64 v[31:32], v[107:108], off
	s_clause 0x1
	scratch_load_b128 v[105:108], off, off offset:144
	scratch_load_b128 v[141:144], off, off offset:160
	s_waitcnt vmcnt(9)
	s_clause 0x1
	global_store_b64 v[13:14], v[109:110], off
	global_store_b64 v[7:8], v[111:112], off
	s_clause 0x1
	scratch_load_b128 v[109:112], off, off offset:176
	scratch_load_b128 v[145:148], off, off offset:192
	s_waitcnt vmcnt(10)
	s_clause 0x1
	global_store_b64 v[17:18], v[113:114], off
	global_store_b64 v[5:6], v[115:116], off
	scratch_load_b128 v[5:8], off, off offset:208
	s_waitcnt vmcnt(10)
	global_store_b64 v[11:12], v[117:118], off
	s_clause 0x1
	scratch_load_b128 v[11:14], off, off offset:224
	scratch_load_b128 v[113:116], off, off offset:240
	global_store_b64 v[3:4], v[119:120], off
	scratch_load_b128 v[117:120], off, off offset:256
	s_waitcnt vmcnt(12)
	s_clause 0x1
	global_store_b64 v[45:46], v[121:122], off
	global_store_b64 v[39:40], v[123:124], off
	scratch_load_b128 v[121:124], off, off offset:272
	s_waitcnt vmcnt(12)
	global_store_b64 v[33:34], v[125:126], off
	scratch_load_b128 v[31:34], off, off offset:288
	global_store_b64 v[37:38], v[127:128], off
	s_clause 0x1
	scratch_load_b128 v[37:40], off, off offset:304
	scratch_load_b128 v[125:128], off, off offset:320
	s_waitcnt vmcnt(14)
	s_clause 0x1
	global_store_b64 v[35:36], v[129:130], off
	global_store_b64 v[25:26], v[131:132], off
	s_clause 0x1
	scratch_load_b128 v[25:28], off, off offset:336
	scratch_load_b128 v[129:132], off, off offset:352
	s_waitcnt vmcnt(15)
	s_clause 0x1
	global_store_b64 v[29:30], v[133:134], off
	global_store_b64 v[23:24], v[135:136], off
	scratch_load_b128 v[133:136], off, off offset:368
	s_waitcnt vmcnt(15)
	global_store_b64 v[15:16], v[137:138], off
	scratch_load_b128 v[15:18], off, off offset:384
	global_store_b64 v[9:10], v[139:140], off
	scratch_load_b128 v[137:140], off, off offset:400
	s_waitcnt vmcnt(16)
	s_clause 0x1
	global_store_b64 v[19:20], v[105:106], off
	global_store_b64 v[21:22], v[107:108], off
	s_waitcnt vmcnt(15)
	s_clause 0x1
	global_store_b64 v[41:42], v[141:142], off
	global_store_b64 v[43:44], v[143:144], off
	;; [unrolled: 4-line block ×17, first 2 shown]
.LBB115_1016:
	s_endpgm
	.section	.rodata,"a",@progbits
	.p2align	6, 0x0
	.amdhsa_kernel _ZN9rocsolver6v33100L18trti2_kernel_smallILi52EdPKPdEEv13rocblas_fill_17rocblas_diagonal_T1_iil
		.amdhsa_group_segment_fixed_size 832
		.amdhsa_private_segment_fixed_size 432
		.amdhsa_kernarg_size 32
		.amdhsa_user_sgpr_count 15
		.amdhsa_user_sgpr_dispatch_ptr 0
		.amdhsa_user_sgpr_queue_ptr 0
		.amdhsa_user_sgpr_kernarg_segment_ptr 1
		.amdhsa_user_sgpr_dispatch_id 0
		.amdhsa_user_sgpr_private_segment_size 0
		.amdhsa_wavefront_size32 1
		.amdhsa_uses_dynamic_stack 0
		.amdhsa_enable_private_segment 1
		.amdhsa_system_sgpr_workgroup_id_x 1
		.amdhsa_system_sgpr_workgroup_id_y 0
		.amdhsa_system_sgpr_workgroup_id_z 0
		.amdhsa_system_sgpr_workgroup_info 0
		.amdhsa_system_vgpr_workitem_id 0
		.amdhsa_next_free_vgpr 150
		.amdhsa_next_free_sgpr 23
		.amdhsa_reserve_vcc 1
		.amdhsa_float_round_mode_32 0
		.amdhsa_float_round_mode_16_64 0
		.amdhsa_float_denorm_mode_32 3
		.amdhsa_float_denorm_mode_16_64 3
		.amdhsa_dx10_clamp 1
		.amdhsa_ieee_mode 1
		.amdhsa_fp16_overflow 0
		.amdhsa_workgroup_processor_mode 1
		.amdhsa_memory_ordered 1
		.amdhsa_forward_progress 0
		.amdhsa_shared_vgpr_count 0
		.amdhsa_exception_fp_ieee_invalid_op 0
		.amdhsa_exception_fp_denorm_src 0
		.amdhsa_exception_fp_ieee_div_zero 0
		.amdhsa_exception_fp_ieee_overflow 0
		.amdhsa_exception_fp_ieee_underflow 0
		.amdhsa_exception_fp_ieee_inexact 0
		.amdhsa_exception_int_div_zero 0
	.end_amdhsa_kernel
	.section	.text._ZN9rocsolver6v33100L18trti2_kernel_smallILi52EdPKPdEEv13rocblas_fill_17rocblas_diagonal_T1_iil,"axG",@progbits,_ZN9rocsolver6v33100L18trti2_kernel_smallILi52EdPKPdEEv13rocblas_fill_17rocblas_diagonal_T1_iil,comdat
.Lfunc_end115:
	.size	_ZN9rocsolver6v33100L18trti2_kernel_smallILi52EdPKPdEEv13rocblas_fill_17rocblas_diagonal_T1_iil, .Lfunc_end115-_ZN9rocsolver6v33100L18trti2_kernel_smallILi52EdPKPdEEv13rocblas_fill_17rocblas_diagonal_T1_iil
                                        ; -- End function
	.section	.AMDGPU.csdata,"",@progbits
; Kernel info:
; codeLenInByte = 28528
; NumSgprs: 25
; NumVgprs: 150
; ScratchSize: 432
; MemoryBound: 0
; FloatMode: 240
; IeeeMode: 1
; LDSByteSize: 832 bytes/workgroup (compile time only)
; SGPRBlocks: 3
; VGPRBlocks: 18
; NumSGPRsForWavesPerEU: 25
; NumVGPRsForWavesPerEU: 150
; Occupancy: 9
; WaveLimiterHint : 1
; COMPUTE_PGM_RSRC2:SCRATCH_EN: 1
; COMPUTE_PGM_RSRC2:USER_SGPR: 15
; COMPUTE_PGM_RSRC2:TRAP_HANDLER: 0
; COMPUTE_PGM_RSRC2:TGID_X_EN: 1
; COMPUTE_PGM_RSRC2:TGID_Y_EN: 0
; COMPUTE_PGM_RSRC2:TGID_Z_EN: 0
; COMPUTE_PGM_RSRC2:TIDIG_COMP_CNT: 0
	.section	.text._ZN9rocsolver6v33100L18trti2_kernel_smallILi53EdPKPdEEv13rocblas_fill_17rocblas_diagonal_T1_iil,"axG",@progbits,_ZN9rocsolver6v33100L18trti2_kernel_smallILi53EdPKPdEEv13rocblas_fill_17rocblas_diagonal_T1_iil,comdat
	.globl	_ZN9rocsolver6v33100L18trti2_kernel_smallILi53EdPKPdEEv13rocblas_fill_17rocblas_diagonal_T1_iil ; -- Begin function _ZN9rocsolver6v33100L18trti2_kernel_smallILi53EdPKPdEEv13rocblas_fill_17rocblas_diagonal_T1_iil
	.p2align	8
	.type	_ZN9rocsolver6v33100L18trti2_kernel_smallILi53EdPKPdEEv13rocblas_fill_17rocblas_diagonal_T1_iil,@function
_ZN9rocsolver6v33100L18trti2_kernel_smallILi53EdPKPdEEv13rocblas_fill_17rocblas_diagonal_T1_iil: ; @_ZN9rocsolver6v33100L18trti2_kernel_smallILi53EdPKPdEEv13rocblas_fill_17rocblas_diagonal_T1_iil
; %bb.0:
	s_mov_b32 s2, exec_lo
	v_cmpx_gt_u32_e32 53, v0
	s_cbranch_execz .LBB116_1036
; %bb.1:
	s_clause 0x1
	s_load_b64 s[4:5], s[0:1], 0x10
	s_load_b128 s[0:3], s[0:1], 0x0
	s_mov_b32 s6, s15
	s_ashr_i32 s7, s15, 31
	v_lshlrev_b32_e32 v109, 3, v0
	s_lshl_b64 s[6:7], s[6:7], 3
	s_waitcnt lgkmcnt(0)
	s_ashr_i32 s9, s4, 31
	v_add3_u32 v1, s5, s5, v0
	s_add_u32 s2, s2, s6
	s_addc_u32 s3, s3, s7
	s_mov_b32 s8, s4
	s_load_b64 s[2:3], s[2:3], 0x0
	v_add_nc_u32_e32 v3, s5, v1
	v_ashrrev_i32_e32 v2, 31, v1
	s_lshl_b64 s[8:9], s[8:9], 3
	s_mov_b32 s6, s5
	s_delay_alu instid0(VALU_DEP_2) | instskip(SKIP_2) | instid1(VALU_DEP_3)
	v_add_nc_u32_e32 v5, s5, v3
	v_ashrrev_i32_e32 v4, 31, v3
	v_lshlrev_b64 v[9:10], 3, v[1:2]
	v_add_nc_u32_e32 v7, s5, v5
	s_delay_alu instid0(VALU_DEP_3) | instskip(SKIP_1) | instid1(VALU_DEP_3)
	v_lshlrev_b64 v[3:4], 3, v[3:4]
	v_ashrrev_i32_e32 v6, 31, v5
	v_ashrrev_i32_e32 v8, 31, v7
	v_add_nc_u32_e32 v21, s5, v7
	s_delay_alu instid0(VALU_DEP_3)
	v_lshlrev_b64 v[5:6], 3, v[5:6]
	s_waitcnt lgkmcnt(0)
	s_add_u32 s2, s2, s8
	s_addc_u32 s3, s3, s9
	v_lshlrev_b64 v[7:8], 3, v[7:8]
	v_add_co_u32 v17, vcc_lo, s2, v9
	v_add_co_ci_u32_e32 v18, vcc_lo, s3, v10, vcc_lo
	v_add_co_u32 v15, vcc_lo, s2, v3
	v_add_co_u32 v25, s4, s2, v109
	s_ashr_i32 s7, s5, 31
	v_add_co_ci_u32_e32 v16, vcc_lo, s3, v4, vcc_lo
	v_add_co_ci_u32_e64 v26, null, s3, 0, s4
	v_add_co_u32 v13, vcc_lo, s2, v7
	s_lshl_b64 s[6:7], s[6:7], 3
	v_add_co_ci_u32_e32 v14, vcc_lo, s3, v8, vcc_lo
	v_add_co_u32 v31, vcc_lo, v25, s6
	v_add_co_ci_u32_e32 v32, vcc_lo, s7, v26, vcc_lo
	global_load_b64 v[1:2], v109, s[2:3]
	v_add_co_u32 v19, vcc_lo, s2, v5
	v_add_co_ci_u32_e32 v20, vcc_lo, s3, v6, vcc_lo
	s_clause 0x4
	global_load_b64 v[7:8], v[13:14], off
	global_load_b64 v[3:4], v[31:32], off
	;; [unrolled: 1-line block ×5, first 2 shown]
	v_add_nc_u32_e32 v23, s5, v21
	v_ashrrev_i32_e32 v22, 31, v21
	s_cmpk_lg_i32 s1, 0x84
	s_delay_alu instid0(VALU_DEP_2) | instskip(SKIP_1) | instid1(VALU_DEP_3)
	v_add_nc_u32_e32 v27, s5, v23
	v_ashrrev_i32_e32 v24, 31, v23
	v_lshlrev_b64 v[21:22], 3, v[21:22]
	s_delay_alu instid0(VALU_DEP_3) | instskip(SKIP_1) | instid1(VALU_DEP_4)
	v_add_nc_u32_e32 v29, s5, v27
	v_ashrrev_i32_e32 v28, 31, v27
	v_lshlrev_b64 v[23:24], 3, v[23:24]
	s_delay_alu instid0(VALU_DEP_4) | instskip(NEXT) | instid1(VALU_DEP_4)
	v_add_co_u32 v21, vcc_lo, s2, v21
	v_add_nc_u32_e32 v33, s5, v29
	v_ashrrev_i32_e32 v30, 31, v29
	v_lshlrev_b64 v[27:28], 3, v[27:28]
	v_add_co_ci_u32_e32 v22, vcc_lo, s3, v22, vcc_lo
	s_delay_alu instid0(VALU_DEP_4) | instskip(SKIP_3) | instid1(VALU_DEP_4)
	v_add_nc_u32_e32 v35, s5, v33
	v_ashrrev_i32_e32 v34, 31, v33
	v_add_co_u32 v23, vcc_lo, s2, v23
	v_lshlrev_b64 v[29:30], 3, v[29:30]
	v_add_nc_u32_e32 v37, s5, v35
	v_add_co_ci_u32_e32 v24, vcc_lo, s3, v24, vcc_lo
	v_add_co_u32 v27, vcc_lo, s2, v27
	v_lshlrev_b64 v[33:34], 3, v[33:34]
	v_ashrrev_i32_e32 v36, 31, v35
	v_add_co_ci_u32_e32 v28, vcc_lo, s3, v28, vcc_lo
	v_add_co_u32 v29, vcc_lo, s2, v29
	v_ashrrev_i32_e32 v38, 31, v37
	v_add_nc_u32_e32 v39, s5, v37
	v_add_co_ci_u32_e32 v30, vcc_lo, s3, v30, vcc_lo
	v_lshlrev_b64 v[35:36], 3, v[35:36]
	v_add_co_u32 v77, vcc_lo, s2, v33
	v_add_co_ci_u32_e32 v78, vcc_lo, s3, v34, vcc_lo
	v_lshlrev_b64 v[33:34], 3, v[37:38]
	v_ashrrev_i32_e32 v40, 31, v39
	v_add_nc_u32_e32 v37, s5, v39
	v_add_co_u32 v73, vcc_lo, s2, v35
	v_add_co_ci_u32_e32 v74, vcc_lo, s3, v36, vcc_lo
	s_delay_alu instid0(VALU_DEP_4) | instskip(NEXT) | instid1(VALU_DEP_4)
	v_lshlrev_b64 v[35:36], 3, v[39:40]
	v_ashrrev_i32_e32 v38, 31, v37
	v_add_nc_u32_e32 v39, s5, v37
	v_add_co_u32 v67, vcc_lo, s2, v33
	v_add_co_ci_u32_e32 v68, vcc_lo, s3, v34, vcc_lo
	s_delay_alu instid0(VALU_DEP_4) | instskip(NEXT) | instid1(VALU_DEP_4)
	;; [unrolled: 6-line block ×7, first 2 shown]
	v_lshlrev_b64 v[35:36], 3, v[39:40]
	v_add_nc_u32_e32 v39, s5, v37
	v_ashrrev_i32_e32 v38, 31, v37
	v_add_co_u32 v33, vcc_lo, s2, v33
	v_add_co_ci_u32_e32 v34, vcc_lo, s3, v34, vcc_lo
	s_delay_alu instid0(VALU_DEP_4) | instskip(SKIP_3) | instid1(VALU_DEP_4)
	v_add_nc_u32_e32 v41, s5, v39
	v_ashrrev_i32_e32 v40, 31, v39
	v_lshlrev_b64 v[37:38], 3, v[37:38]
	v_add_co_u32 v35, vcc_lo, s2, v35
	v_add_nc_u32_e32 v45, s5, v41
	v_ashrrev_i32_e32 v42, 31, v41
	v_lshlrev_b64 v[39:40], 3, v[39:40]
	v_add_co_ci_u32_e32 v36, vcc_lo, s3, v36, vcc_lo
	s_delay_alu instid0(VALU_DEP_4) | instskip(SKIP_3) | instid1(VALU_DEP_4)
	v_add_nc_u32_e32 v47, s5, v45
	v_ashrrev_i32_e32 v46, 31, v45
	v_add_co_u32 v37, vcc_lo, s2, v37
	v_lshlrev_b64 v[41:42], 3, v[41:42]
	v_add_nc_u32_e32 v51, s5, v47
	v_ashrrev_i32_e32 v48, 31, v47
	v_add_co_ci_u32_e32 v38, vcc_lo, s3, v38, vcc_lo
	v_add_co_u32 v39, vcc_lo, s2, v39
	s_delay_alu instid0(VALU_DEP_4) | instskip(SKIP_3) | instid1(VALU_DEP_4)
	v_add_nc_u32_e32 v55, s5, v51
	v_lshlrev_b64 v[45:46], 3, v[45:46]
	v_ashrrev_i32_e32 v52, 31, v51
	v_add_co_ci_u32_e32 v40, vcc_lo, s3, v40, vcc_lo
	v_add_nc_u32_e32 v57, s5, v55
	v_add_co_u32 v41, vcc_lo, s2, v41
	v_lshlrev_b64 v[47:48], 3, v[47:48]
	v_ashrrev_i32_e32 v56, 31, v55
	s_delay_alu instid0(VALU_DEP_4) | instskip(SKIP_2) | instid1(VALU_DEP_3)
	v_add_nc_u32_e32 v63, s5, v57
	v_add_co_ci_u32_e32 v42, vcc_lo, s3, v42, vcc_lo
	v_add_co_u32 v45, vcc_lo, s2, v45
	v_add_nc_u32_e32 v65, s5, v63
	v_lshlrev_b64 v[51:52], 3, v[51:52]
	v_ashrrev_i32_e32 v58, 31, v57
	v_add_co_ci_u32_e32 v46, vcc_lo, s3, v46, vcc_lo
	s_delay_alu instid0(VALU_DEP_4) | instskip(SKIP_3) | instid1(VALU_DEP_4)
	v_add_nc_u32_e32 v69, s5, v65
	v_add_co_u32 v47, vcc_lo, s2, v47
	v_lshlrev_b64 v[55:56], 3, v[55:56]
	v_ashrrev_i32_e32 v64, 31, v63
	v_add_nc_u32_e32 v71, s5, v69
	v_add_co_ci_u32_e32 v48, vcc_lo, s3, v48, vcc_lo
	v_add_co_u32 v51, vcc_lo, s2, v51
	s_delay_alu instid0(VALU_DEP_3) | instskip(SKIP_3) | instid1(VALU_DEP_4)
	v_add_nc_u32_e32 v75, s5, v71
	v_lshlrev_b64 v[57:58], 3, v[57:58]
	v_ashrrev_i32_e32 v66, 31, v65
	v_add_co_ci_u32_e32 v52, vcc_lo, s3, v52, vcc_lo
	v_add_nc_u32_e32 v79, s5, v75
	v_add_co_u32 v55, vcc_lo, s2, v55
	v_lshlrev_b64 v[63:64], 3, v[63:64]
	v_ashrrev_i32_e32 v70, 31, v69
	s_delay_alu instid0(VALU_DEP_4) | instskip(SKIP_2) | instid1(VALU_DEP_3)
	v_add_nc_u32_e32 v81, s5, v79
	v_add_co_ci_u32_e32 v56, vcc_lo, s3, v56, vcc_lo
	v_add_co_u32 v57, vcc_lo, s2, v57
	v_add_nc_u32_e32 v83, s5, v81
	v_lshlrev_b64 v[65:66], 3, v[65:66]
	v_ashrrev_i32_e32 v72, 31, v71
	v_add_co_ci_u32_e32 v58, vcc_lo, s3, v58, vcc_lo
	s_delay_alu instid0(VALU_DEP_4) | instskip(SKIP_3) | instid1(VALU_DEP_4)
	v_add_nc_u32_e32 v85, s5, v83
	v_add_co_u32 v63, vcc_lo, s2, v63
	v_lshlrev_b64 v[69:70], 3, v[69:70]
	v_ashrrev_i32_e32 v76, 31, v75
	v_add_nc_u32_e32 v87, s5, v85
	v_add_co_ci_u32_e32 v64, vcc_lo, s3, v64, vcc_lo
	v_add_co_u32 v65, vcc_lo, s2, v65
	s_delay_alu instid0(VALU_DEP_3) | instskip(SKIP_3) | instid1(VALU_DEP_4)
	v_add_nc_u32_e32 v89, s5, v87
	v_lshlrev_b64 v[71:72], 3, v[71:72]
	v_ashrrev_i32_e32 v80, 31, v79
	v_add_co_ci_u32_e32 v66, vcc_lo, s3, v66, vcc_lo
	v_add_nc_u32_e32 v91, s5, v89
	v_add_co_u32 v69, vcc_lo, s2, v69
	v_lshlrev_b64 v[75:76], 3, v[75:76]
	v_ashrrev_i32_e32 v82, 31, v81
	s_delay_alu instid0(VALU_DEP_4) | instskip(SKIP_2) | instid1(VALU_DEP_3)
	v_add_nc_u32_e32 v93, s5, v91
	v_add_co_ci_u32_e32 v70, vcc_lo, s3, v70, vcc_lo
	v_add_co_u32 v71, vcc_lo, s2, v71
	v_add_nc_u32_e32 v95, s5, v93
	v_lshlrev_b64 v[79:80], 3, v[79:80]
	v_ashrrev_i32_e32 v84, 31, v83
	v_add_co_ci_u32_e32 v72, vcc_lo, s3, v72, vcc_lo
	s_delay_alu instid0(VALU_DEP_4)
	v_add_nc_u32_e32 v97, s5, v95
	v_add_co_u32 v75, vcc_lo, s2, v75
	v_lshlrev_b64 v[81:82], 3, v[81:82]
	v_ashrrev_i32_e32 v86, 31, v85
	v_add_co_ci_u32_e32 v76, vcc_lo, s3, v76, vcc_lo
	v_add_co_u32 v79, vcc_lo, s2, v79
	v_lshlrev_b64 v[83:84], 3, v[83:84]
	v_add_nc_u32_e32 v99, s5, v97
	v_ashrrev_i32_e32 v88, 31, v87
	v_add_co_ci_u32_e32 v80, vcc_lo, s3, v80, vcc_lo
	v_add_co_u32 v81, vcc_lo, s2, v81
	v_lshlrev_b64 v[85:86], 3, v[85:86]
	v_ashrrev_i32_e32 v90, 31, v89
	v_add_co_ci_u32_e32 v82, vcc_lo, s3, v82, vcc_lo
	v_add_nc_u32_e32 v101, s5, v99
	v_add_co_u32 v83, vcc_lo, s2, v83
	v_lshlrev_b64 v[87:88], 3, v[87:88]
	v_ashrrev_i32_e32 v92, 31, v91
	v_add_co_ci_u32_e32 v84, vcc_lo, s3, v84, vcc_lo
	v_add_co_u32 v85, vcc_lo, s2, v85
	v_lshlrev_b64 v[89:90], 3, v[89:90]
	v_ashrrev_i32_e32 v94, 31, v93
	v_add_nc_u32_e32 v103, s5, v101
	v_add_co_ci_u32_e32 v86, vcc_lo, s3, v86, vcc_lo
	v_add_co_u32 v87, vcc_lo, s2, v87
	v_lshlrev_b64 v[91:92], 3, v[91:92]
	v_ashrrev_i32_e32 v96, 31, v95
	v_add_co_ci_u32_e32 v88, vcc_lo, s3, v88, vcc_lo
	v_add_co_u32 v89, vcc_lo, s2, v89
	v_lshlrev_b64 v[93:94], 3, v[93:94]
	v_add_nc_u32_e32 v105, s5, v103
	v_ashrrev_i32_e32 v98, 31, v97
	v_add_co_ci_u32_e32 v90, vcc_lo, s3, v90, vcc_lo
	v_add_co_u32 v91, vcc_lo, s2, v91
	v_lshlrev_b64 v[95:96], 3, v[95:96]
	v_ashrrev_i32_e32 v100, 31, v99
	v_add_co_ci_u32_e32 v92, vcc_lo, s3, v92, vcc_lo
	v_add_nc_u32_e32 v107, s5, v105
	v_add_co_u32 v93, vcc_lo, s2, v93
	v_lshlrev_b64 v[97:98], 3, v[97:98]
	v_ashrrev_i32_e32 v102, 31, v101
	v_add_co_ci_u32_e32 v94, vcc_lo, s3, v94, vcc_lo
	v_add_co_u32 v95, vcc_lo, s2, v95
	v_lshlrev_b64 v[99:100], 3, v[99:100]
	v_ashrrev_i32_e32 v104, 31, v103
	v_add_nc_u32_e32 v134, s5, v107
	v_add_co_ci_u32_e32 v96, vcc_lo, s3, v96, vcc_lo
	v_add_co_u32 v97, vcc_lo, s2, v97
	v_lshlrev_b64 v[101:102], 3, v[101:102]
	v_ashrrev_i32_e32 v106, 31, v105
	v_add_co_ci_u32_e32 v98, vcc_lo, s3, v98, vcc_lo
	v_add_co_u32 v99, vcc_lo, s2, v99
	v_lshlrev_b64 v[103:104], 3, v[103:104]
	v_add_nc_u32_e32 v136, s5, v134
	v_ashrrev_i32_e32 v108, 31, v107
	v_add_co_ci_u32_e32 v100, vcc_lo, s3, v100, vcc_lo
	v_add_co_u32 v101, vcc_lo, s2, v101
	v_lshlrev_b64 v[105:106], 3, v[105:106]
	v_ashrrev_i32_e32 v135, 31, v134
	v_add_co_ci_u32_e32 v102, vcc_lo, s3, v102, vcc_lo
	v_add_nc_u32_e32 v138, s5, v136
	v_add_co_u32 v103, vcc_lo, s2, v103
	v_lshlrev_b64 v[107:108], 3, v[107:108]
	v_ashrrev_i32_e32 v137, 31, v136
	v_add_co_ci_u32_e32 v104, vcc_lo, s3, v104, vcc_lo
	v_add_co_u32 v105, vcc_lo, s2, v105
	v_lshlrev_b64 v[134:135], 3, v[134:135]
	v_add_nc_u32_e32 v140, s5, v138
	v_add_co_ci_u32_e32 v106, vcc_lo, s3, v106, vcc_lo
	v_add_co_u32 v107, vcc_lo, s2, v107
	v_lshlrev_b64 v[136:137], 3, v[136:137]
	v_add_co_ci_u32_e32 v108, vcc_lo, s3, v108, vcc_lo
	s_clause 0xb
	global_load_b64 v[110:111], v[21:22], off
	global_load_b64 v[112:113], v[23:24], off
	;; [unrolled: 1-line block ×12, first 2 shown]
	v_ashrrev_i32_e32 v139, 31, v138
	v_ashrrev_i32_e32 v141, 31, v140
	s_waitcnt vmcnt(15)
	scratch_store_b128 off, v[1:4], off
	v_add_co_u32 v1, vcc_lo, s2, v134
	v_add_co_ci_u32_e32 v2, vcc_lo, s3, v135, vcc_lo
	v_add_co_u32 v3, vcc_lo, s2, v136
	s_waitcnt vmcnt(13)
	scratch_store_b128 off, v[9:12], off offset:16
	s_waitcnt vmcnt(12)
	scratch_store_b128 off, v[5:8], off offset:32
	v_lshlrev_b64 v[5:6], 3, v[138:139]
	v_add_nc_u32_e32 v7, s5, v140
	v_add_co_ci_u32_e32 v4, vcc_lo, s3, v137, vcc_lo
	v_lshlrev_b64 v[9:10], 3, v[140:141]
	s_clause 0x3
	global_load_b64 v[134:135], v[33:34], off
	global_load_b64 v[136:137], v[35:36], off
	;; [unrolled: 1-line block ×4, first 2 shown]
	v_ashrrev_i32_e32 v8, 31, v7
	s_waitcnt vmcnt(14)
	scratch_store_b128 off, v[110:113], off offset:48
	s_waitcnt vmcnt(12)
	scratch_store_b128 off, v[114:117], off offset:64
	s_clause 0x2
	global_load_b64 v[110:111], v[41:42], off
	global_load_b64 v[112:113], v[45:46], off
	;; [unrolled: 1-line block ×3, first 2 shown]
	s_waitcnt vmcnt(13)
	scratch_store_b128 off, v[118:121], off offset:80
	s_waitcnt vmcnt(11)
	scratch_store_b128 off, v[122:125], off offset:96
	s_clause 0x4
	global_load_b64 v[116:117], v[51:52], off
	global_load_b64 v[118:119], v[55:56], off
	global_load_b64 v[120:121], v[57:58], off
	global_load_b64 v[122:123], v[63:64], off
	global_load_b64 v[124:125], v[65:66], off
	s_waitcnt vmcnt(14)
	scratch_store_b128 off, v[126:129], off offset:112
	s_waitcnt vmcnt(12)
	scratch_store_b128 off, v[130:133], off offset:128
	s_clause 0x3
	global_load_b64 v[126:127], v[69:70], off
	global_load_b64 v[128:129], v[71:72], off
	;; [unrolled: 1-line block ×4, first 2 shown]
	s_waitcnt vmcnt(14)
	scratch_store_b128 off, v[134:137], off offset:144
	s_waitcnt vmcnt(12)
	scratch_store_b128 off, v[138:141], off offset:160
	s_clause 0x3
	global_load_b64 v[134:135], v[81:82], off
	global_load_b64 v[136:137], v[83:84], off
	;; [unrolled: 1-line block ×4, first 2 shown]
	v_add_co_u32 v5, vcc_lo, s2, v5
	v_lshlrev_b64 v[11:12], 3, v[7:8]
	v_add_co_ci_u32_e32 v6, vcc_lo, s3, v6, vcc_lo
	v_add_co_u32 v7, vcc_lo, s2, v9
	v_add_co_ci_u32_e32 v8, vcc_lo, s3, v10, vcc_lo
	s_delay_alu instid0(VALU_DEP_4)
	v_add_co_u32 v9, vcc_lo, s2, v11
	s_waitcnt vmcnt(14)
	scratch_store_b128 off, v[110:113], off offset:176
	s_waitcnt vmcnt(12)
	scratch_store_b128 off, v[114:117], off offset:192
	s_clause 0x2
	global_load_b64 v[110:111], v[89:90], off
	global_load_b64 v[112:113], v[91:92], off
	;; [unrolled: 1-line block ×3, first 2 shown]
	s_waitcnt vmcnt(13)
	scratch_store_b128 off, v[118:121], off offset:208
	s_waitcnt vmcnt(11)
	scratch_store_b128 off, v[122:125], off offset:224
	v_add_co_ci_u32_e32 v10, vcc_lo, s3, v12, vcc_lo
	s_clause 0x3
	global_load_b64 v[116:117], v[95:96], off
	global_load_b64 v[118:119], v[97:98], off
	;; [unrolled: 1-line block ×4, first 2 shown]
	s_waitcnt vmcnt(13)
	scratch_store_b128 off, v[126:129], off offset:240
	s_waitcnt vmcnt(11)
	scratch_store_b128 off, v[130:133], off offset:256
	s_clause 0x3
	global_load_b64 v[124:125], v[103:104], off
	global_load_b64 v[126:127], v[105:106], off
	;; [unrolled: 1-line block ×4, first 2 shown]
	s_waitcnt vmcnt(13)
	scratch_store_b128 off, v[134:137], off offset:272
	s_waitcnt vmcnt(11)
	scratch_store_b128 off, v[138:141], off offset:288
	s_clause 0x3
	global_load_b64 v[132:133], v[3:4], off
	global_load_b64 v[134:135], v[5:6], off
	;; [unrolled: 1-line block ×4, first 2 shown]
	v_mov_b32_e32 v11, 0
	v_mov_b32_e32 v12, 0xbff00000
	s_cselect_b32 s3, -1, 0
	s_cmpk_eq_i32 s1, 0x84
	s_waitcnt vmcnt(13)
	scratch_store_b128 off, v[110:113], off offset:304
	s_waitcnt vmcnt(11)
	scratch_store_b128 off, v[114:117], off offset:320
	;; [unrolled: 2-line block ×7, first 2 shown]
	s_waitcnt vmcnt(0)
	scratch_store_b64 off, v[138:139], off offset:416
	s_cbranch_scc1 .LBB116_3
; %bb.2:
	scratch_load_b64 v[11:12], v109, off
	s_waitcnt vmcnt(0)
	v_div_scale_f64 v[110:111], null, v[11:12], v[11:12], 1.0
	v_div_scale_f64 v[116:117], vcc_lo, 1.0, v[11:12], 1.0
	s_delay_alu instid0(VALU_DEP_2) | instskip(SKIP_2) | instid1(VALU_DEP_1)
	v_rcp_f64_e32 v[112:113], v[110:111]
	s_waitcnt_depctr 0xfff
	v_fma_f64 v[114:115], -v[110:111], v[112:113], 1.0
	v_fma_f64 v[112:113], v[112:113], v[114:115], v[112:113]
	s_delay_alu instid0(VALU_DEP_1) | instskip(NEXT) | instid1(VALU_DEP_1)
	v_fma_f64 v[114:115], -v[110:111], v[112:113], 1.0
	v_fma_f64 v[112:113], v[112:113], v[114:115], v[112:113]
	s_delay_alu instid0(VALU_DEP_1) | instskip(NEXT) | instid1(VALU_DEP_1)
	v_mul_f64 v[114:115], v[116:117], v[112:113]
	v_fma_f64 v[110:111], -v[110:111], v[114:115], v[116:117]
	s_delay_alu instid0(VALU_DEP_1) | instskip(NEXT) | instid1(VALU_DEP_1)
	v_div_fmas_f64 v[110:111], v[110:111], v[112:113], v[114:115]
	v_div_fixup_f64 v[11:12], v[110:111], v[11:12], 1.0
	scratch_store_b64 v109, v[11:12], off
	v_xor_b32_e32 v12, 0x80000000, v12
.LBB116_3:
	v_add_nc_u32_e32 v110, 0x1b0, v109
	v_add_nc_u32_e32 v111, 0, v109
	s_cmpk_eq_i32 s0, 0x79
	s_mov_b32 s0, -1
	ds_store_b64 v109, v[11:12]
	s_cbranch_scc1 .LBB116_519
; %bb.4:
	scratch_load_b64 v[11:12], off, off offset:408
	v_cmp_eq_u32_e64 s0, 52, v0
	s_movk_i32 s1, 0x50
	s_movk_i32 s2, 0x60
	;; [unrolled: 1-line block ×21, first 2 shown]
	s_waitcnt vmcnt(0)
	ds_store_b64 v110, v[11:12]
	s_waitcnt lgkmcnt(0)
	s_waitcnt_vscnt null, 0x0
	s_barrier
	buffer_gl0_inv
	s_and_saveexec_b32 s23, s0
	s_cbranch_execz .LBB116_10
; %bb.5:
	s_and_b32 vcc_lo, exec_lo, s3
	s_cbranch_vccz .LBB116_7
; %bb.6:
	scratch_load_b64 v[11:12], v111, off
	ds_load_b64 v[112:113], v110
	s_waitcnt vmcnt(0) lgkmcnt(0)
	v_mul_f64 v[11:12], v[11:12], v[112:113]
	s_cbranch_execz .LBB116_8
	s_branch .LBB116_9
.LBB116_7:
                                        ; implicit-def: $vgpr11_vgpr12
.LBB116_8:
	ds_load_b64 v[11:12], v110
.LBB116_9:
	v_mov_b32_e32 v112, 0
	ds_load_b64 v[112:113], v112 offset:408
	s_waitcnt lgkmcnt(0)
	v_mul_f64 v[11:12], v[11:12], v[112:113]
	scratch_store_b64 off, v[11:12], off offset:408
.LBB116_10:
	s_or_b32 exec_lo, exec_lo, s23
	scratch_load_b64 v[11:12], off, off offset:400
	v_add_nc_u32_e64 v112, 0, 16
	v_add_nc_u32_e64 v113, 0, 32
	;; [unrolled: 1-line block ×25, first 2 shown]
	v_cmp_lt_u32_e64 s2, 50, v0
	s_waitcnt vmcnt(0)
	ds_store_b64 v110, v[11:12]
	s_waitcnt lgkmcnt(0)
	s_waitcnt_vscnt null, 0x0
	s_barrier
	buffer_gl0_inv
	s_and_saveexec_b32 s1, s2
	s_cbranch_execz .LBB116_18
; %bb.11:
	s_and_not1_b32 vcc_lo, exec_lo, s3
	s_cbranch_vccnz .LBB116_13
; %bb.12:
	scratch_load_b64 v[11:12], v111, off
	ds_load_b64 v[137:138], v110
	s_waitcnt vmcnt(0) lgkmcnt(0)
	v_mul_f64 v[11:12], v[11:12], v[137:138]
	s_cbranch_execz .LBB116_14
	s_branch .LBB116_15
.LBB116_13:
                                        ; implicit-def: $vgpr11_vgpr12
.LBB116_14:
	ds_load_b64 v[11:12], v110
.LBB116_15:
	s_and_saveexec_b32 s4, s0
	s_cbranch_execz .LBB116_17
; %bb.16:
	scratch_load_b64 v[137:138], off, off offset:408
	v_mov_b32_e32 v139, 0
	ds_load_b64 v[139:140], v139 offset:840
	s_waitcnt vmcnt(0) lgkmcnt(0)
	v_fma_f64 v[11:12], v[137:138], v[139:140], v[11:12]
.LBB116_17:
	s_or_b32 exec_lo, exec_lo, s4
	v_mov_b32_e32 v137, 0
	ds_load_b64 v[137:138], v137 offset:400
	s_waitcnt lgkmcnt(0)
	v_mul_f64 v[11:12], v[11:12], v[137:138]
	scratch_store_b64 off, v[11:12], off offset:400
.LBB116_18:
	s_or_b32 exec_lo, exec_lo, s1
	scratch_load_b64 v[11:12], off, off offset:392
	v_cmp_lt_u32_e64 s1, 49, v0
	s_waitcnt vmcnt(0)
	ds_store_b64 v110, v[11:12]
	s_waitcnt lgkmcnt(0)
	s_waitcnt_vscnt null, 0x0
	s_barrier
	buffer_gl0_inv
	s_and_saveexec_b32 s0, s1
	s_cbranch_execz .LBB116_28
; %bb.19:
	s_and_not1_b32 vcc_lo, exec_lo, s3
	s_cbranch_vccnz .LBB116_21
; %bb.20:
	scratch_load_b64 v[11:12], v111, off
	ds_load_b64 v[137:138], v110
	s_waitcnt vmcnt(0) lgkmcnt(0)
	v_mul_f64 v[11:12], v[11:12], v[137:138]
	s_cbranch_execz .LBB116_22
	s_branch .LBB116_23
.LBB116_21:
                                        ; implicit-def: $vgpr11_vgpr12
.LBB116_22:
	ds_load_b64 v[11:12], v110
.LBB116_23:
	s_and_saveexec_b32 s4, s2
	s_cbranch_execz .LBB116_27
; %bb.24:
	v_subrev_nc_u32_e32 v137, 50, v0
	s_movk_i32 s5, 0x340
	s_mov_b32 s2, 0
.LBB116_25:                             ; =>This Inner Loop Header: Depth=1
	scratch_load_b64 v[138:139], v136, off
	v_dual_mov_b32 v140, s5 :: v_dual_add_nc_u32 v137, -1, v137
	v_add_nc_u32_e32 v136, 8, v136
	s_add_i32 s5, s5, 8
	ds_load_b64 v[140:141], v140
	v_cmp_eq_u32_e32 vcc_lo, 0, v137
	s_or_b32 s2, vcc_lo, s2
	s_waitcnt vmcnt(0) lgkmcnt(0)
	v_fma_f64 v[11:12], v[138:139], v[140:141], v[11:12]
	s_and_not1_b32 exec_lo, exec_lo, s2
	s_cbranch_execnz .LBB116_25
; %bb.26:
	s_or_b32 exec_lo, exec_lo, s2
.LBB116_27:
	s_delay_alu instid0(SALU_CYCLE_1)
	s_or_b32 exec_lo, exec_lo, s4
	v_mov_b32_e32 v136, 0
	ds_load_b64 v[136:137], v136 offset:392
	s_waitcnt lgkmcnt(0)
	v_mul_f64 v[11:12], v[11:12], v[136:137]
	scratch_store_b64 off, v[11:12], off offset:392
.LBB116_28:
	s_or_b32 exec_lo, exec_lo, s0
	scratch_load_b64 v[11:12], off, off offset:384
	v_cmp_lt_u32_e64 s0, 48, v0
	s_waitcnt vmcnt(0)
	ds_store_b64 v110, v[11:12]
	s_waitcnt lgkmcnt(0)
	s_waitcnt_vscnt null, 0x0
	s_barrier
	buffer_gl0_inv
	s_and_saveexec_b32 s2, s0
	s_cbranch_execz .LBB116_38
; %bb.29:
	s_and_not1_b32 vcc_lo, exec_lo, s3
	s_cbranch_vccnz .LBB116_31
; %bb.30:
	scratch_load_b64 v[11:12], v111, off
	ds_load_b64 v[136:137], v110
	s_waitcnt vmcnt(0) lgkmcnt(0)
	v_mul_f64 v[11:12], v[11:12], v[136:137]
	s_cbranch_execz .LBB116_32
	s_branch .LBB116_33
.LBB116_31:
                                        ; implicit-def: $vgpr11_vgpr12
.LBB116_32:
	ds_load_b64 v[11:12], v110
.LBB116_33:
	s_and_saveexec_b32 s4, s1
	s_cbranch_execz .LBB116_37
; %bb.34:
	v_mov_b32_e32 v136, 0
	v_subrev_nc_u32_e32 v137, 49, v0
	s_movk_i32 s5, 0x338
	s_mov_b32 s1, 0
	s_delay_alu instid0(VALU_DEP_2)
	v_add_nc_u32_e32 v136, 0x188, v136
.LBB116_35:                             ; =>This Inner Loop Header: Depth=1
	scratch_load_b64 v[138:139], v136, off
	v_dual_mov_b32 v140, s5 :: v_dual_add_nc_u32 v137, -1, v137
	v_add_nc_u32_e32 v136, 8, v136
	s_add_i32 s5, s5, 8
	ds_load_b64 v[140:141], v140
	v_cmp_eq_u32_e32 vcc_lo, 0, v137
	s_or_b32 s1, vcc_lo, s1
	s_waitcnt vmcnt(0) lgkmcnt(0)
	v_fma_f64 v[11:12], v[138:139], v[140:141], v[11:12]
	s_and_not1_b32 exec_lo, exec_lo, s1
	s_cbranch_execnz .LBB116_35
; %bb.36:
	s_or_b32 exec_lo, exec_lo, s1
.LBB116_37:
	s_delay_alu instid0(SALU_CYCLE_1)
	s_or_b32 exec_lo, exec_lo, s4
	v_mov_b32_e32 v136, 0
	ds_load_b64 v[136:137], v136 offset:384
	s_waitcnt lgkmcnt(0)
	v_mul_f64 v[11:12], v[11:12], v[136:137]
	scratch_store_b64 off, v[11:12], off offset:384
.LBB116_38:
	s_or_b32 exec_lo, exec_lo, s2
	scratch_load_b64 v[11:12], off, off offset:376
	v_cmp_lt_u32_e64 s1, 47, v0
	s_waitcnt vmcnt(0)
	ds_store_b64 v110, v[11:12]
	s_waitcnt lgkmcnt(0)
	s_waitcnt_vscnt null, 0x0
	s_barrier
	buffer_gl0_inv
	s_and_saveexec_b32 s2, s1
	s_cbranch_execz .LBB116_48
; %bb.39:
	s_and_not1_b32 vcc_lo, exec_lo, s3
	s_cbranch_vccnz .LBB116_41
; %bb.40:
	scratch_load_b64 v[11:12], v111, off
	ds_load_b64 v[136:137], v110
	s_waitcnt vmcnt(0) lgkmcnt(0)
	v_mul_f64 v[11:12], v[11:12], v[136:137]
	s_cbranch_execz .LBB116_42
	s_branch .LBB116_43
.LBB116_41:
                                        ; implicit-def: $vgpr11_vgpr12
.LBB116_42:
	ds_load_b64 v[11:12], v110
.LBB116_43:
	s_and_saveexec_b32 s4, s0
	s_cbranch_execz .LBB116_47
; %bb.44:
	v_subrev_nc_u32_e32 v136, 48, v0
	s_movk_i32 s5, 0x330
	s_mov_b32 s0, 0
.LBB116_45:                             ; =>This Inner Loop Header: Depth=1
	scratch_load_b64 v[137:138], v135, off
	v_dual_mov_b32 v139, s5 :: v_dual_add_nc_u32 v136, -1, v136
	v_add_nc_u32_e32 v135, 8, v135
	s_add_i32 s5, s5, 8
	ds_load_b64 v[139:140], v139
	v_cmp_eq_u32_e32 vcc_lo, 0, v136
	s_or_b32 s0, vcc_lo, s0
	s_waitcnt vmcnt(0) lgkmcnt(0)
	v_fma_f64 v[11:12], v[137:138], v[139:140], v[11:12]
	s_and_not1_b32 exec_lo, exec_lo, s0
	s_cbranch_execnz .LBB116_45
; %bb.46:
	s_or_b32 exec_lo, exec_lo, s0
.LBB116_47:
	s_delay_alu instid0(SALU_CYCLE_1)
	s_or_b32 exec_lo, exec_lo, s4
	v_mov_b32_e32 v135, 0
	ds_load_b64 v[135:136], v135 offset:376
	s_waitcnt lgkmcnt(0)
	v_mul_f64 v[11:12], v[11:12], v[135:136]
	scratch_store_b64 off, v[11:12], off offset:376
.LBB116_48:
	s_or_b32 exec_lo, exec_lo, s2
	scratch_load_b64 v[11:12], off, off offset:368
	v_cmp_lt_u32_e64 s0, 46, v0
	s_waitcnt vmcnt(0)
	ds_store_b64 v110, v[11:12]
	s_waitcnt lgkmcnt(0)
	s_waitcnt_vscnt null, 0x0
	s_barrier
	buffer_gl0_inv
	s_and_saveexec_b32 s2, s0
	s_cbranch_execz .LBB116_58
; %bb.49:
	s_and_not1_b32 vcc_lo, exec_lo, s3
	s_cbranch_vccnz .LBB116_51
; %bb.50:
	scratch_load_b64 v[11:12], v111, off
	ds_load_b64 v[135:136], v110
	s_waitcnt vmcnt(0) lgkmcnt(0)
	v_mul_f64 v[11:12], v[11:12], v[135:136]
	s_cbranch_execz .LBB116_52
	s_branch .LBB116_53
.LBB116_51:
                                        ; implicit-def: $vgpr11_vgpr12
.LBB116_52:
	ds_load_b64 v[11:12], v110
.LBB116_53:
	s_and_saveexec_b32 s4, s1
	s_cbranch_execz .LBB116_57
; %bb.54:
	v_mov_b32_e32 v135, 0
	v_subrev_nc_u32_e32 v136, 47, v0
	s_movk_i32 s5, 0x328
	s_mov_b32 s1, 0
	s_delay_alu instid0(VALU_DEP_2)
	v_add_nc_u32_e32 v135, 0x178, v135
.LBB116_55:                             ; =>This Inner Loop Header: Depth=1
	scratch_load_b64 v[137:138], v135, off
	v_dual_mov_b32 v139, s5 :: v_dual_add_nc_u32 v136, -1, v136
	v_add_nc_u32_e32 v135, 8, v135
	s_add_i32 s5, s5, 8
	ds_load_b64 v[139:140], v139
	v_cmp_eq_u32_e32 vcc_lo, 0, v136
	s_or_b32 s1, vcc_lo, s1
	s_waitcnt vmcnt(0) lgkmcnt(0)
	v_fma_f64 v[11:12], v[137:138], v[139:140], v[11:12]
	s_and_not1_b32 exec_lo, exec_lo, s1
	s_cbranch_execnz .LBB116_55
; %bb.56:
	s_or_b32 exec_lo, exec_lo, s1
.LBB116_57:
	s_delay_alu instid0(SALU_CYCLE_1)
	s_or_b32 exec_lo, exec_lo, s4
	v_mov_b32_e32 v135, 0
	ds_load_b64 v[135:136], v135 offset:368
	s_waitcnt lgkmcnt(0)
	v_mul_f64 v[11:12], v[11:12], v[135:136]
	scratch_store_b64 off, v[11:12], off offset:368
.LBB116_58:
	s_or_b32 exec_lo, exec_lo, s2
	scratch_load_b64 v[11:12], off, off offset:360
	v_cmp_lt_u32_e64 s1, 45, v0
	s_waitcnt vmcnt(0)
	ds_store_b64 v110, v[11:12]
	s_waitcnt lgkmcnt(0)
	s_waitcnt_vscnt null, 0x0
	s_barrier
	buffer_gl0_inv
	s_and_saveexec_b32 s2, s1
	s_cbranch_execz .LBB116_68
; %bb.59:
	s_and_not1_b32 vcc_lo, exec_lo, s3
	s_cbranch_vccnz .LBB116_61
; %bb.60:
	scratch_load_b64 v[11:12], v111, off
	ds_load_b64 v[135:136], v110
	s_waitcnt vmcnt(0) lgkmcnt(0)
	v_mul_f64 v[11:12], v[11:12], v[135:136]
	s_cbranch_execz .LBB116_62
	s_branch .LBB116_63
.LBB116_61:
                                        ; implicit-def: $vgpr11_vgpr12
.LBB116_62:
	ds_load_b64 v[11:12], v110
.LBB116_63:
	s_and_saveexec_b32 s4, s0
	s_cbranch_execz .LBB116_67
; %bb.64:
	v_subrev_nc_u32_e32 v135, 46, v0
	s_movk_i32 s5, 0x320
	s_mov_b32 s0, 0
.LBB116_65:                             ; =>This Inner Loop Header: Depth=1
	scratch_load_b64 v[136:137], v134, off
	v_dual_mov_b32 v138, s5 :: v_dual_add_nc_u32 v135, -1, v135
	v_add_nc_u32_e32 v134, 8, v134
	s_add_i32 s5, s5, 8
	ds_load_b64 v[138:139], v138
	v_cmp_eq_u32_e32 vcc_lo, 0, v135
	s_or_b32 s0, vcc_lo, s0
	s_waitcnt vmcnt(0) lgkmcnt(0)
	v_fma_f64 v[11:12], v[136:137], v[138:139], v[11:12]
	s_and_not1_b32 exec_lo, exec_lo, s0
	s_cbranch_execnz .LBB116_65
; %bb.66:
	s_or_b32 exec_lo, exec_lo, s0
.LBB116_67:
	s_delay_alu instid0(SALU_CYCLE_1)
	s_or_b32 exec_lo, exec_lo, s4
	v_mov_b32_e32 v134, 0
	ds_load_b64 v[134:135], v134 offset:360
	s_waitcnt lgkmcnt(0)
	v_mul_f64 v[11:12], v[11:12], v[134:135]
	scratch_store_b64 off, v[11:12], off offset:360
.LBB116_68:
	s_or_b32 exec_lo, exec_lo, s2
	scratch_load_b64 v[11:12], off, off offset:352
	v_cmp_lt_u32_e64 s0, 44, v0
	s_waitcnt vmcnt(0)
	ds_store_b64 v110, v[11:12]
	s_waitcnt lgkmcnt(0)
	s_waitcnt_vscnt null, 0x0
	s_barrier
	buffer_gl0_inv
	s_and_saveexec_b32 s2, s0
	s_cbranch_execz .LBB116_78
; %bb.69:
	s_and_not1_b32 vcc_lo, exec_lo, s3
	s_cbranch_vccnz .LBB116_71
; %bb.70:
	scratch_load_b64 v[11:12], v111, off
	ds_load_b64 v[134:135], v110
	s_waitcnt vmcnt(0) lgkmcnt(0)
	v_mul_f64 v[11:12], v[11:12], v[134:135]
	s_cbranch_execz .LBB116_72
	s_branch .LBB116_73
.LBB116_71:
                                        ; implicit-def: $vgpr11_vgpr12
.LBB116_72:
	ds_load_b64 v[11:12], v110
.LBB116_73:
	s_and_saveexec_b32 s4, s1
	s_cbranch_execz .LBB116_77
; %bb.74:
	v_mov_b32_e32 v134, 0
	v_subrev_nc_u32_e32 v135, 45, v0
	s_movk_i32 s5, 0x318
	s_mov_b32 s1, 0
	s_delay_alu instid0(VALU_DEP_2)
	v_add_nc_u32_e32 v134, 0x168, v134
.LBB116_75:                             ; =>This Inner Loop Header: Depth=1
	scratch_load_b64 v[136:137], v134, off
	v_dual_mov_b32 v138, s5 :: v_dual_add_nc_u32 v135, -1, v135
	v_add_nc_u32_e32 v134, 8, v134
	s_add_i32 s5, s5, 8
	ds_load_b64 v[138:139], v138
	v_cmp_eq_u32_e32 vcc_lo, 0, v135
	s_or_b32 s1, vcc_lo, s1
	s_waitcnt vmcnt(0) lgkmcnt(0)
	v_fma_f64 v[11:12], v[136:137], v[138:139], v[11:12]
	s_and_not1_b32 exec_lo, exec_lo, s1
	s_cbranch_execnz .LBB116_75
; %bb.76:
	s_or_b32 exec_lo, exec_lo, s1
.LBB116_77:
	s_delay_alu instid0(SALU_CYCLE_1)
	s_or_b32 exec_lo, exec_lo, s4
	v_mov_b32_e32 v134, 0
	ds_load_b64 v[134:135], v134 offset:352
	s_waitcnt lgkmcnt(0)
	v_mul_f64 v[11:12], v[11:12], v[134:135]
	scratch_store_b64 off, v[11:12], off offset:352
.LBB116_78:
	s_or_b32 exec_lo, exec_lo, s2
	scratch_load_b64 v[11:12], off, off offset:344
	v_cmp_lt_u32_e64 s1, 43, v0
	s_waitcnt vmcnt(0)
	ds_store_b64 v110, v[11:12]
	s_waitcnt lgkmcnt(0)
	s_waitcnt_vscnt null, 0x0
	s_barrier
	buffer_gl0_inv
	s_and_saveexec_b32 s2, s1
	s_cbranch_execz .LBB116_88
; %bb.79:
	s_and_not1_b32 vcc_lo, exec_lo, s3
	s_cbranch_vccnz .LBB116_81
; %bb.80:
	scratch_load_b64 v[11:12], v111, off
	ds_load_b64 v[134:135], v110
	s_waitcnt vmcnt(0) lgkmcnt(0)
	v_mul_f64 v[11:12], v[11:12], v[134:135]
	s_cbranch_execz .LBB116_82
	s_branch .LBB116_83
.LBB116_81:
                                        ; implicit-def: $vgpr11_vgpr12
.LBB116_82:
	ds_load_b64 v[11:12], v110
.LBB116_83:
	s_and_saveexec_b32 s4, s0
	s_cbranch_execz .LBB116_87
; %bb.84:
	v_subrev_nc_u32_e32 v134, 44, v0
	s_movk_i32 s5, 0x310
	s_mov_b32 s0, 0
.LBB116_85:                             ; =>This Inner Loop Header: Depth=1
	scratch_load_b64 v[135:136], v133, off
	v_dual_mov_b32 v137, s5 :: v_dual_add_nc_u32 v134, -1, v134
	v_add_nc_u32_e32 v133, 8, v133
	s_add_i32 s5, s5, 8
	ds_load_b64 v[137:138], v137
	v_cmp_eq_u32_e32 vcc_lo, 0, v134
	s_or_b32 s0, vcc_lo, s0
	s_waitcnt vmcnt(0) lgkmcnt(0)
	v_fma_f64 v[11:12], v[135:136], v[137:138], v[11:12]
	s_and_not1_b32 exec_lo, exec_lo, s0
	s_cbranch_execnz .LBB116_85
; %bb.86:
	s_or_b32 exec_lo, exec_lo, s0
.LBB116_87:
	s_delay_alu instid0(SALU_CYCLE_1)
	s_or_b32 exec_lo, exec_lo, s4
	v_mov_b32_e32 v133, 0
	ds_load_b64 v[133:134], v133 offset:344
	s_waitcnt lgkmcnt(0)
	v_mul_f64 v[11:12], v[11:12], v[133:134]
	scratch_store_b64 off, v[11:12], off offset:344
.LBB116_88:
	s_or_b32 exec_lo, exec_lo, s2
	scratch_load_b64 v[11:12], off, off offset:336
	v_cmp_lt_u32_e64 s0, 42, v0
	s_waitcnt vmcnt(0)
	ds_store_b64 v110, v[11:12]
	s_waitcnt lgkmcnt(0)
	s_waitcnt_vscnt null, 0x0
	s_barrier
	buffer_gl0_inv
	s_and_saveexec_b32 s2, s0
	s_cbranch_execz .LBB116_98
; %bb.89:
	s_and_not1_b32 vcc_lo, exec_lo, s3
	s_cbranch_vccnz .LBB116_91
; %bb.90:
	scratch_load_b64 v[11:12], v111, off
	ds_load_b64 v[133:134], v110
	s_waitcnt vmcnt(0) lgkmcnt(0)
	v_mul_f64 v[11:12], v[11:12], v[133:134]
	s_cbranch_execz .LBB116_92
	s_branch .LBB116_93
.LBB116_91:
                                        ; implicit-def: $vgpr11_vgpr12
.LBB116_92:
	ds_load_b64 v[11:12], v110
.LBB116_93:
	s_and_saveexec_b32 s4, s1
	s_cbranch_execz .LBB116_97
; %bb.94:
	v_mov_b32_e32 v133, 0
	v_subrev_nc_u32_e32 v134, 43, v0
	s_movk_i32 s5, 0x308
	s_mov_b32 s1, 0
	s_delay_alu instid0(VALU_DEP_2)
	v_add_nc_u32_e32 v133, 0x158, v133
.LBB116_95:                             ; =>This Inner Loop Header: Depth=1
	scratch_load_b64 v[135:136], v133, off
	v_dual_mov_b32 v137, s5 :: v_dual_add_nc_u32 v134, -1, v134
	v_add_nc_u32_e32 v133, 8, v133
	s_add_i32 s5, s5, 8
	ds_load_b64 v[137:138], v137
	v_cmp_eq_u32_e32 vcc_lo, 0, v134
	s_or_b32 s1, vcc_lo, s1
	s_waitcnt vmcnt(0) lgkmcnt(0)
	v_fma_f64 v[11:12], v[135:136], v[137:138], v[11:12]
	s_and_not1_b32 exec_lo, exec_lo, s1
	s_cbranch_execnz .LBB116_95
; %bb.96:
	s_or_b32 exec_lo, exec_lo, s1
.LBB116_97:
	s_delay_alu instid0(SALU_CYCLE_1)
	s_or_b32 exec_lo, exec_lo, s4
	v_mov_b32_e32 v133, 0
	ds_load_b64 v[133:134], v133 offset:336
	s_waitcnt lgkmcnt(0)
	v_mul_f64 v[11:12], v[11:12], v[133:134]
	scratch_store_b64 off, v[11:12], off offset:336
.LBB116_98:
	s_or_b32 exec_lo, exec_lo, s2
	scratch_load_b64 v[11:12], off, off offset:328
	v_cmp_lt_u32_e64 s1, 41, v0
	s_waitcnt vmcnt(0)
	ds_store_b64 v110, v[11:12]
	s_waitcnt lgkmcnt(0)
	s_waitcnt_vscnt null, 0x0
	s_barrier
	buffer_gl0_inv
	s_and_saveexec_b32 s2, s1
	s_cbranch_execz .LBB116_108
; %bb.99:
	s_and_not1_b32 vcc_lo, exec_lo, s3
	s_cbranch_vccnz .LBB116_101
; %bb.100:
	scratch_load_b64 v[11:12], v111, off
	ds_load_b64 v[133:134], v110
	s_waitcnt vmcnt(0) lgkmcnt(0)
	v_mul_f64 v[11:12], v[11:12], v[133:134]
	s_cbranch_execz .LBB116_102
	s_branch .LBB116_103
.LBB116_101:
                                        ; implicit-def: $vgpr11_vgpr12
.LBB116_102:
	ds_load_b64 v[11:12], v110
.LBB116_103:
	s_and_saveexec_b32 s4, s0
	s_cbranch_execz .LBB116_107
; %bb.104:
	v_subrev_nc_u32_e32 v133, 42, v0
	s_movk_i32 s5, 0x300
	s_mov_b32 s0, 0
.LBB116_105:                            ; =>This Inner Loop Header: Depth=1
	scratch_load_b64 v[134:135], v132, off
	v_dual_mov_b32 v136, s5 :: v_dual_add_nc_u32 v133, -1, v133
	v_add_nc_u32_e32 v132, 8, v132
	s_add_i32 s5, s5, 8
	ds_load_b64 v[136:137], v136
	v_cmp_eq_u32_e32 vcc_lo, 0, v133
	s_or_b32 s0, vcc_lo, s0
	s_waitcnt vmcnt(0) lgkmcnt(0)
	v_fma_f64 v[11:12], v[134:135], v[136:137], v[11:12]
	s_and_not1_b32 exec_lo, exec_lo, s0
	s_cbranch_execnz .LBB116_105
; %bb.106:
	s_or_b32 exec_lo, exec_lo, s0
.LBB116_107:
	s_delay_alu instid0(SALU_CYCLE_1)
	s_or_b32 exec_lo, exec_lo, s4
	v_mov_b32_e32 v132, 0
	ds_load_b64 v[132:133], v132 offset:328
	s_waitcnt lgkmcnt(0)
	v_mul_f64 v[11:12], v[11:12], v[132:133]
	scratch_store_b64 off, v[11:12], off offset:328
.LBB116_108:
	s_or_b32 exec_lo, exec_lo, s2
	scratch_load_b64 v[11:12], off, off offset:320
	v_cmp_lt_u32_e64 s0, 40, v0
	s_waitcnt vmcnt(0)
	ds_store_b64 v110, v[11:12]
	s_waitcnt lgkmcnt(0)
	s_waitcnt_vscnt null, 0x0
	s_barrier
	buffer_gl0_inv
	s_and_saveexec_b32 s2, s0
	s_cbranch_execz .LBB116_118
; %bb.109:
	s_and_not1_b32 vcc_lo, exec_lo, s3
	s_cbranch_vccnz .LBB116_111
; %bb.110:
	scratch_load_b64 v[11:12], v111, off
	ds_load_b64 v[132:133], v110
	s_waitcnt vmcnt(0) lgkmcnt(0)
	v_mul_f64 v[11:12], v[11:12], v[132:133]
	s_cbranch_execz .LBB116_112
	s_branch .LBB116_113
.LBB116_111:
                                        ; implicit-def: $vgpr11_vgpr12
.LBB116_112:
	ds_load_b64 v[11:12], v110
.LBB116_113:
	s_and_saveexec_b32 s4, s1
	s_cbranch_execz .LBB116_117
; %bb.114:
	v_mov_b32_e32 v132, 0
	v_subrev_nc_u32_e32 v133, 41, v0
	s_movk_i32 s5, 0x2f8
	s_mov_b32 s1, 0
	s_delay_alu instid0(VALU_DEP_2)
	v_add_nc_u32_e32 v132, 0x148, v132
.LBB116_115:                            ; =>This Inner Loop Header: Depth=1
	scratch_load_b64 v[134:135], v132, off
	v_dual_mov_b32 v136, s5 :: v_dual_add_nc_u32 v133, -1, v133
	v_add_nc_u32_e32 v132, 8, v132
	s_add_i32 s5, s5, 8
	ds_load_b64 v[136:137], v136
	v_cmp_eq_u32_e32 vcc_lo, 0, v133
	s_or_b32 s1, vcc_lo, s1
	s_waitcnt vmcnt(0) lgkmcnt(0)
	v_fma_f64 v[11:12], v[134:135], v[136:137], v[11:12]
	s_and_not1_b32 exec_lo, exec_lo, s1
	s_cbranch_execnz .LBB116_115
; %bb.116:
	s_or_b32 exec_lo, exec_lo, s1
.LBB116_117:
	s_delay_alu instid0(SALU_CYCLE_1)
	s_or_b32 exec_lo, exec_lo, s4
	v_mov_b32_e32 v132, 0
	ds_load_b64 v[132:133], v132 offset:320
	s_waitcnt lgkmcnt(0)
	v_mul_f64 v[11:12], v[11:12], v[132:133]
	scratch_store_b64 off, v[11:12], off offset:320
.LBB116_118:
	s_or_b32 exec_lo, exec_lo, s2
	scratch_load_b64 v[11:12], off, off offset:312
	v_cmp_lt_u32_e64 s1, 39, v0
	s_waitcnt vmcnt(0)
	ds_store_b64 v110, v[11:12]
	s_waitcnt lgkmcnt(0)
	s_waitcnt_vscnt null, 0x0
	s_barrier
	buffer_gl0_inv
	s_and_saveexec_b32 s2, s1
	s_cbranch_execz .LBB116_128
; %bb.119:
	s_and_not1_b32 vcc_lo, exec_lo, s3
	s_cbranch_vccnz .LBB116_121
; %bb.120:
	scratch_load_b64 v[11:12], v111, off
	ds_load_b64 v[132:133], v110
	s_waitcnt vmcnt(0) lgkmcnt(0)
	v_mul_f64 v[11:12], v[11:12], v[132:133]
	s_cbranch_execz .LBB116_122
	s_branch .LBB116_123
.LBB116_121:
                                        ; implicit-def: $vgpr11_vgpr12
.LBB116_122:
	ds_load_b64 v[11:12], v110
.LBB116_123:
	s_and_saveexec_b32 s4, s0
	s_cbranch_execz .LBB116_127
; %bb.124:
	v_subrev_nc_u32_e32 v132, 40, v0
	s_movk_i32 s5, 0x2f0
	s_mov_b32 s0, 0
.LBB116_125:                            ; =>This Inner Loop Header: Depth=1
	scratch_load_b64 v[133:134], v131, off
	v_dual_mov_b32 v135, s5 :: v_dual_add_nc_u32 v132, -1, v132
	v_add_nc_u32_e32 v131, 8, v131
	s_add_i32 s5, s5, 8
	ds_load_b64 v[135:136], v135
	v_cmp_eq_u32_e32 vcc_lo, 0, v132
	s_or_b32 s0, vcc_lo, s0
	s_waitcnt vmcnt(0) lgkmcnt(0)
	v_fma_f64 v[11:12], v[133:134], v[135:136], v[11:12]
	s_and_not1_b32 exec_lo, exec_lo, s0
	s_cbranch_execnz .LBB116_125
; %bb.126:
	s_or_b32 exec_lo, exec_lo, s0
.LBB116_127:
	s_delay_alu instid0(SALU_CYCLE_1)
	s_or_b32 exec_lo, exec_lo, s4
	v_mov_b32_e32 v131, 0
	ds_load_b64 v[131:132], v131 offset:312
	s_waitcnt lgkmcnt(0)
	v_mul_f64 v[11:12], v[11:12], v[131:132]
	scratch_store_b64 off, v[11:12], off offset:312
.LBB116_128:
	s_or_b32 exec_lo, exec_lo, s2
	scratch_load_b64 v[11:12], off, off offset:304
	v_cmp_lt_u32_e64 s0, 38, v0
	s_waitcnt vmcnt(0)
	ds_store_b64 v110, v[11:12]
	s_waitcnt lgkmcnt(0)
	s_waitcnt_vscnt null, 0x0
	s_barrier
	buffer_gl0_inv
	s_and_saveexec_b32 s2, s0
	s_cbranch_execz .LBB116_138
; %bb.129:
	s_and_not1_b32 vcc_lo, exec_lo, s3
	s_cbranch_vccnz .LBB116_131
; %bb.130:
	scratch_load_b64 v[11:12], v111, off
	ds_load_b64 v[131:132], v110
	s_waitcnt vmcnt(0) lgkmcnt(0)
	v_mul_f64 v[11:12], v[11:12], v[131:132]
	s_cbranch_execz .LBB116_132
	s_branch .LBB116_133
.LBB116_131:
                                        ; implicit-def: $vgpr11_vgpr12
.LBB116_132:
	ds_load_b64 v[11:12], v110
.LBB116_133:
	s_and_saveexec_b32 s4, s1
	s_cbranch_execz .LBB116_137
; %bb.134:
	v_mov_b32_e32 v131, 0
	v_subrev_nc_u32_e32 v132, 39, v0
	s_movk_i32 s5, 0x2e8
	s_mov_b32 s1, 0
	s_delay_alu instid0(VALU_DEP_2)
	v_add_nc_u32_e32 v131, 0x138, v131
.LBB116_135:                            ; =>This Inner Loop Header: Depth=1
	scratch_load_b64 v[133:134], v131, off
	v_dual_mov_b32 v135, s5 :: v_dual_add_nc_u32 v132, -1, v132
	v_add_nc_u32_e32 v131, 8, v131
	s_add_i32 s5, s5, 8
	ds_load_b64 v[135:136], v135
	v_cmp_eq_u32_e32 vcc_lo, 0, v132
	s_or_b32 s1, vcc_lo, s1
	s_waitcnt vmcnt(0) lgkmcnt(0)
	v_fma_f64 v[11:12], v[133:134], v[135:136], v[11:12]
	s_and_not1_b32 exec_lo, exec_lo, s1
	s_cbranch_execnz .LBB116_135
; %bb.136:
	s_or_b32 exec_lo, exec_lo, s1
.LBB116_137:
	s_delay_alu instid0(SALU_CYCLE_1)
	s_or_b32 exec_lo, exec_lo, s4
	v_mov_b32_e32 v131, 0
	ds_load_b64 v[131:132], v131 offset:304
	s_waitcnt lgkmcnt(0)
	v_mul_f64 v[11:12], v[11:12], v[131:132]
	scratch_store_b64 off, v[11:12], off offset:304
.LBB116_138:
	s_or_b32 exec_lo, exec_lo, s2
	scratch_load_b64 v[11:12], off, off offset:296
	v_cmp_lt_u32_e64 s1, 37, v0
	s_waitcnt vmcnt(0)
	ds_store_b64 v110, v[11:12]
	s_waitcnt lgkmcnt(0)
	s_waitcnt_vscnt null, 0x0
	s_barrier
	buffer_gl0_inv
	s_and_saveexec_b32 s2, s1
	s_cbranch_execz .LBB116_148
; %bb.139:
	s_and_not1_b32 vcc_lo, exec_lo, s3
	s_cbranch_vccnz .LBB116_141
; %bb.140:
	scratch_load_b64 v[11:12], v111, off
	ds_load_b64 v[131:132], v110
	s_waitcnt vmcnt(0) lgkmcnt(0)
	v_mul_f64 v[11:12], v[11:12], v[131:132]
	s_cbranch_execz .LBB116_142
	s_branch .LBB116_143
.LBB116_141:
                                        ; implicit-def: $vgpr11_vgpr12
.LBB116_142:
	ds_load_b64 v[11:12], v110
.LBB116_143:
	s_and_saveexec_b32 s4, s0
	s_cbranch_execz .LBB116_147
; %bb.144:
	v_subrev_nc_u32_e32 v131, 38, v0
	s_movk_i32 s5, 0x2e0
	s_mov_b32 s0, 0
.LBB116_145:                            ; =>This Inner Loop Header: Depth=1
	scratch_load_b64 v[132:133], v130, off
	v_dual_mov_b32 v134, s5 :: v_dual_add_nc_u32 v131, -1, v131
	v_add_nc_u32_e32 v130, 8, v130
	s_add_i32 s5, s5, 8
	ds_load_b64 v[134:135], v134
	v_cmp_eq_u32_e32 vcc_lo, 0, v131
	s_or_b32 s0, vcc_lo, s0
	s_waitcnt vmcnt(0) lgkmcnt(0)
	v_fma_f64 v[11:12], v[132:133], v[134:135], v[11:12]
	s_and_not1_b32 exec_lo, exec_lo, s0
	s_cbranch_execnz .LBB116_145
; %bb.146:
	s_or_b32 exec_lo, exec_lo, s0
.LBB116_147:
	s_delay_alu instid0(SALU_CYCLE_1)
	s_or_b32 exec_lo, exec_lo, s4
	v_mov_b32_e32 v130, 0
	ds_load_b64 v[130:131], v130 offset:296
	s_waitcnt lgkmcnt(0)
	v_mul_f64 v[11:12], v[11:12], v[130:131]
	scratch_store_b64 off, v[11:12], off offset:296
.LBB116_148:
	s_or_b32 exec_lo, exec_lo, s2
	scratch_load_b64 v[11:12], off, off offset:288
	v_cmp_lt_u32_e64 s0, 36, v0
	s_waitcnt vmcnt(0)
	ds_store_b64 v110, v[11:12]
	s_waitcnt lgkmcnt(0)
	s_waitcnt_vscnt null, 0x0
	s_barrier
	buffer_gl0_inv
	s_and_saveexec_b32 s2, s0
	s_cbranch_execz .LBB116_158
; %bb.149:
	s_and_not1_b32 vcc_lo, exec_lo, s3
	s_cbranch_vccnz .LBB116_151
; %bb.150:
	scratch_load_b64 v[11:12], v111, off
	ds_load_b64 v[130:131], v110
	s_waitcnt vmcnt(0) lgkmcnt(0)
	v_mul_f64 v[11:12], v[11:12], v[130:131]
	s_cbranch_execz .LBB116_152
	s_branch .LBB116_153
.LBB116_151:
                                        ; implicit-def: $vgpr11_vgpr12
.LBB116_152:
	ds_load_b64 v[11:12], v110
.LBB116_153:
	s_and_saveexec_b32 s4, s1
	s_cbranch_execz .LBB116_157
; %bb.154:
	v_mov_b32_e32 v130, 0
	v_subrev_nc_u32_e32 v131, 37, v0
	s_movk_i32 s5, 0x2d8
	s_mov_b32 s1, 0
	s_delay_alu instid0(VALU_DEP_2)
	v_add_nc_u32_e32 v130, 0x128, v130
.LBB116_155:                            ; =>This Inner Loop Header: Depth=1
	scratch_load_b64 v[132:133], v130, off
	v_dual_mov_b32 v134, s5 :: v_dual_add_nc_u32 v131, -1, v131
	v_add_nc_u32_e32 v130, 8, v130
	s_add_i32 s5, s5, 8
	ds_load_b64 v[134:135], v134
	v_cmp_eq_u32_e32 vcc_lo, 0, v131
	s_or_b32 s1, vcc_lo, s1
	s_waitcnt vmcnt(0) lgkmcnt(0)
	v_fma_f64 v[11:12], v[132:133], v[134:135], v[11:12]
	s_and_not1_b32 exec_lo, exec_lo, s1
	s_cbranch_execnz .LBB116_155
; %bb.156:
	s_or_b32 exec_lo, exec_lo, s1
.LBB116_157:
	s_delay_alu instid0(SALU_CYCLE_1)
	s_or_b32 exec_lo, exec_lo, s4
	v_mov_b32_e32 v130, 0
	ds_load_b64 v[130:131], v130 offset:288
	s_waitcnt lgkmcnt(0)
	v_mul_f64 v[11:12], v[11:12], v[130:131]
	scratch_store_b64 off, v[11:12], off offset:288
.LBB116_158:
	s_or_b32 exec_lo, exec_lo, s2
	scratch_load_b64 v[11:12], off, off offset:280
	v_cmp_lt_u32_e64 s1, 35, v0
	s_waitcnt vmcnt(0)
	ds_store_b64 v110, v[11:12]
	s_waitcnt lgkmcnt(0)
	s_waitcnt_vscnt null, 0x0
	s_barrier
	buffer_gl0_inv
	s_and_saveexec_b32 s2, s1
	s_cbranch_execz .LBB116_168
; %bb.159:
	s_and_not1_b32 vcc_lo, exec_lo, s3
	s_cbranch_vccnz .LBB116_161
; %bb.160:
	scratch_load_b64 v[11:12], v111, off
	ds_load_b64 v[130:131], v110
	s_waitcnt vmcnt(0) lgkmcnt(0)
	v_mul_f64 v[11:12], v[11:12], v[130:131]
	s_cbranch_execz .LBB116_162
	s_branch .LBB116_163
.LBB116_161:
                                        ; implicit-def: $vgpr11_vgpr12
.LBB116_162:
	ds_load_b64 v[11:12], v110
.LBB116_163:
	s_and_saveexec_b32 s4, s0
	s_cbranch_execz .LBB116_167
; %bb.164:
	v_subrev_nc_u32_e32 v130, 36, v0
	s_movk_i32 s5, 0x2d0
	s_mov_b32 s0, 0
.LBB116_165:                            ; =>This Inner Loop Header: Depth=1
	scratch_load_b64 v[131:132], v129, off
	v_dual_mov_b32 v133, s5 :: v_dual_add_nc_u32 v130, -1, v130
	v_add_nc_u32_e32 v129, 8, v129
	s_add_i32 s5, s5, 8
	ds_load_b64 v[133:134], v133
	v_cmp_eq_u32_e32 vcc_lo, 0, v130
	s_or_b32 s0, vcc_lo, s0
	s_waitcnt vmcnt(0) lgkmcnt(0)
	v_fma_f64 v[11:12], v[131:132], v[133:134], v[11:12]
	s_and_not1_b32 exec_lo, exec_lo, s0
	s_cbranch_execnz .LBB116_165
; %bb.166:
	s_or_b32 exec_lo, exec_lo, s0
.LBB116_167:
	s_delay_alu instid0(SALU_CYCLE_1)
	s_or_b32 exec_lo, exec_lo, s4
	v_mov_b32_e32 v129, 0
	ds_load_b64 v[129:130], v129 offset:280
	s_waitcnt lgkmcnt(0)
	v_mul_f64 v[11:12], v[11:12], v[129:130]
	scratch_store_b64 off, v[11:12], off offset:280
.LBB116_168:
	s_or_b32 exec_lo, exec_lo, s2
	scratch_load_b64 v[11:12], off, off offset:272
	v_cmp_lt_u32_e64 s0, 34, v0
	s_waitcnt vmcnt(0)
	ds_store_b64 v110, v[11:12]
	s_waitcnt lgkmcnt(0)
	s_waitcnt_vscnt null, 0x0
	s_barrier
	buffer_gl0_inv
	s_and_saveexec_b32 s2, s0
	s_cbranch_execz .LBB116_178
; %bb.169:
	s_and_not1_b32 vcc_lo, exec_lo, s3
	s_cbranch_vccnz .LBB116_171
; %bb.170:
	scratch_load_b64 v[11:12], v111, off
	ds_load_b64 v[129:130], v110
	s_waitcnt vmcnt(0) lgkmcnt(0)
	v_mul_f64 v[11:12], v[11:12], v[129:130]
	s_cbranch_execz .LBB116_172
	s_branch .LBB116_173
.LBB116_171:
                                        ; implicit-def: $vgpr11_vgpr12
.LBB116_172:
	ds_load_b64 v[11:12], v110
.LBB116_173:
	s_and_saveexec_b32 s4, s1
	s_cbranch_execz .LBB116_177
; %bb.174:
	v_mov_b32_e32 v129, 0
	v_subrev_nc_u32_e32 v130, 35, v0
	s_movk_i32 s5, 0x2c8
	s_mov_b32 s1, 0
	s_delay_alu instid0(VALU_DEP_2)
	v_add_nc_u32_e32 v129, 0x118, v129
.LBB116_175:                            ; =>This Inner Loop Header: Depth=1
	scratch_load_b64 v[131:132], v129, off
	v_dual_mov_b32 v133, s5 :: v_dual_add_nc_u32 v130, -1, v130
	v_add_nc_u32_e32 v129, 8, v129
	s_add_i32 s5, s5, 8
	ds_load_b64 v[133:134], v133
	v_cmp_eq_u32_e32 vcc_lo, 0, v130
	s_or_b32 s1, vcc_lo, s1
	s_waitcnt vmcnt(0) lgkmcnt(0)
	v_fma_f64 v[11:12], v[131:132], v[133:134], v[11:12]
	s_and_not1_b32 exec_lo, exec_lo, s1
	s_cbranch_execnz .LBB116_175
; %bb.176:
	s_or_b32 exec_lo, exec_lo, s1
.LBB116_177:
	s_delay_alu instid0(SALU_CYCLE_1)
	s_or_b32 exec_lo, exec_lo, s4
	v_mov_b32_e32 v129, 0
	ds_load_b64 v[129:130], v129 offset:272
	s_waitcnt lgkmcnt(0)
	v_mul_f64 v[11:12], v[11:12], v[129:130]
	scratch_store_b64 off, v[11:12], off offset:272
.LBB116_178:
	s_or_b32 exec_lo, exec_lo, s2
	scratch_load_b64 v[11:12], off, off offset:264
	v_cmp_lt_u32_e64 s1, 33, v0
	s_waitcnt vmcnt(0)
	ds_store_b64 v110, v[11:12]
	s_waitcnt lgkmcnt(0)
	s_waitcnt_vscnt null, 0x0
	s_barrier
	buffer_gl0_inv
	s_and_saveexec_b32 s2, s1
	s_cbranch_execz .LBB116_188
; %bb.179:
	s_and_not1_b32 vcc_lo, exec_lo, s3
	s_cbranch_vccnz .LBB116_181
; %bb.180:
	scratch_load_b64 v[11:12], v111, off
	ds_load_b64 v[129:130], v110
	s_waitcnt vmcnt(0) lgkmcnt(0)
	v_mul_f64 v[11:12], v[11:12], v[129:130]
	s_cbranch_execz .LBB116_182
	s_branch .LBB116_183
.LBB116_181:
                                        ; implicit-def: $vgpr11_vgpr12
.LBB116_182:
	ds_load_b64 v[11:12], v110
.LBB116_183:
	s_and_saveexec_b32 s4, s0
	s_cbranch_execz .LBB116_187
; %bb.184:
	v_subrev_nc_u32_e32 v129, 34, v0
	s_movk_i32 s5, 0x2c0
	s_mov_b32 s0, 0
.LBB116_185:                            ; =>This Inner Loop Header: Depth=1
	scratch_load_b64 v[130:131], v128, off
	v_dual_mov_b32 v132, s5 :: v_dual_add_nc_u32 v129, -1, v129
	v_add_nc_u32_e32 v128, 8, v128
	s_add_i32 s5, s5, 8
	ds_load_b64 v[132:133], v132
	v_cmp_eq_u32_e32 vcc_lo, 0, v129
	s_or_b32 s0, vcc_lo, s0
	s_waitcnt vmcnt(0) lgkmcnt(0)
	v_fma_f64 v[11:12], v[130:131], v[132:133], v[11:12]
	s_and_not1_b32 exec_lo, exec_lo, s0
	s_cbranch_execnz .LBB116_185
; %bb.186:
	s_or_b32 exec_lo, exec_lo, s0
.LBB116_187:
	s_delay_alu instid0(SALU_CYCLE_1)
	s_or_b32 exec_lo, exec_lo, s4
	v_mov_b32_e32 v128, 0
	ds_load_b64 v[128:129], v128 offset:264
	s_waitcnt lgkmcnt(0)
	v_mul_f64 v[11:12], v[11:12], v[128:129]
	scratch_store_b64 off, v[11:12], off offset:264
.LBB116_188:
	s_or_b32 exec_lo, exec_lo, s2
	scratch_load_b64 v[11:12], off, off offset:256
	v_cmp_lt_u32_e64 s0, 32, v0
	s_waitcnt vmcnt(0)
	ds_store_b64 v110, v[11:12]
	s_waitcnt lgkmcnt(0)
	s_waitcnt_vscnt null, 0x0
	s_barrier
	buffer_gl0_inv
	s_and_saveexec_b32 s2, s0
	s_cbranch_execz .LBB116_198
; %bb.189:
	s_and_not1_b32 vcc_lo, exec_lo, s3
	s_cbranch_vccnz .LBB116_191
; %bb.190:
	scratch_load_b64 v[11:12], v111, off
	ds_load_b64 v[128:129], v110
	s_waitcnt vmcnt(0) lgkmcnt(0)
	v_mul_f64 v[11:12], v[11:12], v[128:129]
	s_cbranch_execz .LBB116_192
	s_branch .LBB116_193
.LBB116_191:
                                        ; implicit-def: $vgpr11_vgpr12
.LBB116_192:
	ds_load_b64 v[11:12], v110
.LBB116_193:
	s_and_saveexec_b32 s4, s1
	s_cbranch_execz .LBB116_197
; %bb.194:
	v_mov_b32_e32 v128, 0
	v_subrev_nc_u32_e32 v129, 33, v0
	s_movk_i32 s5, 0x2b8
	s_mov_b32 s1, 0
	s_delay_alu instid0(VALU_DEP_2)
	v_add_nc_u32_e32 v128, 0x108, v128
.LBB116_195:                            ; =>This Inner Loop Header: Depth=1
	scratch_load_b64 v[130:131], v128, off
	v_dual_mov_b32 v132, s5 :: v_dual_add_nc_u32 v129, -1, v129
	v_add_nc_u32_e32 v128, 8, v128
	s_add_i32 s5, s5, 8
	ds_load_b64 v[132:133], v132
	v_cmp_eq_u32_e32 vcc_lo, 0, v129
	s_or_b32 s1, vcc_lo, s1
	s_waitcnt vmcnt(0) lgkmcnt(0)
	v_fma_f64 v[11:12], v[130:131], v[132:133], v[11:12]
	s_and_not1_b32 exec_lo, exec_lo, s1
	s_cbranch_execnz .LBB116_195
; %bb.196:
	s_or_b32 exec_lo, exec_lo, s1
.LBB116_197:
	s_delay_alu instid0(SALU_CYCLE_1)
	s_or_b32 exec_lo, exec_lo, s4
	v_mov_b32_e32 v128, 0
	ds_load_b64 v[128:129], v128 offset:256
	s_waitcnt lgkmcnt(0)
	v_mul_f64 v[11:12], v[11:12], v[128:129]
	scratch_store_b64 off, v[11:12], off offset:256
.LBB116_198:
	s_or_b32 exec_lo, exec_lo, s2
	scratch_load_b64 v[11:12], off, off offset:248
	v_cmp_lt_u32_e64 s1, 31, v0
	s_waitcnt vmcnt(0)
	ds_store_b64 v110, v[11:12]
	s_waitcnt lgkmcnt(0)
	s_waitcnt_vscnt null, 0x0
	s_barrier
	buffer_gl0_inv
	s_and_saveexec_b32 s2, s1
	s_cbranch_execz .LBB116_208
; %bb.199:
	s_and_not1_b32 vcc_lo, exec_lo, s3
	s_cbranch_vccnz .LBB116_201
; %bb.200:
	scratch_load_b64 v[11:12], v111, off
	ds_load_b64 v[128:129], v110
	s_waitcnt vmcnt(0) lgkmcnt(0)
	v_mul_f64 v[11:12], v[11:12], v[128:129]
	s_cbranch_execz .LBB116_202
	s_branch .LBB116_203
.LBB116_201:
                                        ; implicit-def: $vgpr11_vgpr12
.LBB116_202:
	ds_load_b64 v[11:12], v110
.LBB116_203:
	s_and_saveexec_b32 s4, s0
	s_cbranch_execz .LBB116_207
; %bb.204:
	v_subrev_nc_u32_e32 v128, 32, v0
	s_movk_i32 s5, 0x2b0
	s_mov_b32 s0, 0
.LBB116_205:                            ; =>This Inner Loop Header: Depth=1
	scratch_load_b64 v[129:130], v127, off
	v_dual_mov_b32 v131, s5 :: v_dual_add_nc_u32 v128, -1, v128
	v_add_nc_u32_e32 v127, 8, v127
	s_add_i32 s5, s5, 8
	ds_load_b64 v[131:132], v131
	v_cmp_eq_u32_e32 vcc_lo, 0, v128
	s_or_b32 s0, vcc_lo, s0
	s_waitcnt vmcnt(0) lgkmcnt(0)
	v_fma_f64 v[11:12], v[129:130], v[131:132], v[11:12]
	s_and_not1_b32 exec_lo, exec_lo, s0
	s_cbranch_execnz .LBB116_205
; %bb.206:
	s_or_b32 exec_lo, exec_lo, s0
.LBB116_207:
	s_delay_alu instid0(SALU_CYCLE_1)
	s_or_b32 exec_lo, exec_lo, s4
	v_mov_b32_e32 v127, 0
	ds_load_b64 v[127:128], v127 offset:248
	s_waitcnt lgkmcnt(0)
	v_mul_f64 v[11:12], v[11:12], v[127:128]
	scratch_store_b64 off, v[11:12], off offset:248
.LBB116_208:
	s_or_b32 exec_lo, exec_lo, s2
	scratch_load_b64 v[11:12], off, off offset:240
	v_cmp_lt_u32_e64 s0, 30, v0
	s_waitcnt vmcnt(0)
	ds_store_b64 v110, v[11:12]
	s_waitcnt lgkmcnt(0)
	s_waitcnt_vscnt null, 0x0
	s_barrier
	buffer_gl0_inv
	s_and_saveexec_b32 s2, s0
	s_cbranch_execz .LBB116_218
; %bb.209:
	s_and_not1_b32 vcc_lo, exec_lo, s3
	s_cbranch_vccnz .LBB116_211
; %bb.210:
	scratch_load_b64 v[11:12], v111, off
	ds_load_b64 v[127:128], v110
	s_waitcnt vmcnt(0) lgkmcnt(0)
	v_mul_f64 v[11:12], v[11:12], v[127:128]
	s_cbranch_execz .LBB116_212
	s_branch .LBB116_213
.LBB116_211:
                                        ; implicit-def: $vgpr11_vgpr12
.LBB116_212:
	ds_load_b64 v[11:12], v110
.LBB116_213:
	s_and_saveexec_b32 s4, s1
	s_cbranch_execz .LBB116_217
; %bb.214:
	v_mov_b32_e32 v127, 0
	v_subrev_nc_u32_e32 v128, 31, v0
	s_movk_i32 s5, 0x2a8
	s_mov_b32 s1, 0
	s_delay_alu instid0(VALU_DEP_2)
	v_add_nc_u32_e32 v127, 0xf8, v127
.LBB116_215:                            ; =>This Inner Loop Header: Depth=1
	scratch_load_b64 v[129:130], v127, off
	v_dual_mov_b32 v131, s5 :: v_dual_add_nc_u32 v128, -1, v128
	v_add_nc_u32_e32 v127, 8, v127
	s_add_i32 s5, s5, 8
	ds_load_b64 v[131:132], v131
	v_cmp_eq_u32_e32 vcc_lo, 0, v128
	s_or_b32 s1, vcc_lo, s1
	s_waitcnt vmcnt(0) lgkmcnt(0)
	v_fma_f64 v[11:12], v[129:130], v[131:132], v[11:12]
	s_and_not1_b32 exec_lo, exec_lo, s1
	s_cbranch_execnz .LBB116_215
; %bb.216:
	s_or_b32 exec_lo, exec_lo, s1
.LBB116_217:
	s_delay_alu instid0(SALU_CYCLE_1)
	s_or_b32 exec_lo, exec_lo, s4
	v_mov_b32_e32 v127, 0
	ds_load_b64 v[127:128], v127 offset:240
	s_waitcnt lgkmcnt(0)
	v_mul_f64 v[11:12], v[11:12], v[127:128]
	scratch_store_b64 off, v[11:12], off offset:240
.LBB116_218:
	s_or_b32 exec_lo, exec_lo, s2
	scratch_load_b64 v[11:12], off, off offset:232
	v_cmp_lt_u32_e64 s1, 29, v0
	s_waitcnt vmcnt(0)
	ds_store_b64 v110, v[11:12]
	s_waitcnt lgkmcnt(0)
	s_waitcnt_vscnt null, 0x0
	s_barrier
	buffer_gl0_inv
	s_and_saveexec_b32 s2, s1
	s_cbranch_execz .LBB116_228
; %bb.219:
	s_and_not1_b32 vcc_lo, exec_lo, s3
	s_cbranch_vccnz .LBB116_221
; %bb.220:
	scratch_load_b64 v[11:12], v111, off
	ds_load_b64 v[127:128], v110
	s_waitcnt vmcnt(0) lgkmcnt(0)
	v_mul_f64 v[11:12], v[11:12], v[127:128]
	s_cbranch_execz .LBB116_222
	s_branch .LBB116_223
.LBB116_221:
                                        ; implicit-def: $vgpr11_vgpr12
.LBB116_222:
	ds_load_b64 v[11:12], v110
.LBB116_223:
	s_and_saveexec_b32 s4, s0
	s_cbranch_execz .LBB116_227
; %bb.224:
	v_subrev_nc_u32_e32 v127, 30, v0
	s_movk_i32 s5, 0x2a0
	s_mov_b32 s0, 0
.LBB116_225:                            ; =>This Inner Loop Header: Depth=1
	scratch_load_b64 v[128:129], v126, off
	v_dual_mov_b32 v130, s5 :: v_dual_add_nc_u32 v127, -1, v127
	v_add_nc_u32_e32 v126, 8, v126
	s_add_i32 s5, s5, 8
	ds_load_b64 v[130:131], v130
	v_cmp_eq_u32_e32 vcc_lo, 0, v127
	s_or_b32 s0, vcc_lo, s0
	s_waitcnt vmcnt(0) lgkmcnt(0)
	v_fma_f64 v[11:12], v[128:129], v[130:131], v[11:12]
	s_and_not1_b32 exec_lo, exec_lo, s0
	s_cbranch_execnz .LBB116_225
; %bb.226:
	s_or_b32 exec_lo, exec_lo, s0
.LBB116_227:
	s_delay_alu instid0(SALU_CYCLE_1)
	s_or_b32 exec_lo, exec_lo, s4
	v_mov_b32_e32 v126, 0
	ds_load_b64 v[126:127], v126 offset:232
	s_waitcnt lgkmcnt(0)
	v_mul_f64 v[11:12], v[11:12], v[126:127]
	scratch_store_b64 off, v[11:12], off offset:232
.LBB116_228:
	s_or_b32 exec_lo, exec_lo, s2
	scratch_load_b64 v[11:12], off, off offset:224
	v_cmp_lt_u32_e64 s0, 28, v0
	s_waitcnt vmcnt(0)
	ds_store_b64 v110, v[11:12]
	s_waitcnt lgkmcnt(0)
	s_waitcnt_vscnt null, 0x0
	s_barrier
	buffer_gl0_inv
	s_and_saveexec_b32 s2, s0
	s_cbranch_execz .LBB116_238
; %bb.229:
	s_and_not1_b32 vcc_lo, exec_lo, s3
	s_cbranch_vccnz .LBB116_231
; %bb.230:
	scratch_load_b64 v[11:12], v111, off
	ds_load_b64 v[126:127], v110
	s_waitcnt vmcnt(0) lgkmcnt(0)
	v_mul_f64 v[11:12], v[11:12], v[126:127]
	s_cbranch_execz .LBB116_232
	s_branch .LBB116_233
.LBB116_231:
                                        ; implicit-def: $vgpr11_vgpr12
.LBB116_232:
	ds_load_b64 v[11:12], v110
.LBB116_233:
	s_and_saveexec_b32 s4, s1
	s_cbranch_execz .LBB116_237
; %bb.234:
	v_mov_b32_e32 v126, 0
	v_subrev_nc_u32_e32 v127, 29, v0
	s_movk_i32 s5, 0x298
	s_mov_b32 s1, 0
	s_delay_alu instid0(VALU_DEP_2)
	v_add_nc_u32_e32 v126, 0xe8, v126
.LBB116_235:                            ; =>This Inner Loop Header: Depth=1
	scratch_load_b64 v[128:129], v126, off
	v_dual_mov_b32 v130, s5 :: v_dual_add_nc_u32 v127, -1, v127
	v_add_nc_u32_e32 v126, 8, v126
	s_add_i32 s5, s5, 8
	ds_load_b64 v[130:131], v130
	v_cmp_eq_u32_e32 vcc_lo, 0, v127
	s_or_b32 s1, vcc_lo, s1
	s_waitcnt vmcnt(0) lgkmcnt(0)
	v_fma_f64 v[11:12], v[128:129], v[130:131], v[11:12]
	s_and_not1_b32 exec_lo, exec_lo, s1
	s_cbranch_execnz .LBB116_235
; %bb.236:
	s_or_b32 exec_lo, exec_lo, s1
.LBB116_237:
	s_delay_alu instid0(SALU_CYCLE_1)
	s_or_b32 exec_lo, exec_lo, s4
	v_mov_b32_e32 v126, 0
	ds_load_b64 v[126:127], v126 offset:224
	s_waitcnt lgkmcnt(0)
	v_mul_f64 v[11:12], v[11:12], v[126:127]
	scratch_store_b64 off, v[11:12], off offset:224
.LBB116_238:
	s_or_b32 exec_lo, exec_lo, s2
	scratch_load_b64 v[11:12], off, off offset:216
	v_cmp_lt_u32_e64 s1, 27, v0
	s_waitcnt vmcnt(0)
	ds_store_b64 v110, v[11:12]
	s_waitcnt lgkmcnt(0)
	s_waitcnt_vscnt null, 0x0
	s_barrier
	buffer_gl0_inv
	s_and_saveexec_b32 s2, s1
	s_cbranch_execz .LBB116_248
; %bb.239:
	s_and_not1_b32 vcc_lo, exec_lo, s3
	s_cbranch_vccnz .LBB116_241
; %bb.240:
	scratch_load_b64 v[11:12], v111, off
	ds_load_b64 v[126:127], v110
	s_waitcnt vmcnt(0) lgkmcnt(0)
	v_mul_f64 v[11:12], v[11:12], v[126:127]
	s_cbranch_execz .LBB116_242
	s_branch .LBB116_243
.LBB116_241:
                                        ; implicit-def: $vgpr11_vgpr12
.LBB116_242:
	ds_load_b64 v[11:12], v110
.LBB116_243:
	s_and_saveexec_b32 s4, s0
	s_cbranch_execz .LBB116_247
; %bb.244:
	v_subrev_nc_u32_e32 v126, 28, v0
	s_movk_i32 s5, 0x290
	s_mov_b32 s0, 0
.LBB116_245:                            ; =>This Inner Loop Header: Depth=1
	scratch_load_b64 v[127:128], v125, off
	v_dual_mov_b32 v129, s5 :: v_dual_add_nc_u32 v126, -1, v126
	v_add_nc_u32_e32 v125, 8, v125
	s_add_i32 s5, s5, 8
	ds_load_b64 v[129:130], v129
	v_cmp_eq_u32_e32 vcc_lo, 0, v126
	s_or_b32 s0, vcc_lo, s0
	s_waitcnt vmcnt(0) lgkmcnt(0)
	v_fma_f64 v[11:12], v[127:128], v[129:130], v[11:12]
	s_and_not1_b32 exec_lo, exec_lo, s0
	s_cbranch_execnz .LBB116_245
; %bb.246:
	s_or_b32 exec_lo, exec_lo, s0
.LBB116_247:
	s_delay_alu instid0(SALU_CYCLE_1)
	s_or_b32 exec_lo, exec_lo, s4
	v_mov_b32_e32 v125, 0
	ds_load_b64 v[125:126], v125 offset:216
	s_waitcnt lgkmcnt(0)
	v_mul_f64 v[11:12], v[11:12], v[125:126]
	scratch_store_b64 off, v[11:12], off offset:216
.LBB116_248:
	s_or_b32 exec_lo, exec_lo, s2
	scratch_load_b64 v[11:12], off, off offset:208
	v_cmp_lt_u32_e64 s0, 26, v0
	s_waitcnt vmcnt(0)
	ds_store_b64 v110, v[11:12]
	s_waitcnt lgkmcnt(0)
	s_waitcnt_vscnt null, 0x0
	s_barrier
	buffer_gl0_inv
	s_and_saveexec_b32 s2, s0
	s_cbranch_execz .LBB116_258
; %bb.249:
	s_and_not1_b32 vcc_lo, exec_lo, s3
	s_cbranch_vccnz .LBB116_251
; %bb.250:
	scratch_load_b64 v[11:12], v111, off
	ds_load_b64 v[125:126], v110
	s_waitcnt vmcnt(0) lgkmcnt(0)
	v_mul_f64 v[11:12], v[11:12], v[125:126]
	s_cbranch_execz .LBB116_252
	s_branch .LBB116_253
.LBB116_251:
                                        ; implicit-def: $vgpr11_vgpr12
.LBB116_252:
	ds_load_b64 v[11:12], v110
.LBB116_253:
	s_and_saveexec_b32 s4, s1
	s_cbranch_execz .LBB116_257
; %bb.254:
	v_mov_b32_e32 v125, 0
	v_subrev_nc_u32_e32 v126, 27, v0
	s_movk_i32 s5, 0x288
	s_mov_b32 s1, 0
	s_delay_alu instid0(VALU_DEP_2)
	v_add_nc_u32_e32 v125, 0xd8, v125
.LBB116_255:                            ; =>This Inner Loop Header: Depth=1
	scratch_load_b64 v[127:128], v125, off
	v_dual_mov_b32 v129, s5 :: v_dual_add_nc_u32 v126, -1, v126
	v_add_nc_u32_e32 v125, 8, v125
	s_add_i32 s5, s5, 8
	ds_load_b64 v[129:130], v129
	v_cmp_eq_u32_e32 vcc_lo, 0, v126
	s_or_b32 s1, vcc_lo, s1
	s_waitcnt vmcnt(0) lgkmcnt(0)
	v_fma_f64 v[11:12], v[127:128], v[129:130], v[11:12]
	s_and_not1_b32 exec_lo, exec_lo, s1
	s_cbranch_execnz .LBB116_255
; %bb.256:
	s_or_b32 exec_lo, exec_lo, s1
.LBB116_257:
	s_delay_alu instid0(SALU_CYCLE_1)
	s_or_b32 exec_lo, exec_lo, s4
	v_mov_b32_e32 v125, 0
	ds_load_b64 v[125:126], v125 offset:208
	s_waitcnt lgkmcnt(0)
	v_mul_f64 v[11:12], v[11:12], v[125:126]
	scratch_store_b64 off, v[11:12], off offset:208
.LBB116_258:
	s_or_b32 exec_lo, exec_lo, s2
	scratch_load_b64 v[11:12], off, off offset:200
	v_cmp_lt_u32_e64 s1, 25, v0
	s_waitcnt vmcnt(0)
	ds_store_b64 v110, v[11:12]
	s_waitcnt lgkmcnt(0)
	s_waitcnt_vscnt null, 0x0
	s_barrier
	buffer_gl0_inv
	s_and_saveexec_b32 s2, s1
	s_cbranch_execz .LBB116_268
; %bb.259:
	s_and_not1_b32 vcc_lo, exec_lo, s3
	s_cbranch_vccnz .LBB116_261
; %bb.260:
	scratch_load_b64 v[11:12], v111, off
	ds_load_b64 v[125:126], v110
	s_waitcnt vmcnt(0) lgkmcnt(0)
	v_mul_f64 v[11:12], v[11:12], v[125:126]
	s_cbranch_execz .LBB116_262
	s_branch .LBB116_263
.LBB116_261:
                                        ; implicit-def: $vgpr11_vgpr12
.LBB116_262:
	ds_load_b64 v[11:12], v110
.LBB116_263:
	s_and_saveexec_b32 s4, s0
	s_cbranch_execz .LBB116_267
; %bb.264:
	v_subrev_nc_u32_e32 v125, 26, v0
	s_movk_i32 s5, 0x280
	s_mov_b32 s0, 0
.LBB116_265:                            ; =>This Inner Loop Header: Depth=1
	scratch_load_b64 v[126:127], v124, off
	v_dual_mov_b32 v128, s5 :: v_dual_add_nc_u32 v125, -1, v125
	v_add_nc_u32_e32 v124, 8, v124
	s_add_i32 s5, s5, 8
	ds_load_b64 v[128:129], v128
	v_cmp_eq_u32_e32 vcc_lo, 0, v125
	s_or_b32 s0, vcc_lo, s0
	s_waitcnt vmcnt(0) lgkmcnt(0)
	v_fma_f64 v[11:12], v[126:127], v[128:129], v[11:12]
	s_and_not1_b32 exec_lo, exec_lo, s0
	s_cbranch_execnz .LBB116_265
; %bb.266:
	s_or_b32 exec_lo, exec_lo, s0
.LBB116_267:
	s_delay_alu instid0(SALU_CYCLE_1)
	s_or_b32 exec_lo, exec_lo, s4
	v_mov_b32_e32 v124, 0
	ds_load_b64 v[124:125], v124 offset:200
	s_waitcnt lgkmcnt(0)
	v_mul_f64 v[11:12], v[11:12], v[124:125]
	scratch_store_b64 off, v[11:12], off offset:200
.LBB116_268:
	s_or_b32 exec_lo, exec_lo, s2
	scratch_load_b64 v[11:12], off, off offset:192
	v_cmp_lt_u32_e64 s0, 24, v0
	s_waitcnt vmcnt(0)
	ds_store_b64 v110, v[11:12]
	s_waitcnt lgkmcnt(0)
	s_waitcnt_vscnt null, 0x0
	s_barrier
	buffer_gl0_inv
	s_and_saveexec_b32 s2, s0
	s_cbranch_execz .LBB116_278
; %bb.269:
	s_and_not1_b32 vcc_lo, exec_lo, s3
	s_cbranch_vccnz .LBB116_271
; %bb.270:
	scratch_load_b64 v[11:12], v111, off
	ds_load_b64 v[124:125], v110
	s_waitcnt vmcnt(0) lgkmcnt(0)
	v_mul_f64 v[11:12], v[11:12], v[124:125]
	s_cbranch_execz .LBB116_272
	s_branch .LBB116_273
.LBB116_271:
                                        ; implicit-def: $vgpr11_vgpr12
.LBB116_272:
	ds_load_b64 v[11:12], v110
.LBB116_273:
	s_and_saveexec_b32 s4, s1
	s_cbranch_execz .LBB116_277
; %bb.274:
	v_mov_b32_e32 v124, 0
	v_subrev_nc_u32_e32 v125, 25, v0
	s_movk_i32 s5, 0x278
	s_mov_b32 s1, 0
	s_delay_alu instid0(VALU_DEP_2)
	v_add_nc_u32_e32 v124, 0xc8, v124
.LBB116_275:                            ; =>This Inner Loop Header: Depth=1
	scratch_load_b64 v[126:127], v124, off
	v_dual_mov_b32 v128, s5 :: v_dual_add_nc_u32 v125, -1, v125
	v_add_nc_u32_e32 v124, 8, v124
	s_add_i32 s5, s5, 8
	ds_load_b64 v[128:129], v128
	v_cmp_eq_u32_e32 vcc_lo, 0, v125
	s_or_b32 s1, vcc_lo, s1
	s_waitcnt vmcnt(0) lgkmcnt(0)
	v_fma_f64 v[11:12], v[126:127], v[128:129], v[11:12]
	s_and_not1_b32 exec_lo, exec_lo, s1
	s_cbranch_execnz .LBB116_275
; %bb.276:
	s_or_b32 exec_lo, exec_lo, s1
.LBB116_277:
	s_delay_alu instid0(SALU_CYCLE_1)
	s_or_b32 exec_lo, exec_lo, s4
	v_mov_b32_e32 v124, 0
	ds_load_b64 v[124:125], v124 offset:192
	s_waitcnt lgkmcnt(0)
	v_mul_f64 v[11:12], v[11:12], v[124:125]
	scratch_store_b64 off, v[11:12], off offset:192
.LBB116_278:
	s_or_b32 exec_lo, exec_lo, s2
	scratch_load_b64 v[11:12], off, off offset:184
	v_cmp_lt_u32_e64 s1, 23, v0
	s_waitcnt vmcnt(0)
	ds_store_b64 v110, v[11:12]
	s_waitcnt lgkmcnt(0)
	s_waitcnt_vscnt null, 0x0
	s_barrier
	buffer_gl0_inv
	s_and_saveexec_b32 s2, s1
	s_cbranch_execz .LBB116_288
; %bb.279:
	s_and_not1_b32 vcc_lo, exec_lo, s3
	s_cbranch_vccnz .LBB116_281
; %bb.280:
	scratch_load_b64 v[11:12], v111, off
	ds_load_b64 v[124:125], v110
	s_waitcnt vmcnt(0) lgkmcnt(0)
	v_mul_f64 v[11:12], v[11:12], v[124:125]
	s_cbranch_execz .LBB116_282
	s_branch .LBB116_283
.LBB116_281:
                                        ; implicit-def: $vgpr11_vgpr12
.LBB116_282:
	ds_load_b64 v[11:12], v110
.LBB116_283:
	s_and_saveexec_b32 s4, s0
	s_cbranch_execz .LBB116_287
; %bb.284:
	v_subrev_nc_u32_e32 v124, 24, v0
	s_movk_i32 s5, 0x270
	s_mov_b32 s0, 0
.LBB116_285:                            ; =>This Inner Loop Header: Depth=1
	scratch_load_b64 v[125:126], v123, off
	v_dual_mov_b32 v127, s5 :: v_dual_add_nc_u32 v124, -1, v124
	v_add_nc_u32_e32 v123, 8, v123
	s_add_i32 s5, s5, 8
	ds_load_b64 v[127:128], v127
	v_cmp_eq_u32_e32 vcc_lo, 0, v124
	s_or_b32 s0, vcc_lo, s0
	s_waitcnt vmcnt(0) lgkmcnt(0)
	v_fma_f64 v[11:12], v[125:126], v[127:128], v[11:12]
	s_and_not1_b32 exec_lo, exec_lo, s0
	s_cbranch_execnz .LBB116_285
; %bb.286:
	s_or_b32 exec_lo, exec_lo, s0
.LBB116_287:
	s_delay_alu instid0(SALU_CYCLE_1)
	s_or_b32 exec_lo, exec_lo, s4
	v_mov_b32_e32 v123, 0
	ds_load_b64 v[123:124], v123 offset:184
	s_waitcnt lgkmcnt(0)
	v_mul_f64 v[11:12], v[11:12], v[123:124]
	scratch_store_b64 off, v[11:12], off offset:184
.LBB116_288:
	s_or_b32 exec_lo, exec_lo, s2
	scratch_load_b64 v[11:12], off, off offset:176
	v_cmp_lt_u32_e64 s0, 22, v0
	s_waitcnt vmcnt(0)
	ds_store_b64 v110, v[11:12]
	s_waitcnt lgkmcnt(0)
	s_waitcnt_vscnt null, 0x0
	s_barrier
	buffer_gl0_inv
	s_and_saveexec_b32 s2, s0
	s_cbranch_execz .LBB116_298
; %bb.289:
	s_and_not1_b32 vcc_lo, exec_lo, s3
	s_cbranch_vccnz .LBB116_291
; %bb.290:
	scratch_load_b64 v[11:12], v111, off
	ds_load_b64 v[123:124], v110
	s_waitcnt vmcnt(0) lgkmcnt(0)
	v_mul_f64 v[11:12], v[11:12], v[123:124]
	s_cbranch_execz .LBB116_292
	s_branch .LBB116_293
.LBB116_291:
                                        ; implicit-def: $vgpr11_vgpr12
.LBB116_292:
	ds_load_b64 v[11:12], v110
.LBB116_293:
	s_and_saveexec_b32 s4, s1
	s_cbranch_execz .LBB116_297
; %bb.294:
	v_mov_b32_e32 v123, 0
	v_subrev_nc_u32_e32 v124, 23, v0
	s_movk_i32 s5, 0x268
	s_mov_b32 s1, 0
	s_delay_alu instid0(VALU_DEP_2)
	v_add_nc_u32_e32 v123, 0xb8, v123
.LBB116_295:                            ; =>This Inner Loop Header: Depth=1
	scratch_load_b64 v[125:126], v123, off
	v_dual_mov_b32 v127, s5 :: v_dual_add_nc_u32 v124, -1, v124
	v_add_nc_u32_e32 v123, 8, v123
	s_add_i32 s5, s5, 8
	ds_load_b64 v[127:128], v127
	v_cmp_eq_u32_e32 vcc_lo, 0, v124
	s_or_b32 s1, vcc_lo, s1
	s_waitcnt vmcnt(0) lgkmcnt(0)
	v_fma_f64 v[11:12], v[125:126], v[127:128], v[11:12]
	s_and_not1_b32 exec_lo, exec_lo, s1
	s_cbranch_execnz .LBB116_295
; %bb.296:
	s_or_b32 exec_lo, exec_lo, s1
.LBB116_297:
	s_delay_alu instid0(SALU_CYCLE_1)
	s_or_b32 exec_lo, exec_lo, s4
	v_mov_b32_e32 v123, 0
	ds_load_b64 v[123:124], v123 offset:176
	s_waitcnt lgkmcnt(0)
	v_mul_f64 v[11:12], v[11:12], v[123:124]
	scratch_store_b64 off, v[11:12], off offset:176
.LBB116_298:
	s_or_b32 exec_lo, exec_lo, s2
	scratch_load_b64 v[11:12], off, off offset:168
	v_cmp_lt_u32_e64 s1, 21, v0
	s_waitcnt vmcnt(0)
	ds_store_b64 v110, v[11:12]
	s_waitcnt lgkmcnt(0)
	s_waitcnt_vscnt null, 0x0
	s_barrier
	buffer_gl0_inv
	s_and_saveexec_b32 s2, s1
	s_cbranch_execz .LBB116_308
; %bb.299:
	s_and_not1_b32 vcc_lo, exec_lo, s3
	s_cbranch_vccnz .LBB116_301
; %bb.300:
	scratch_load_b64 v[11:12], v111, off
	ds_load_b64 v[123:124], v110
	s_waitcnt vmcnt(0) lgkmcnt(0)
	v_mul_f64 v[11:12], v[11:12], v[123:124]
	s_cbranch_execz .LBB116_302
	s_branch .LBB116_303
.LBB116_301:
                                        ; implicit-def: $vgpr11_vgpr12
.LBB116_302:
	ds_load_b64 v[11:12], v110
.LBB116_303:
	s_and_saveexec_b32 s4, s0
	s_cbranch_execz .LBB116_307
; %bb.304:
	v_subrev_nc_u32_e32 v123, 22, v0
	s_movk_i32 s5, 0x260
	s_mov_b32 s0, 0
.LBB116_305:                            ; =>This Inner Loop Header: Depth=1
	scratch_load_b64 v[124:125], v122, off
	v_dual_mov_b32 v126, s5 :: v_dual_add_nc_u32 v123, -1, v123
	v_add_nc_u32_e32 v122, 8, v122
	s_add_i32 s5, s5, 8
	ds_load_b64 v[126:127], v126
	v_cmp_eq_u32_e32 vcc_lo, 0, v123
	s_or_b32 s0, vcc_lo, s0
	s_waitcnt vmcnt(0) lgkmcnt(0)
	v_fma_f64 v[11:12], v[124:125], v[126:127], v[11:12]
	s_and_not1_b32 exec_lo, exec_lo, s0
	s_cbranch_execnz .LBB116_305
; %bb.306:
	s_or_b32 exec_lo, exec_lo, s0
.LBB116_307:
	s_delay_alu instid0(SALU_CYCLE_1)
	s_or_b32 exec_lo, exec_lo, s4
	v_mov_b32_e32 v122, 0
	ds_load_b64 v[122:123], v122 offset:168
	s_waitcnt lgkmcnt(0)
	v_mul_f64 v[11:12], v[11:12], v[122:123]
	scratch_store_b64 off, v[11:12], off offset:168
.LBB116_308:
	s_or_b32 exec_lo, exec_lo, s2
	scratch_load_b64 v[11:12], off, off offset:160
	v_cmp_lt_u32_e64 s0, 20, v0
	s_waitcnt vmcnt(0)
	ds_store_b64 v110, v[11:12]
	s_waitcnt lgkmcnt(0)
	s_waitcnt_vscnt null, 0x0
	s_barrier
	buffer_gl0_inv
	s_and_saveexec_b32 s2, s0
	s_cbranch_execz .LBB116_318
; %bb.309:
	s_and_not1_b32 vcc_lo, exec_lo, s3
	s_cbranch_vccnz .LBB116_311
; %bb.310:
	scratch_load_b64 v[11:12], v111, off
	ds_load_b64 v[122:123], v110
	s_waitcnt vmcnt(0) lgkmcnt(0)
	v_mul_f64 v[11:12], v[11:12], v[122:123]
	s_cbranch_execz .LBB116_312
	s_branch .LBB116_313
.LBB116_311:
                                        ; implicit-def: $vgpr11_vgpr12
.LBB116_312:
	ds_load_b64 v[11:12], v110
.LBB116_313:
	s_and_saveexec_b32 s4, s1
	s_cbranch_execz .LBB116_317
; %bb.314:
	v_mov_b32_e32 v122, 0
	v_subrev_nc_u32_e32 v123, 21, v0
	s_movk_i32 s5, 0x258
	s_mov_b32 s1, 0
	s_delay_alu instid0(VALU_DEP_2)
	v_add_nc_u32_e32 v122, 0xa8, v122
.LBB116_315:                            ; =>This Inner Loop Header: Depth=1
	scratch_load_b64 v[124:125], v122, off
	v_dual_mov_b32 v126, s5 :: v_dual_add_nc_u32 v123, -1, v123
	v_add_nc_u32_e32 v122, 8, v122
	s_add_i32 s5, s5, 8
	ds_load_b64 v[126:127], v126
	v_cmp_eq_u32_e32 vcc_lo, 0, v123
	s_or_b32 s1, vcc_lo, s1
	s_waitcnt vmcnt(0) lgkmcnt(0)
	v_fma_f64 v[11:12], v[124:125], v[126:127], v[11:12]
	s_and_not1_b32 exec_lo, exec_lo, s1
	s_cbranch_execnz .LBB116_315
; %bb.316:
	s_or_b32 exec_lo, exec_lo, s1
.LBB116_317:
	s_delay_alu instid0(SALU_CYCLE_1)
	s_or_b32 exec_lo, exec_lo, s4
	v_mov_b32_e32 v122, 0
	ds_load_b64 v[122:123], v122 offset:160
	s_waitcnt lgkmcnt(0)
	v_mul_f64 v[11:12], v[11:12], v[122:123]
	scratch_store_b64 off, v[11:12], off offset:160
.LBB116_318:
	s_or_b32 exec_lo, exec_lo, s2
	scratch_load_b64 v[11:12], off, off offset:152
	v_cmp_lt_u32_e64 s1, 19, v0
	s_waitcnt vmcnt(0)
	ds_store_b64 v110, v[11:12]
	s_waitcnt lgkmcnt(0)
	s_waitcnt_vscnt null, 0x0
	s_barrier
	buffer_gl0_inv
	s_and_saveexec_b32 s2, s1
	s_cbranch_execz .LBB116_328
; %bb.319:
	s_and_not1_b32 vcc_lo, exec_lo, s3
	s_cbranch_vccnz .LBB116_321
; %bb.320:
	scratch_load_b64 v[11:12], v111, off
	ds_load_b64 v[122:123], v110
	s_waitcnt vmcnt(0) lgkmcnt(0)
	v_mul_f64 v[11:12], v[11:12], v[122:123]
	s_cbranch_execz .LBB116_322
	s_branch .LBB116_323
.LBB116_321:
                                        ; implicit-def: $vgpr11_vgpr12
.LBB116_322:
	ds_load_b64 v[11:12], v110
.LBB116_323:
	s_and_saveexec_b32 s4, s0
	s_cbranch_execz .LBB116_327
; %bb.324:
	v_subrev_nc_u32_e32 v122, 20, v0
	s_movk_i32 s5, 0x250
	s_mov_b32 s0, 0
.LBB116_325:                            ; =>This Inner Loop Header: Depth=1
	scratch_load_b64 v[123:124], v121, off
	v_dual_mov_b32 v125, s5 :: v_dual_add_nc_u32 v122, -1, v122
	v_add_nc_u32_e32 v121, 8, v121
	s_add_i32 s5, s5, 8
	ds_load_b64 v[125:126], v125
	v_cmp_eq_u32_e32 vcc_lo, 0, v122
	s_or_b32 s0, vcc_lo, s0
	s_waitcnt vmcnt(0) lgkmcnt(0)
	v_fma_f64 v[11:12], v[123:124], v[125:126], v[11:12]
	s_and_not1_b32 exec_lo, exec_lo, s0
	s_cbranch_execnz .LBB116_325
; %bb.326:
	s_or_b32 exec_lo, exec_lo, s0
.LBB116_327:
	s_delay_alu instid0(SALU_CYCLE_1)
	s_or_b32 exec_lo, exec_lo, s4
	v_mov_b32_e32 v121, 0
	ds_load_b64 v[121:122], v121 offset:152
	s_waitcnt lgkmcnt(0)
	v_mul_f64 v[11:12], v[11:12], v[121:122]
	scratch_store_b64 off, v[11:12], off offset:152
.LBB116_328:
	s_or_b32 exec_lo, exec_lo, s2
	scratch_load_b64 v[11:12], off, off offset:144
	v_cmp_lt_u32_e64 s0, 18, v0
	s_waitcnt vmcnt(0)
	ds_store_b64 v110, v[11:12]
	s_waitcnt lgkmcnt(0)
	s_waitcnt_vscnt null, 0x0
	s_barrier
	buffer_gl0_inv
	s_and_saveexec_b32 s2, s0
	s_cbranch_execz .LBB116_338
; %bb.329:
	s_and_not1_b32 vcc_lo, exec_lo, s3
	s_cbranch_vccnz .LBB116_331
; %bb.330:
	scratch_load_b64 v[11:12], v111, off
	ds_load_b64 v[121:122], v110
	s_waitcnt vmcnt(0) lgkmcnt(0)
	v_mul_f64 v[11:12], v[11:12], v[121:122]
	s_cbranch_execz .LBB116_332
	s_branch .LBB116_333
.LBB116_331:
                                        ; implicit-def: $vgpr11_vgpr12
.LBB116_332:
	ds_load_b64 v[11:12], v110
.LBB116_333:
	s_and_saveexec_b32 s4, s1
	s_cbranch_execz .LBB116_337
; %bb.334:
	v_mov_b32_e32 v121, 0
	v_subrev_nc_u32_e32 v122, 19, v0
	s_movk_i32 s5, 0x248
	s_mov_b32 s1, 0
	s_delay_alu instid0(VALU_DEP_2)
	v_add_nc_u32_e32 v121, 0x98, v121
.LBB116_335:                            ; =>This Inner Loop Header: Depth=1
	scratch_load_b64 v[123:124], v121, off
	v_dual_mov_b32 v125, s5 :: v_dual_add_nc_u32 v122, -1, v122
	v_add_nc_u32_e32 v121, 8, v121
	s_add_i32 s5, s5, 8
	ds_load_b64 v[125:126], v125
	v_cmp_eq_u32_e32 vcc_lo, 0, v122
	s_or_b32 s1, vcc_lo, s1
	s_waitcnt vmcnt(0) lgkmcnt(0)
	v_fma_f64 v[11:12], v[123:124], v[125:126], v[11:12]
	s_and_not1_b32 exec_lo, exec_lo, s1
	s_cbranch_execnz .LBB116_335
; %bb.336:
	s_or_b32 exec_lo, exec_lo, s1
.LBB116_337:
	s_delay_alu instid0(SALU_CYCLE_1)
	s_or_b32 exec_lo, exec_lo, s4
	v_mov_b32_e32 v121, 0
	ds_load_b64 v[121:122], v121 offset:144
	s_waitcnt lgkmcnt(0)
	v_mul_f64 v[11:12], v[11:12], v[121:122]
	scratch_store_b64 off, v[11:12], off offset:144
.LBB116_338:
	s_or_b32 exec_lo, exec_lo, s2
	scratch_load_b64 v[11:12], off, off offset:136
	v_cmp_lt_u32_e64 s1, 17, v0
	s_waitcnt vmcnt(0)
	ds_store_b64 v110, v[11:12]
	s_waitcnt lgkmcnt(0)
	s_waitcnt_vscnt null, 0x0
	s_barrier
	buffer_gl0_inv
	s_and_saveexec_b32 s2, s1
	s_cbranch_execz .LBB116_348
; %bb.339:
	s_and_not1_b32 vcc_lo, exec_lo, s3
	s_cbranch_vccnz .LBB116_341
; %bb.340:
	scratch_load_b64 v[11:12], v111, off
	ds_load_b64 v[121:122], v110
	s_waitcnt vmcnt(0) lgkmcnt(0)
	v_mul_f64 v[11:12], v[11:12], v[121:122]
	s_cbranch_execz .LBB116_342
	s_branch .LBB116_343
.LBB116_341:
                                        ; implicit-def: $vgpr11_vgpr12
.LBB116_342:
	ds_load_b64 v[11:12], v110
.LBB116_343:
	s_and_saveexec_b32 s4, s0
	s_cbranch_execz .LBB116_347
; %bb.344:
	v_subrev_nc_u32_e32 v121, 18, v0
	s_movk_i32 s5, 0x240
	s_mov_b32 s0, 0
.LBB116_345:                            ; =>This Inner Loop Header: Depth=1
	scratch_load_b64 v[122:123], v120, off
	v_dual_mov_b32 v124, s5 :: v_dual_add_nc_u32 v121, -1, v121
	v_add_nc_u32_e32 v120, 8, v120
	s_add_i32 s5, s5, 8
	ds_load_b64 v[124:125], v124
	v_cmp_eq_u32_e32 vcc_lo, 0, v121
	s_or_b32 s0, vcc_lo, s0
	s_waitcnt vmcnt(0) lgkmcnt(0)
	v_fma_f64 v[11:12], v[122:123], v[124:125], v[11:12]
	s_and_not1_b32 exec_lo, exec_lo, s0
	s_cbranch_execnz .LBB116_345
; %bb.346:
	s_or_b32 exec_lo, exec_lo, s0
.LBB116_347:
	s_delay_alu instid0(SALU_CYCLE_1)
	s_or_b32 exec_lo, exec_lo, s4
	v_mov_b32_e32 v120, 0
	ds_load_b64 v[120:121], v120 offset:136
	s_waitcnt lgkmcnt(0)
	v_mul_f64 v[11:12], v[11:12], v[120:121]
	scratch_store_b64 off, v[11:12], off offset:136
.LBB116_348:
	s_or_b32 exec_lo, exec_lo, s2
	scratch_load_b64 v[11:12], off, off offset:128
	v_cmp_lt_u32_e64 s0, 16, v0
	s_waitcnt vmcnt(0)
	ds_store_b64 v110, v[11:12]
	s_waitcnt lgkmcnt(0)
	s_waitcnt_vscnt null, 0x0
	s_barrier
	buffer_gl0_inv
	s_and_saveexec_b32 s2, s0
	s_cbranch_execz .LBB116_358
; %bb.349:
	s_and_not1_b32 vcc_lo, exec_lo, s3
	s_cbranch_vccnz .LBB116_351
; %bb.350:
	scratch_load_b64 v[11:12], v111, off
	ds_load_b64 v[120:121], v110
	s_waitcnt vmcnt(0) lgkmcnt(0)
	v_mul_f64 v[11:12], v[11:12], v[120:121]
	s_cbranch_execz .LBB116_352
	s_branch .LBB116_353
.LBB116_351:
                                        ; implicit-def: $vgpr11_vgpr12
.LBB116_352:
	ds_load_b64 v[11:12], v110
.LBB116_353:
	s_and_saveexec_b32 s4, s1
	s_cbranch_execz .LBB116_357
; %bb.354:
	v_mov_b32_e32 v120, 0
	v_subrev_nc_u32_e32 v121, 17, v0
	s_movk_i32 s5, 0x238
	s_mov_b32 s1, 0
	s_delay_alu instid0(VALU_DEP_2)
	v_add_nc_u32_e32 v120, 0x88, v120
.LBB116_355:                            ; =>This Inner Loop Header: Depth=1
	scratch_load_b64 v[122:123], v120, off
	v_dual_mov_b32 v124, s5 :: v_dual_add_nc_u32 v121, -1, v121
	v_add_nc_u32_e32 v120, 8, v120
	s_add_i32 s5, s5, 8
	ds_load_b64 v[124:125], v124
	v_cmp_eq_u32_e32 vcc_lo, 0, v121
	s_or_b32 s1, vcc_lo, s1
	s_waitcnt vmcnt(0) lgkmcnt(0)
	v_fma_f64 v[11:12], v[122:123], v[124:125], v[11:12]
	s_and_not1_b32 exec_lo, exec_lo, s1
	s_cbranch_execnz .LBB116_355
; %bb.356:
	s_or_b32 exec_lo, exec_lo, s1
.LBB116_357:
	s_delay_alu instid0(SALU_CYCLE_1)
	s_or_b32 exec_lo, exec_lo, s4
	v_mov_b32_e32 v120, 0
	ds_load_b64 v[120:121], v120 offset:128
	s_waitcnt lgkmcnt(0)
	v_mul_f64 v[11:12], v[11:12], v[120:121]
	scratch_store_b64 off, v[11:12], off offset:128
.LBB116_358:
	s_or_b32 exec_lo, exec_lo, s2
	scratch_load_b64 v[11:12], off, off offset:120
	v_cmp_lt_u32_e64 s1, 15, v0
	s_waitcnt vmcnt(0)
	ds_store_b64 v110, v[11:12]
	s_waitcnt lgkmcnt(0)
	s_waitcnt_vscnt null, 0x0
	s_barrier
	buffer_gl0_inv
	s_and_saveexec_b32 s2, s1
	s_cbranch_execz .LBB116_368
; %bb.359:
	s_and_not1_b32 vcc_lo, exec_lo, s3
	s_cbranch_vccnz .LBB116_361
; %bb.360:
	scratch_load_b64 v[11:12], v111, off
	ds_load_b64 v[120:121], v110
	s_waitcnt vmcnt(0) lgkmcnt(0)
	v_mul_f64 v[11:12], v[11:12], v[120:121]
	s_cbranch_execz .LBB116_362
	s_branch .LBB116_363
.LBB116_361:
                                        ; implicit-def: $vgpr11_vgpr12
.LBB116_362:
	ds_load_b64 v[11:12], v110
.LBB116_363:
	s_and_saveexec_b32 s4, s0
	s_cbranch_execz .LBB116_367
; %bb.364:
	v_add_nc_u32_e32 v120, -16, v0
	s_movk_i32 s5, 0x230
	s_mov_b32 s0, 0
.LBB116_365:                            ; =>This Inner Loop Header: Depth=1
	scratch_load_b64 v[121:122], v119, off
	v_dual_mov_b32 v123, s5 :: v_dual_add_nc_u32 v120, -1, v120
	v_add_nc_u32_e32 v119, 8, v119
	s_add_i32 s5, s5, 8
	ds_load_b64 v[123:124], v123
	v_cmp_eq_u32_e32 vcc_lo, 0, v120
	s_or_b32 s0, vcc_lo, s0
	s_waitcnt vmcnt(0) lgkmcnt(0)
	v_fma_f64 v[11:12], v[121:122], v[123:124], v[11:12]
	s_and_not1_b32 exec_lo, exec_lo, s0
	s_cbranch_execnz .LBB116_365
; %bb.366:
	s_or_b32 exec_lo, exec_lo, s0
.LBB116_367:
	s_delay_alu instid0(SALU_CYCLE_1)
	s_or_b32 exec_lo, exec_lo, s4
	v_mov_b32_e32 v119, 0
	ds_load_b64 v[119:120], v119 offset:120
	s_waitcnt lgkmcnt(0)
	v_mul_f64 v[11:12], v[11:12], v[119:120]
	scratch_store_b64 off, v[11:12], off offset:120
.LBB116_368:
	s_or_b32 exec_lo, exec_lo, s2
	scratch_load_b64 v[11:12], off, off offset:112
	v_cmp_lt_u32_e64 s0, 14, v0
	s_waitcnt vmcnt(0)
	ds_store_b64 v110, v[11:12]
	s_waitcnt lgkmcnt(0)
	s_waitcnt_vscnt null, 0x0
	s_barrier
	buffer_gl0_inv
	s_and_saveexec_b32 s2, s0
	s_cbranch_execz .LBB116_378
; %bb.369:
	s_and_not1_b32 vcc_lo, exec_lo, s3
	s_cbranch_vccnz .LBB116_371
; %bb.370:
	scratch_load_b64 v[11:12], v111, off
	ds_load_b64 v[119:120], v110
	s_waitcnt vmcnt(0) lgkmcnt(0)
	v_mul_f64 v[11:12], v[11:12], v[119:120]
	s_cbranch_execz .LBB116_372
	s_branch .LBB116_373
.LBB116_371:
                                        ; implicit-def: $vgpr11_vgpr12
.LBB116_372:
	ds_load_b64 v[11:12], v110
.LBB116_373:
	s_and_saveexec_b32 s4, s1
	s_cbranch_execz .LBB116_377
; %bb.374:
	v_dual_mov_b32 v119, 0 :: v_dual_add_nc_u32 v120, -15, v0
	s_movk_i32 s5, 0x228
	s_mov_b32 s1, 0
	s_delay_alu instid0(VALU_DEP_1)
	v_add_nc_u32_e32 v119, 0x78, v119
.LBB116_375:                            ; =>This Inner Loop Header: Depth=1
	scratch_load_b64 v[121:122], v119, off
	v_dual_mov_b32 v123, s5 :: v_dual_add_nc_u32 v120, -1, v120
	v_add_nc_u32_e32 v119, 8, v119
	s_add_i32 s5, s5, 8
	ds_load_b64 v[123:124], v123
	v_cmp_eq_u32_e32 vcc_lo, 0, v120
	s_or_b32 s1, vcc_lo, s1
	s_waitcnt vmcnt(0) lgkmcnt(0)
	v_fma_f64 v[11:12], v[121:122], v[123:124], v[11:12]
	s_and_not1_b32 exec_lo, exec_lo, s1
	s_cbranch_execnz .LBB116_375
; %bb.376:
	s_or_b32 exec_lo, exec_lo, s1
.LBB116_377:
	s_delay_alu instid0(SALU_CYCLE_1)
	s_or_b32 exec_lo, exec_lo, s4
	v_mov_b32_e32 v119, 0
	ds_load_b64 v[119:120], v119 offset:112
	s_waitcnt lgkmcnt(0)
	v_mul_f64 v[11:12], v[11:12], v[119:120]
	scratch_store_b64 off, v[11:12], off offset:112
.LBB116_378:
	s_or_b32 exec_lo, exec_lo, s2
	scratch_load_b64 v[11:12], off, off offset:104
	v_cmp_lt_u32_e64 s1, 13, v0
	s_waitcnt vmcnt(0)
	ds_store_b64 v110, v[11:12]
	s_waitcnt lgkmcnt(0)
	s_waitcnt_vscnt null, 0x0
	s_barrier
	buffer_gl0_inv
	s_and_saveexec_b32 s2, s1
	s_cbranch_execz .LBB116_388
; %bb.379:
	s_and_not1_b32 vcc_lo, exec_lo, s3
	s_cbranch_vccnz .LBB116_381
; %bb.380:
	scratch_load_b64 v[11:12], v111, off
	ds_load_b64 v[119:120], v110
	s_waitcnt vmcnt(0) lgkmcnt(0)
	v_mul_f64 v[11:12], v[11:12], v[119:120]
	s_cbranch_execz .LBB116_382
	s_branch .LBB116_383
.LBB116_381:
                                        ; implicit-def: $vgpr11_vgpr12
.LBB116_382:
	ds_load_b64 v[11:12], v110
.LBB116_383:
	s_and_saveexec_b32 s4, s0
	s_cbranch_execz .LBB116_387
; %bb.384:
	v_add_nc_u32_e32 v119, -14, v0
	s_movk_i32 s5, 0x220
	s_mov_b32 s0, 0
.LBB116_385:                            ; =>This Inner Loop Header: Depth=1
	scratch_load_b64 v[120:121], v118, off
	v_dual_mov_b32 v122, s5 :: v_dual_add_nc_u32 v119, -1, v119
	v_add_nc_u32_e32 v118, 8, v118
	s_add_i32 s5, s5, 8
	ds_load_b64 v[122:123], v122
	v_cmp_eq_u32_e32 vcc_lo, 0, v119
	s_or_b32 s0, vcc_lo, s0
	s_waitcnt vmcnt(0) lgkmcnt(0)
	v_fma_f64 v[11:12], v[120:121], v[122:123], v[11:12]
	s_and_not1_b32 exec_lo, exec_lo, s0
	s_cbranch_execnz .LBB116_385
; %bb.386:
	s_or_b32 exec_lo, exec_lo, s0
.LBB116_387:
	s_delay_alu instid0(SALU_CYCLE_1)
	s_or_b32 exec_lo, exec_lo, s4
	v_mov_b32_e32 v118, 0
	ds_load_b64 v[118:119], v118 offset:104
	s_waitcnt lgkmcnt(0)
	v_mul_f64 v[11:12], v[11:12], v[118:119]
	scratch_store_b64 off, v[11:12], off offset:104
.LBB116_388:
	s_or_b32 exec_lo, exec_lo, s2
	scratch_load_b64 v[11:12], off, off offset:96
	v_cmp_lt_u32_e64 s0, 12, v0
	s_waitcnt vmcnt(0)
	ds_store_b64 v110, v[11:12]
	s_waitcnt lgkmcnt(0)
	s_waitcnt_vscnt null, 0x0
	s_barrier
	buffer_gl0_inv
	s_and_saveexec_b32 s2, s0
	s_cbranch_execz .LBB116_398
; %bb.389:
	s_and_not1_b32 vcc_lo, exec_lo, s3
	s_cbranch_vccnz .LBB116_391
; %bb.390:
	scratch_load_b64 v[11:12], v111, off
	ds_load_b64 v[118:119], v110
	s_waitcnt vmcnt(0) lgkmcnt(0)
	v_mul_f64 v[11:12], v[11:12], v[118:119]
	s_cbranch_execz .LBB116_392
	s_branch .LBB116_393
.LBB116_391:
                                        ; implicit-def: $vgpr11_vgpr12
.LBB116_392:
	ds_load_b64 v[11:12], v110
.LBB116_393:
	s_and_saveexec_b32 s4, s1
	s_cbranch_execz .LBB116_397
; %bb.394:
	v_dual_mov_b32 v118, 0 :: v_dual_add_nc_u32 v119, -13, v0
	s_movk_i32 s5, 0x218
	s_mov_b32 s1, 0
	s_delay_alu instid0(VALU_DEP_1)
	v_add_nc_u32_e32 v118, 0x68, v118
.LBB116_395:                            ; =>This Inner Loop Header: Depth=1
	scratch_load_b64 v[120:121], v118, off
	v_dual_mov_b32 v122, s5 :: v_dual_add_nc_u32 v119, -1, v119
	v_add_nc_u32_e32 v118, 8, v118
	s_add_i32 s5, s5, 8
	ds_load_b64 v[122:123], v122
	v_cmp_eq_u32_e32 vcc_lo, 0, v119
	s_or_b32 s1, vcc_lo, s1
	s_waitcnt vmcnt(0) lgkmcnt(0)
	v_fma_f64 v[11:12], v[120:121], v[122:123], v[11:12]
	s_and_not1_b32 exec_lo, exec_lo, s1
	s_cbranch_execnz .LBB116_395
; %bb.396:
	s_or_b32 exec_lo, exec_lo, s1
.LBB116_397:
	s_delay_alu instid0(SALU_CYCLE_1)
	s_or_b32 exec_lo, exec_lo, s4
	v_mov_b32_e32 v118, 0
	ds_load_b64 v[118:119], v118 offset:96
	s_waitcnt lgkmcnt(0)
	v_mul_f64 v[11:12], v[11:12], v[118:119]
	scratch_store_b64 off, v[11:12], off offset:96
.LBB116_398:
	s_or_b32 exec_lo, exec_lo, s2
	scratch_load_b64 v[11:12], off, off offset:88
	v_cmp_lt_u32_e64 s1, 11, v0
	s_waitcnt vmcnt(0)
	ds_store_b64 v110, v[11:12]
	s_waitcnt lgkmcnt(0)
	s_waitcnt_vscnt null, 0x0
	s_barrier
	buffer_gl0_inv
	s_and_saveexec_b32 s2, s1
	s_cbranch_execz .LBB116_408
; %bb.399:
	s_and_not1_b32 vcc_lo, exec_lo, s3
	s_cbranch_vccnz .LBB116_401
; %bb.400:
	scratch_load_b64 v[11:12], v111, off
	ds_load_b64 v[118:119], v110
	s_waitcnt vmcnt(0) lgkmcnt(0)
	v_mul_f64 v[11:12], v[11:12], v[118:119]
	s_cbranch_execz .LBB116_402
	s_branch .LBB116_403
.LBB116_401:
                                        ; implicit-def: $vgpr11_vgpr12
.LBB116_402:
	ds_load_b64 v[11:12], v110
.LBB116_403:
	s_and_saveexec_b32 s4, s0
	s_cbranch_execz .LBB116_407
; %bb.404:
	v_add_nc_u32_e32 v118, -12, v0
	s_movk_i32 s5, 0x210
	s_mov_b32 s0, 0
.LBB116_405:                            ; =>This Inner Loop Header: Depth=1
	scratch_load_b64 v[119:120], v117, off
	v_dual_mov_b32 v121, s5 :: v_dual_add_nc_u32 v118, -1, v118
	v_add_nc_u32_e32 v117, 8, v117
	s_add_i32 s5, s5, 8
	ds_load_b64 v[121:122], v121
	v_cmp_eq_u32_e32 vcc_lo, 0, v118
	s_or_b32 s0, vcc_lo, s0
	s_waitcnt vmcnt(0) lgkmcnt(0)
	v_fma_f64 v[11:12], v[119:120], v[121:122], v[11:12]
	s_and_not1_b32 exec_lo, exec_lo, s0
	s_cbranch_execnz .LBB116_405
; %bb.406:
	s_or_b32 exec_lo, exec_lo, s0
.LBB116_407:
	s_delay_alu instid0(SALU_CYCLE_1)
	s_or_b32 exec_lo, exec_lo, s4
	v_mov_b32_e32 v117, 0
	ds_load_b64 v[117:118], v117 offset:88
	s_waitcnt lgkmcnt(0)
	v_mul_f64 v[11:12], v[11:12], v[117:118]
	scratch_store_b64 off, v[11:12], off offset:88
.LBB116_408:
	s_or_b32 exec_lo, exec_lo, s2
	scratch_load_b64 v[11:12], off, off offset:80
	v_cmp_lt_u32_e64 s0, 10, v0
	s_waitcnt vmcnt(0)
	ds_store_b64 v110, v[11:12]
	s_waitcnt lgkmcnt(0)
	s_waitcnt_vscnt null, 0x0
	s_barrier
	buffer_gl0_inv
	s_and_saveexec_b32 s2, s0
	s_cbranch_execz .LBB116_418
; %bb.409:
	s_and_not1_b32 vcc_lo, exec_lo, s3
	s_cbranch_vccnz .LBB116_411
; %bb.410:
	scratch_load_b64 v[11:12], v111, off
	ds_load_b64 v[117:118], v110
	s_waitcnt vmcnt(0) lgkmcnt(0)
	v_mul_f64 v[11:12], v[11:12], v[117:118]
	s_cbranch_execz .LBB116_412
	s_branch .LBB116_413
.LBB116_411:
                                        ; implicit-def: $vgpr11_vgpr12
.LBB116_412:
	ds_load_b64 v[11:12], v110
.LBB116_413:
	s_and_saveexec_b32 s4, s1
	s_cbranch_execz .LBB116_417
; %bb.414:
	v_dual_mov_b32 v117, 0 :: v_dual_add_nc_u32 v118, -11, v0
	s_movk_i32 s5, 0x208
	s_mov_b32 s1, 0
	s_delay_alu instid0(VALU_DEP_1)
	v_add_nc_u32_e32 v117, 0x58, v117
.LBB116_415:                            ; =>This Inner Loop Header: Depth=1
	scratch_load_b64 v[119:120], v117, off
	v_dual_mov_b32 v121, s5 :: v_dual_add_nc_u32 v118, -1, v118
	v_add_nc_u32_e32 v117, 8, v117
	s_add_i32 s5, s5, 8
	ds_load_b64 v[121:122], v121
	v_cmp_eq_u32_e32 vcc_lo, 0, v118
	s_or_b32 s1, vcc_lo, s1
	s_waitcnt vmcnt(0) lgkmcnt(0)
	v_fma_f64 v[11:12], v[119:120], v[121:122], v[11:12]
	s_and_not1_b32 exec_lo, exec_lo, s1
	s_cbranch_execnz .LBB116_415
; %bb.416:
	s_or_b32 exec_lo, exec_lo, s1
.LBB116_417:
	s_delay_alu instid0(SALU_CYCLE_1)
	s_or_b32 exec_lo, exec_lo, s4
	v_mov_b32_e32 v117, 0
	ds_load_b64 v[117:118], v117 offset:80
	s_waitcnt lgkmcnt(0)
	v_mul_f64 v[11:12], v[11:12], v[117:118]
	scratch_store_b64 off, v[11:12], off offset:80
.LBB116_418:
	s_or_b32 exec_lo, exec_lo, s2
	scratch_load_b64 v[11:12], off, off offset:72
	v_cmp_lt_u32_e64 s1, 9, v0
	s_waitcnt vmcnt(0)
	ds_store_b64 v110, v[11:12]
	s_waitcnt lgkmcnt(0)
	s_waitcnt_vscnt null, 0x0
	s_barrier
	buffer_gl0_inv
	s_and_saveexec_b32 s2, s1
	s_cbranch_execz .LBB116_428
; %bb.419:
	s_and_not1_b32 vcc_lo, exec_lo, s3
	s_cbranch_vccnz .LBB116_421
; %bb.420:
	scratch_load_b64 v[11:12], v111, off
	ds_load_b64 v[117:118], v110
	s_waitcnt vmcnt(0) lgkmcnt(0)
	v_mul_f64 v[11:12], v[11:12], v[117:118]
	s_cbranch_execz .LBB116_422
	s_branch .LBB116_423
.LBB116_421:
                                        ; implicit-def: $vgpr11_vgpr12
.LBB116_422:
	ds_load_b64 v[11:12], v110
.LBB116_423:
	s_and_saveexec_b32 s4, s0
	s_cbranch_execz .LBB116_427
; %bb.424:
	v_add_nc_u32_e32 v117, -10, v0
	s_movk_i32 s5, 0x200
	s_mov_b32 s0, 0
.LBB116_425:                            ; =>This Inner Loop Header: Depth=1
	scratch_load_b64 v[118:119], v116, off
	v_dual_mov_b32 v120, s5 :: v_dual_add_nc_u32 v117, -1, v117
	v_add_nc_u32_e32 v116, 8, v116
	s_add_i32 s5, s5, 8
	ds_load_b64 v[120:121], v120
	v_cmp_eq_u32_e32 vcc_lo, 0, v117
	s_or_b32 s0, vcc_lo, s0
	s_waitcnt vmcnt(0) lgkmcnt(0)
	v_fma_f64 v[11:12], v[118:119], v[120:121], v[11:12]
	s_and_not1_b32 exec_lo, exec_lo, s0
	s_cbranch_execnz .LBB116_425
; %bb.426:
	s_or_b32 exec_lo, exec_lo, s0
.LBB116_427:
	s_delay_alu instid0(SALU_CYCLE_1)
	s_or_b32 exec_lo, exec_lo, s4
	v_mov_b32_e32 v116, 0
	ds_load_b64 v[116:117], v116 offset:72
	s_waitcnt lgkmcnt(0)
	v_mul_f64 v[11:12], v[11:12], v[116:117]
	scratch_store_b64 off, v[11:12], off offset:72
.LBB116_428:
	s_or_b32 exec_lo, exec_lo, s2
	scratch_load_b64 v[11:12], off, off offset:64
	v_cmp_lt_u32_e64 s0, 8, v0
	s_waitcnt vmcnt(0)
	ds_store_b64 v110, v[11:12]
	s_waitcnt lgkmcnt(0)
	s_waitcnt_vscnt null, 0x0
	s_barrier
	buffer_gl0_inv
	s_and_saveexec_b32 s2, s0
	s_cbranch_execz .LBB116_438
; %bb.429:
	s_and_not1_b32 vcc_lo, exec_lo, s3
	s_cbranch_vccnz .LBB116_431
; %bb.430:
	scratch_load_b64 v[11:12], v111, off
	ds_load_b64 v[116:117], v110
	s_waitcnt vmcnt(0) lgkmcnt(0)
	v_mul_f64 v[11:12], v[11:12], v[116:117]
	s_cbranch_execz .LBB116_432
	s_branch .LBB116_433
.LBB116_431:
                                        ; implicit-def: $vgpr11_vgpr12
.LBB116_432:
	ds_load_b64 v[11:12], v110
.LBB116_433:
	s_and_saveexec_b32 s4, s1
	s_cbranch_execz .LBB116_437
; %bb.434:
	v_dual_mov_b32 v116, 0 :: v_dual_add_nc_u32 v117, -9, v0
	s_movk_i32 s5, 0x1f8
	s_mov_b32 s1, 0
	s_delay_alu instid0(VALU_DEP_1)
	v_add_nc_u32_e32 v116, 0x48, v116
.LBB116_435:                            ; =>This Inner Loop Header: Depth=1
	scratch_load_b64 v[118:119], v116, off
	v_dual_mov_b32 v120, s5 :: v_dual_add_nc_u32 v117, -1, v117
	v_add_nc_u32_e32 v116, 8, v116
	s_add_i32 s5, s5, 8
	ds_load_b64 v[120:121], v120
	v_cmp_eq_u32_e32 vcc_lo, 0, v117
	s_or_b32 s1, vcc_lo, s1
	s_waitcnt vmcnt(0) lgkmcnt(0)
	v_fma_f64 v[11:12], v[118:119], v[120:121], v[11:12]
	s_and_not1_b32 exec_lo, exec_lo, s1
	s_cbranch_execnz .LBB116_435
; %bb.436:
	s_or_b32 exec_lo, exec_lo, s1
.LBB116_437:
	s_delay_alu instid0(SALU_CYCLE_1)
	s_or_b32 exec_lo, exec_lo, s4
	v_mov_b32_e32 v116, 0
	ds_load_b64 v[116:117], v116 offset:64
	s_waitcnt lgkmcnt(0)
	v_mul_f64 v[11:12], v[11:12], v[116:117]
	scratch_store_b64 off, v[11:12], off offset:64
.LBB116_438:
	s_or_b32 exec_lo, exec_lo, s2
	scratch_load_b64 v[11:12], off, off offset:56
	v_cmp_lt_u32_e64 s1, 7, v0
	s_waitcnt vmcnt(0)
	ds_store_b64 v110, v[11:12]
	s_waitcnt lgkmcnt(0)
	s_waitcnt_vscnt null, 0x0
	s_barrier
	buffer_gl0_inv
	s_and_saveexec_b32 s2, s1
	s_cbranch_execz .LBB116_448
; %bb.439:
	s_and_not1_b32 vcc_lo, exec_lo, s3
	s_cbranch_vccnz .LBB116_441
; %bb.440:
	scratch_load_b64 v[11:12], v111, off
	ds_load_b64 v[116:117], v110
	s_waitcnt vmcnt(0) lgkmcnt(0)
	v_mul_f64 v[11:12], v[11:12], v[116:117]
	s_cbranch_execz .LBB116_442
	s_branch .LBB116_443
.LBB116_441:
                                        ; implicit-def: $vgpr11_vgpr12
.LBB116_442:
	ds_load_b64 v[11:12], v110
.LBB116_443:
	s_and_saveexec_b32 s4, s0
	s_cbranch_execz .LBB116_447
; %bb.444:
	v_add_nc_u32_e32 v116, -8, v0
	s_movk_i32 s5, 0x1f0
	s_mov_b32 s0, 0
.LBB116_445:                            ; =>This Inner Loop Header: Depth=1
	scratch_load_b64 v[117:118], v115, off
	v_dual_mov_b32 v119, s5 :: v_dual_add_nc_u32 v116, -1, v116
	v_add_nc_u32_e32 v115, 8, v115
	s_add_i32 s5, s5, 8
	ds_load_b64 v[119:120], v119
	v_cmp_eq_u32_e32 vcc_lo, 0, v116
	s_or_b32 s0, vcc_lo, s0
	s_waitcnt vmcnt(0) lgkmcnt(0)
	v_fma_f64 v[11:12], v[117:118], v[119:120], v[11:12]
	s_and_not1_b32 exec_lo, exec_lo, s0
	s_cbranch_execnz .LBB116_445
; %bb.446:
	s_or_b32 exec_lo, exec_lo, s0
.LBB116_447:
	s_delay_alu instid0(SALU_CYCLE_1)
	s_or_b32 exec_lo, exec_lo, s4
	v_mov_b32_e32 v115, 0
	ds_load_b64 v[115:116], v115 offset:56
	s_waitcnt lgkmcnt(0)
	v_mul_f64 v[11:12], v[11:12], v[115:116]
	scratch_store_b64 off, v[11:12], off offset:56
.LBB116_448:
	s_or_b32 exec_lo, exec_lo, s2
	scratch_load_b64 v[11:12], off, off offset:48
	v_cmp_lt_u32_e64 s0, 6, v0
	s_waitcnt vmcnt(0)
	ds_store_b64 v110, v[11:12]
	s_waitcnt lgkmcnt(0)
	s_waitcnt_vscnt null, 0x0
	s_barrier
	buffer_gl0_inv
	s_and_saveexec_b32 s2, s0
	s_cbranch_execz .LBB116_458
; %bb.449:
	s_and_not1_b32 vcc_lo, exec_lo, s3
	s_cbranch_vccnz .LBB116_451
; %bb.450:
	scratch_load_b64 v[11:12], v111, off
	ds_load_b64 v[115:116], v110
	s_waitcnt vmcnt(0) lgkmcnt(0)
	v_mul_f64 v[11:12], v[11:12], v[115:116]
	s_cbranch_execz .LBB116_452
	s_branch .LBB116_453
.LBB116_451:
                                        ; implicit-def: $vgpr11_vgpr12
.LBB116_452:
	ds_load_b64 v[11:12], v110
.LBB116_453:
	s_and_saveexec_b32 s4, s1
	s_cbranch_execz .LBB116_457
; %bb.454:
	v_add_nc_u32_e64 v115, 0, 56
	v_add_nc_u32_e32 v116, -7, v0
	s_movk_i32 s5, 0x1e8
	s_mov_b32 s1, 0
.LBB116_455:                            ; =>This Inner Loop Header: Depth=1
	scratch_load_b64 v[117:118], v115, off
	v_dual_mov_b32 v119, s5 :: v_dual_add_nc_u32 v116, -1, v116
	v_add_nc_u32_e32 v115, 8, v115
	s_add_i32 s5, s5, 8
	ds_load_b64 v[119:120], v119
	v_cmp_eq_u32_e32 vcc_lo, 0, v116
	s_or_b32 s1, vcc_lo, s1
	s_waitcnt vmcnt(0) lgkmcnt(0)
	v_fma_f64 v[11:12], v[117:118], v[119:120], v[11:12]
	s_and_not1_b32 exec_lo, exec_lo, s1
	s_cbranch_execnz .LBB116_455
; %bb.456:
	s_or_b32 exec_lo, exec_lo, s1
.LBB116_457:
	s_delay_alu instid0(SALU_CYCLE_1)
	s_or_b32 exec_lo, exec_lo, s4
	v_mov_b32_e32 v115, 0
	ds_load_b64 v[115:116], v115 offset:48
	s_waitcnt lgkmcnt(0)
	v_mul_f64 v[11:12], v[11:12], v[115:116]
	scratch_store_b64 off, v[11:12], off offset:48
.LBB116_458:
	s_or_b32 exec_lo, exec_lo, s2
	scratch_load_b64 v[11:12], off, off offset:40
	v_cmp_lt_u32_e64 s1, 5, v0
	s_waitcnt vmcnt(0)
	ds_store_b64 v110, v[11:12]
	s_waitcnt lgkmcnt(0)
	s_waitcnt_vscnt null, 0x0
	s_barrier
	buffer_gl0_inv
	s_and_saveexec_b32 s2, s1
	s_cbranch_execz .LBB116_468
; %bb.459:
	s_and_not1_b32 vcc_lo, exec_lo, s3
	s_cbranch_vccnz .LBB116_461
; %bb.460:
	scratch_load_b64 v[11:12], v111, off
	ds_load_b64 v[115:116], v110
	s_waitcnt vmcnt(0) lgkmcnt(0)
	v_mul_f64 v[11:12], v[11:12], v[115:116]
	s_cbranch_execz .LBB116_462
	s_branch .LBB116_463
.LBB116_461:
                                        ; implicit-def: $vgpr11_vgpr12
.LBB116_462:
	ds_load_b64 v[11:12], v110
.LBB116_463:
	s_and_saveexec_b32 s4, s0
	s_cbranch_execz .LBB116_467
; %bb.464:
	v_add_nc_u32_e32 v115, -6, v0
	s_movk_i32 s5, 0x1e0
	s_mov_b32 s0, 0
.LBB116_465:                            ; =>This Inner Loop Header: Depth=1
	scratch_load_b64 v[116:117], v114, off
	v_dual_mov_b32 v118, s5 :: v_dual_add_nc_u32 v115, -1, v115
	v_add_nc_u32_e32 v114, 8, v114
	s_add_i32 s5, s5, 8
	ds_load_b64 v[118:119], v118
	v_cmp_eq_u32_e32 vcc_lo, 0, v115
	s_or_b32 s0, vcc_lo, s0
	s_waitcnt vmcnt(0) lgkmcnt(0)
	v_fma_f64 v[11:12], v[116:117], v[118:119], v[11:12]
	s_and_not1_b32 exec_lo, exec_lo, s0
	s_cbranch_execnz .LBB116_465
; %bb.466:
	s_or_b32 exec_lo, exec_lo, s0
.LBB116_467:
	s_delay_alu instid0(SALU_CYCLE_1)
	s_or_b32 exec_lo, exec_lo, s4
	v_mov_b32_e32 v114, 0
	ds_load_b64 v[114:115], v114 offset:40
	s_waitcnt lgkmcnt(0)
	v_mul_f64 v[11:12], v[11:12], v[114:115]
	scratch_store_b64 off, v[11:12], off offset:40
.LBB116_468:
	s_or_b32 exec_lo, exec_lo, s2
	scratch_load_b64 v[11:12], off, off offset:32
	v_cmp_lt_u32_e64 s0, 4, v0
	s_waitcnt vmcnt(0)
	ds_store_b64 v110, v[11:12]
	s_waitcnt lgkmcnt(0)
	s_waitcnt_vscnt null, 0x0
	s_barrier
	buffer_gl0_inv
	s_and_saveexec_b32 s2, s0
	s_cbranch_execz .LBB116_478
; %bb.469:
	s_and_not1_b32 vcc_lo, exec_lo, s3
	s_cbranch_vccnz .LBB116_471
; %bb.470:
	scratch_load_b64 v[11:12], v111, off
	ds_load_b64 v[114:115], v110
	s_waitcnt vmcnt(0) lgkmcnt(0)
	v_mul_f64 v[11:12], v[11:12], v[114:115]
	s_cbranch_execz .LBB116_472
	s_branch .LBB116_473
.LBB116_471:
                                        ; implicit-def: $vgpr11_vgpr12
.LBB116_472:
	ds_load_b64 v[11:12], v110
.LBB116_473:
	s_and_saveexec_b32 s4, s1
	s_cbranch_execz .LBB116_477
; %bb.474:
	v_add_nc_u32_e64 v114, 0, 40
	v_add_nc_u32_e32 v115, -5, v0
	s_movk_i32 s5, 0x1d8
	s_mov_b32 s1, 0
.LBB116_475:                            ; =>This Inner Loop Header: Depth=1
	scratch_load_b64 v[116:117], v114, off
	v_dual_mov_b32 v118, s5 :: v_dual_add_nc_u32 v115, -1, v115
	v_add_nc_u32_e32 v114, 8, v114
	s_add_i32 s5, s5, 8
	ds_load_b64 v[118:119], v118
	v_cmp_eq_u32_e32 vcc_lo, 0, v115
	s_or_b32 s1, vcc_lo, s1
	s_waitcnt vmcnt(0) lgkmcnt(0)
	v_fma_f64 v[11:12], v[116:117], v[118:119], v[11:12]
	s_and_not1_b32 exec_lo, exec_lo, s1
	s_cbranch_execnz .LBB116_475
; %bb.476:
	s_or_b32 exec_lo, exec_lo, s1
.LBB116_477:
	s_delay_alu instid0(SALU_CYCLE_1)
	s_or_b32 exec_lo, exec_lo, s4
	v_mov_b32_e32 v114, 0
	ds_load_b64 v[114:115], v114 offset:32
	s_waitcnt lgkmcnt(0)
	v_mul_f64 v[11:12], v[11:12], v[114:115]
	scratch_store_b64 off, v[11:12], off offset:32
.LBB116_478:
	s_or_b32 exec_lo, exec_lo, s2
	scratch_load_b64 v[11:12], off, off offset:24
	v_cmp_lt_u32_e64 s1, 3, v0
	s_waitcnt vmcnt(0)
	ds_store_b64 v110, v[11:12]
	s_waitcnt lgkmcnt(0)
	s_waitcnt_vscnt null, 0x0
	s_barrier
	buffer_gl0_inv
	s_and_saveexec_b32 s2, s1
	s_cbranch_execz .LBB116_488
; %bb.479:
	s_and_not1_b32 vcc_lo, exec_lo, s3
	s_cbranch_vccnz .LBB116_481
; %bb.480:
	scratch_load_b64 v[11:12], v111, off
	ds_load_b64 v[114:115], v110
	s_waitcnt vmcnt(0) lgkmcnt(0)
	v_mul_f64 v[11:12], v[11:12], v[114:115]
	s_cbranch_execz .LBB116_482
	s_branch .LBB116_483
.LBB116_481:
                                        ; implicit-def: $vgpr11_vgpr12
.LBB116_482:
	ds_load_b64 v[11:12], v110
.LBB116_483:
	s_and_saveexec_b32 s4, s0
	s_cbranch_execz .LBB116_487
; %bb.484:
	v_add_nc_u32_e32 v114, -4, v0
	s_movk_i32 s5, 0x1d0
	s_mov_b32 s0, 0
.LBB116_485:                            ; =>This Inner Loop Header: Depth=1
	scratch_load_b64 v[115:116], v113, off
	v_dual_mov_b32 v117, s5 :: v_dual_add_nc_u32 v114, -1, v114
	v_add_nc_u32_e32 v113, 8, v113
	s_add_i32 s5, s5, 8
	ds_load_b64 v[117:118], v117
	v_cmp_eq_u32_e32 vcc_lo, 0, v114
	s_or_b32 s0, vcc_lo, s0
	s_waitcnt vmcnt(0) lgkmcnt(0)
	v_fma_f64 v[11:12], v[115:116], v[117:118], v[11:12]
	s_and_not1_b32 exec_lo, exec_lo, s0
	s_cbranch_execnz .LBB116_485
; %bb.486:
	s_or_b32 exec_lo, exec_lo, s0
.LBB116_487:
	s_delay_alu instid0(SALU_CYCLE_1)
	s_or_b32 exec_lo, exec_lo, s4
	v_mov_b32_e32 v113, 0
	ds_load_b64 v[113:114], v113 offset:24
	s_waitcnt lgkmcnt(0)
	v_mul_f64 v[11:12], v[11:12], v[113:114]
	scratch_store_b64 off, v[11:12], off offset:24
.LBB116_488:
	s_or_b32 exec_lo, exec_lo, s2
	scratch_load_b64 v[11:12], off, off offset:16
	v_cmp_lt_u32_e64 s0, 2, v0
	s_waitcnt vmcnt(0)
	ds_store_b64 v110, v[11:12]
	s_waitcnt lgkmcnt(0)
	s_waitcnt_vscnt null, 0x0
	s_barrier
	buffer_gl0_inv
	s_and_saveexec_b32 s2, s0
	s_cbranch_execz .LBB116_498
; %bb.489:
	s_and_not1_b32 vcc_lo, exec_lo, s3
	s_cbranch_vccnz .LBB116_491
; %bb.490:
	scratch_load_b64 v[11:12], v111, off
	ds_load_b64 v[113:114], v110
	s_waitcnt vmcnt(0) lgkmcnt(0)
	v_mul_f64 v[11:12], v[11:12], v[113:114]
	s_cbranch_execz .LBB116_492
	s_branch .LBB116_493
.LBB116_491:
                                        ; implicit-def: $vgpr11_vgpr12
.LBB116_492:
	ds_load_b64 v[11:12], v110
.LBB116_493:
	s_and_saveexec_b32 s4, s1
	s_cbranch_execz .LBB116_497
; %bb.494:
	v_add_nc_u32_e64 v113, 0, 24
	v_add_nc_u32_e32 v114, -3, v0
	s_movk_i32 s5, 0x1c8
	s_mov_b32 s1, 0
.LBB116_495:                            ; =>This Inner Loop Header: Depth=1
	scratch_load_b64 v[115:116], v113, off
	v_dual_mov_b32 v117, s5 :: v_dual_add_nc_u32 v114, -1, v114
	v_add_nc_u32_e32 v113, 8, v113
	s_add_i32 s5, s5, 8
	ds_load_b64 v[117:118], v117
	v_cmp_eq_u32_e32 vcc_lo, 0, v114
	s_or_b32 s1, vcc_lo, s1
	s_waitcnt vmcnt(0) lgkmcnt(0)
	v_fma_f64 v[11:12], v[115:116], v[117:118], v[11:12]
	s_and_not1_b32 exec_lo, exec_lo, s1
	s_cbranch_execnz .LBB116_495
; %bb.496:
	s_or_b32 exec_lo, exec_lo, s1
.LBB116_497:
	s_delay_alu instid0(SALU_CYCLE_1)
	s_or_b32 exec_lo, exec_lo, s4
	v_mov_b32_e32 v113, 0
	ds_load_b64 v[113:114], v113 offset:16
	s_waitcnt lgkmcnt(0)
	v_mul_f64 v[11:12], v[11:12], v[113:114]
	scratch_store_b64 off, v[11:12], off offset:16
.LBB116_498:
	s_or_b32 exec_lo, exec_lo, s2
	scratch_load_b64 v[11:12], off, off offset:8
	v_cmp_lt_u32_e64 s1, 1, v0
	s_waitcnt vmcnt(0)
	ds_store_b64 v110, v[11:12]
	s_waitcnt lgkmcnt(0)
	s_waitcnt_vscnt null, 0x0
	s_barrier
	buffer_gl0_inv
	s_and_saveexec_b32 s2, s1
	s_cbranch_execz .LBB116_508
; %bb.499:
	s_and_not1_b32 vcc_lo, exec_lo, s3
	s_cbranch_vccnz .LBB116_501
; %bb.500:
	scratch_load_b64 v[11:12], v111, off
	ds_load_b64 v[113:114], v110
	s_waitcnt vmcnt(0) lgkmcnt(0)
	v_mul_f64 v[11:12], v[11:12], v[113:114]
	s_cbranch_execz .LBB116_502
	s_branch .LBB116_503
.LBB116_501:
                                        ; implicit-def: $vgpr11_vgpr12
.LBB116_502:
	ds_load_b64 v[11:12], v110
.LBB116_503:
	s_and_saveexec_b32 s4, s0
	s_cbranch_execz .LBB116_507
; %bb.504:
	v_add_nc_u32_e32 v113, -2, v0
	s_movk_i32 s5, 0x1c0
	s_mov_b32 s0, 0
.LBB116_505:                            ; =>This Inner Loop Header: Depth=1
	scratch_load_b64 v[114:115], v112, off
	v_dual_mov_b32 v116, s5 :: v_dual_add_nc_u32 v113, -1, v113
	v_add_nc_u32_e32 v112, 8, v112
	s_add_i32 s5, s5, 8
	ds_load_b64 v[116:117], v116
	v_cmp_eq_u32_e32 vcc_lo, 0, v113
	s_or_b32 s0, vcc_lo, s0
	s_waitcnt vmcnt(0) lgkmcnt(0)
	v_fma_f64 v[11:12], v[114:115], v[116:117], v[11:12]
	s_and_not1_b32 exec_lo, exec_lo, s0
	s_cbranch_execnz .LBB116_505
; %bb.506:
	s_or_b32 exec_lo, exec_lo, s0
.LBB116_507:
	s_delay_alu instid0(SALU_CYCLE_1)
	s_or_b32 exec_lo, exec_lo, s4
	v_mov_b32_e32 v112, 0
	ds_load_b64 v[112:113], v112 offset:8
	s_waitcnt lgkmcnt(0)
	v_mul_f64 v[11:12], v[11:12], v[112:113]
	scratch_store_b64 off, v[11:12], off offset:8
.LBB116_508:
	s_or_b32 exec_lo, exec_lo, s2
	scratch_load_b64 v[11:12], off, off
	s_mov_b32 s0, 0
	s_mov_b32 s2, exec_lo
	s_waitcnt vmcnt(0)
	ds_store_b64 v110, v[11:12]
	s_waitcnt lgkmcnt(0)
	s_waitcnt_vscnt null, 0x0
	s_barrier
	buffer_gl0_inv
	v_cmpx_ne_u32_e32 0, v0
	s_cbranch_execz .LBB116_518
; %bb.509:
	s_and_not1_b32 vcc_lo, exec_lo, s3
	s_cbranch_vccnz .LBB116_511
; %bb.510:
	scratch_load_b64 v[11:12], v111, off
	ds_load_b64 v[112:113], v110
	s_waitcnt vmcnt(0) lgkmcnt(0)
	v_mul_f64 v[11:12], v[11:12], v[112:113]
	s_cbranch_execz .LBB116_512
	s_branch .LBB116_513
.LBB116_511:
                                        ; implicit-def: $vgpr11_vgpr12
.LBB116_512:
	ds_load_b64 v[11:12], v110
.LBB116_513:
	s_and_saveexec_b32 s4, s1
	s_cbranch_execz .LBB116_517
; %bb.514:
	v_or_b32_e64 v112, 0, 8
	v_add_nc_u32_e32 v113, -1, v0
	s_movk_i32 s5, 0x1b8
	s_mov_b32 s1, 0
.LBB116_515:                            ; =>This Inner Loop Header: Depth=1
	scratch_load_b64 v[114:115], v112, off
	v_dual_mov_b32 v116, s5 :: v_dual_add_nc_u32 v113, -1, v113
	v_add_nc_u32_e32 v112, 8, v112
	s_add_i32 s5, s5, 8
	ds_load_b64 v[116:117], v116
	v_cmp_eq_u32_e32 vcc_lo, 0, v113
	s_or_b32 s1, vcc_lo, s1
	s_waitcnt vmcnt(0) lgkmcnt(0)
	v_fma_f64 v[11:12], v[114:115], v[116:117], v[11:12]
	s_and_not1_b32 exec_lo, exec_lo, s1
	s_cbranch_execnz .LBB116_515
; %bb.516:
	s_or_b32 exec_lo, exec_lo, s1
.LBB116_517:
	s_delay_alu instid0(SALU_CYCLE_1)
	s_or_b32 exec_lo, exec_lo, s4
	v_mov_b32_e32 v112, 0
	ds_load_b64 v[112:113], v112
	s_waitcnt lgkmcnt(0)
	v_mul_f64 v[11:12], v[11:12], v[112:113]
	scratch_store_b64 off, v[11:12], off
.LBB116_518:
	s_or_b32 exec_lo, exec_lo, s2
.LBB116_519:
	s_delay_alu instid0(SALU_CYCLE_1)
	s_and_b32 vcc_lo, exec_lo, s0
	s_cbranch_vccz .LBB116_1035
; %bb.520:
	scratch_load_b64 v[11:12], off, off offset:8
	v_cmp_eq_u32_e64 s0, 0, v0
	s_waitcnt vmcnt(0)
	ds_store_b64 v110, v[11:12]
	s_waitcnt lgkmcnt(0)
	s_waitcnt_vscnt null, 0x0
	s_barrier
	buffer_gl0_inv
	s_and_saveexec_b32 s1, s0
	s_cbranch_execz .LBB116_526
; %bb.521:
	s_and_b32 vcc_lo, exec_lo, s3
	s_cbranch_vccz .LBB116_523
; %bb.522:
	scratch_load_b64 v[11:12], v111, off
	ds_load_b64 v[112:113], v110
	s_waitcnt vmcnt(0) lgkmcnt(0)
	v_mul_f64 v[11:12], v[11:12], v[112:113]
	s_cbranch_execz .LBB116_524
	s_branch .LBB116_525
.LBB116_523:
                                        ; implicit-def: $vgpr11_vgpr12
.LBB116_524:
	ds_load_b64 v[11:12], v110
.LBB116_525:
	v_mov_b32_e32 v112, 0
	ds_load_b64 v[112:113], v112 offset:8
	s_waitcnt lgkmcnt(0)
	v_mul_f64 v[11:12], v[11:12], v[112:113]
	scratch_store_b64 off, v[11:12], off offset:8
.LBB116_526:
	s_or_b32 exec_lo, exec_lo, s1
	scratch_load_b64 v[11:12], off, off offset:16
	v_cndmask_b32_e64 v112, 0, 1, s3
	s_mov_b32 s1, exec_lo
	s_waitcnt vmcnt(0)
	ds_store_b64 v110, v[11:12]
	s_waitcnt lgkmcnt(0)
	s_waitcnt_vscnt null, 0x0
	s_barrier
	buffer_gl0_inv
	v_cmpx_gt_u32_e32 2, v0
	s_cbranch_execz .LBB116_534
; %bb.527:
	s_and_not1_b32 vcc_lo, exec_lo, s3
	s_cbranch_vccnz .LBB116_529
; %bb.528:
	scratch_load_b64 v[11:12], v111, off
	ds_load_b64 v[113:114], v110
	s_waitcnt vmcnt(0) lgkmcnt(0)
	v_mul_f64 v[11:12], v[11:12], v[113:114]
	s_cbranch_execz .LBB116_530
	s_branch .LBB116_531
.LBB116_529:
                                        ; implicit-def: $vgpr11_vgpr12
.LBB116_530:
	ds_load_b64 v[11:12], v110
.LBB116_531:
	s_and_saveexec_b32 s2, s0
	s_cbranch_execz .LBB116_533
; %bb.532:
	scratch_load_b64 v[113:114], v111, off offset:8
	ds_load_b64 v[115:116], v110 offset:8
	s_waitcnt vmcnt(0) lgkmcnt(0)
	v_fma_f64 v[11:12], v[113:114], v[115:116], v[11:12]
.LBB116_533:
	s_or_b32 exec_lo, exec_lo, s2
	v_mov_b32_e32 v113, 0
	ds_load_b64 v[113:114], v113 offset:16
	s_waitcnt lgkmcnt(0)
	v_mul_f64 v[11:12], v[11:12], v[113:114]
	scratch_store_b64 off, v[11:12], off offset:16
.LBB116_534:
	s_or_b32 exec_lo, exec_lo, s1
	scratch_load_b64 v[11:12], off, off offset:24
	s_mov_b32 s1, exec_lo
	s_waitcnt vmcnt(0)
	ds_store_b64 v110, v[11:12]
	s_waitcnt lgkmcnt(0)
	s_waitcnt_vscnt null, 0x0
	s_barrier
	buffer_gl0_inv
	v_cmpx_gt_u32_e32 3, v0
	s_cbranch_execz .LBB116_544
; %bb.535:
	v_cmp_ne_u32_e32 vcc_lo, 1, v112
	s_cbranch_vccnz .LBB116_537
; %bb.536:
	scratch_load_b64 v[11:12], v111, off
	ds_load_b64 v[113:114], v110
	s_waitcnt vmcnt(0) lgkmcnt(0)
	v_mul_f64 v[11:12], v[11:12], v[113:114]
	s_cbranch_execz .LBB116_538
	s_branch .LBB116_539
.LBB116_537:
                                        ; implicit-def: $vgpr11_vgpr12
.LBB116_538:
	ds_load_b64 v[11:12], v110
.LBB116_539:
	s_mov_b32 s2, exec_lo
	v_cmpx_ne_u32_e32 2, v0
	s_cbranch_execz .LBB116_543
; %bb.540:
	scratch_load_b64 v[113:114], v111, off offset:8
	ds_load_b64 v[115:116], v110 offset:8
	s_waitcnt vmcnt(0) lgkmcnt(0)
	v_fma_f64 v[11:12], v[113:114], v[115:116], v[11:12]
	s_and_saveexec_b32 s3, s0
	s_cbranch_execz .LBB116_542
; %bb.541:
	scratch_load_b64 v[113:114], off, off offset:16
	v_mov_b32_e32 v115, 0
	ds_load_b64 v[115:116], v115 offset:448
	s_waitcnt vmcnt(0) lgkmcnt(0)
	v_fma_f64 v[11:12], v[113:114], v[115:116], v[11:12]
.LBB116_542:
	s_or_b32 exec_lo, exec_lo, s3
.LBB116_543:
	s_delay_alu instid0(SALU_CYCLE_1)
	s_or_b32 exec_lo, exec_lo, s2
	v_mov_b32_e32 v113, 0
	ds_load_b64 v[113:114], v113 offset:24
	s_waitcnt lgkmcnt(0)
	v_mul_f64 v[11:12], v[11:12], v[113:114]
	scratch_store_b64 off, v[11:12], off offset:24
.LBB116_544:
	s_or_b32 exec_lo, exec_lo, s1
	scratch_load_b64 v[11:12], off, off offset:32
	s_mov_b32 s0, exec_lo
	s_waitcnt vmcnt(0)
	ds_store_b64 v110, v[11:12]
	s_waitcnt lgkmcnt(0)
	s_waitcnt_vscnt null, 0x0
	s_barrier
	buffer_gl0_inv
	v_cmpx_gt_u32_e32 4, v0
	s_cbranch_execz .LBB116_554
; %bb.545:
	v_cmp_ne_u32_e32 vcc_lo, 1, v112
	s_cbranch_vccnz .LBB116_547
; %bb.546:
	scratch_load_b64 v[11:12], v111, off
	ds_load_b64 v[113:114], v110
	s_waitcnt vmcnt(0) lgkmcnt(0)
	v_mul_f64 v[11:12], v[11:12], v[113:114]
	s_cbranch_execz .LBB116_548
	s_branch .LBB116_549
.LBB116_547:
                                        ; implicit-def: $vgpr11_vgpr12
.LBB116_548:
	ds_load_b64 v[11:12], v110
.LBB116_549:
	s_mov_b32 s1, exec_lo
	v_cmpx_ne_u32_e32 3, v0
	s_cbranch_execz .LBB116_553
; %bb.550:
	v_add_nc_u32_e32 v113, 0x1b8, v109
	v_add3_u32 v114, 0, v109, 8
	v_mov_b32_e32 v115, v0
	s_mov_b32 s2, 0
.LBB116_551:                            ; =>This Inner Loop Header: Depth=1
	scratch_load_b64 v[116:117], v114, off
	ds_load_b64 v[118:119], v113
	v_add_nc_u32_e32 v115, 1, v115
	v_add_nc_u32_e32 v113, 8, v113
	v_add_nc_u32_e32 v114, 8, v114
	s_delay_alu instid0(VALU_DEP_3)
	v_cmp_lt_u32_e32 vcc_lo, 2, v115
	s_or_b32 s2, vcc_lo, s2
	s_waitcnt vmcnt(0) lgkmcnt(0)
	v_fma_f64 v[11:12], v[116:117], v[118:119], v[11:12]
	s_and_not1_b32 exec_lo, exec_lo, s2
	s_cbranch_execnz .LBB116_551
; %bb.552:
	s_or_b32 exec_lo, exec_lo, s2
.LBB116_553:
	s_delay_alu instid0(SALU_CYCLE_1)
	s_or_b32 exec_lo, exec_lo, s1
	v_mov_b32_e32 v113, 0
	ds_load_b64 v[113:114], v113 offset:32
	s_waitcnt lgkmcnt(0)
	v_mul_f64 v[11:12], v[11:12], v[113:114]
	scratch_store_b64 off, v[11:12], off offset:32
.LBB116_554:
	s_or_b32 exec_lo, exec_lo, s0
	scratch_load_b64 v[11:12], off, off offset:40
	s_mov_b32 s0, exec_lo
	s_waitcnt vmcnt(0)
	ds_store_b64 v110, v[11:12]
	s_waitcnt lgkmcnt(0)
	s_waitcnt_vscnt null, 0x0
	s_barrier
	buffer_gl0_inv
	v_cmpx_gt_u32_e32 5, v0
	s_cbranch_execz .LBB116_564
; %bb.555:
	v_cmp_ne_u32_e32 vcc_lo, 1, v112
	s_cbranch_vccnz .LBB116_557
; %bb.556:
	scratch_load_b64 v[11:12], v111, off
	ds_load_b64 v[113:114], v110
	s_waitcnt vmcnt(0) lgkmcnt(0)
	v_mul_f64 v[11:12], v[11:12], v[113:114]
	s_cbranch_execz .LBB116_558
	s_branch .LBB116_559
.LBB116_557:
                                        ; implicit-def: $vgpr11_vgpr12
.LBB116_558:
	ds_load_b64 v[11:12], v110
.LBB116_559:
	s_mov_b32 s1, exec_lo
	v_cmpx_ne_u32_e32 4, v0
	s_cbranch_execz .LBB116_563
; %bb.560:
	v_add_nc_u32_e32 v113, 0x1b8, v109
	v_add3_u32 v114, 0, v109, 8
	v_mov_b32_e32 v115, v0
	s_mov_b32 s2, 0
.LBB116_561:                            ; =>This Inner Loop Header: Depth=1
	scratch_load_b64 v[116:117], v114, off
	ds_load_b64 v[118:119], v113
	v_add_nc_u32_e32 v115, 1, v115
	v_add_nc_u32_e32 v113, 8, v113
	v_add_nc_u32_e32 v114, 8, v114
	s_delay_alu instid0(VALU_DEP_3)
	v_cmp_lt_u32_e32 vcc_lo, 3, v115
	s_or_b32 s2, vcc_lo, s2
	s_waitcnt vmcnt(0) lgkmcnt(0)
	v_fma_f64 v[11:12], v[116:117], v[118:119], v[11:12]
	s_and_not1_b32 exec_lo, exec_lo, s2
	s_cbranch_execnz .LBB116_561
; %bb.562:
	s_or_b32 exec_lo, exec_lo, s2
.LBB116_563:
	s_delay_alu instid0(SALU_CYCLE_1)
	s_or_b32 exec_lo, exec_lo, s1
	v_mov_b32_e32 v113, 0
	ds_load_b64 v[113:114], v113 offset:40
	s_waitcnt lgkmcnt(0)
	v_mul_f64 v[11:12], v[11:12], v[113:114]
	scratch_store_b64 off, v[11:12], off offset:40
.LBB116_564:
	;; [unrolled: 58-line block ×45, first 2 shown]
	s_or_b32 exec_lo, exec_lo, s0
	scratch_load_b64 v[11:12], off, off offset:392
	s_mov_b32 s0, exec_lo
	s_waitcnt vmcnt(0)
	ds_store_b64 v110, v[11:12]
	s_waitcnt lgkmcnt(0)
	s_waitcnt_vscnt null, 0x0
	s_barrier
	buffer_gl0_inv
	v_cmpx_gt_u32_e32 49, v0
	s_cbranch_execz .LBB116_1004
; %bb.995:
	v_cmp_ne_u32_e32 vcc_lo, 1, v112
	s_cbranch_vccnz .LBB116_997
; %bb.996:
	scratch_load_b64 v[11:12], v111, off
	ds_load_b64 v[113:114], v110
	s_waitcnt vmcnt(0) lgkmcnt(0)
	v_mul_f64 v[11:12], v[11:12], v[113:114]
	s_cbranch_execz .LBB116_998
	s_branch .LBB116_999
.LBB116_997:
                                        ; implicit-def: $vgpr11_vgpr12
.LBB116_998:
	ds_load_b64 v[11:12], v110
.LBB116_999:
	s_mov_b32 s1, exec_lo
	v_cmpx_ne_u32_e32 48, v0
	s_cbranch_execz .LBB116_1003
; %bb.1000:
	v_add_nc_u32_e32 v113, 0x1b8, v109
	v_add3_u32 v114, 0, v109, 8
	v_mov_b32_e32 v115, v0
	s_mov_b32 s2, 0
.LBB116_1001:                           ; =>This Inner Loop Header: Depth=1
	scratch_load_b64 v[116:117], v114, off
	ds_load_b64 v[118:119], v113
	v_add_nc_u32_e32 v115, 1, v115
	v_add_nc_u32_e32 v113, 8, v113
	;; [unrolled: 1-line block ×3, first 2 shown]
	s_delay_alu instid0(VALU_DEP_3)
	v_cmp_lt_u32_e32 vcc_lo, 47, v115
	s_or_b32 s2, vcc_lo, s2
	s_waitcnt vmcnt(0) lgkmcnt(0)
	v_fma_f64 v[11:12], v[116:117], v[118:119], v[11:12]
	s_and_not1_b32 exec_lo, exec_lo, s2
	s_cbranch_execnz .LBB116_1001
; %bb.1002:
	s_or_b32 exec_lo, exec_lo, s2
.LBB116_1003:
	s_delay_alu instid0(SALU_CYCLE_1)
	s_or_b32 exec_lo, exec_lo, s1
	v_mov_b32_e32 v113, 0
	ds_load_b64 v[113:114], v113 offset:392
	s_waitcnt lgkmcnt(0)
	v_mul_f64 v[11:12], v[11:12], v[113:114]
	scratch_store_b64 off, v[11:12], off offset:392
.LBB116_1004:
	s_or_b32 exec_lo, exec_lo, s0
	scratch_load_b64 v[11:12], off, off offset:400
	s_mov_b32 s0, exec_lo
	s_waitcnt vmcnt(0)
	ds_store_b64 v110, v[11:12]
	s_waitcnt lgkmcnt(0)
	s_waitcnt_vscnt null, 0x0
	s_barrier
	buffer_gl0_inv
	v_cmpx_gt_u32_e32 50, v0
	s_cbranch_execz .LBB116_1014
; %bb.1005:
	v_cmp_ne_u32_e32 vcc_lo, 1, v112
	s_cbranch_vccnz .LBB116_1007
; %bb.1006:
	scratch_load_b64 v[11:12], v111, off
	ds_load_b64 v[113:114], v110
	s_waitcnt vmcnt(0) lgkmcnt(0)
	v_mul_f64 v[11:12], v[11:12], v[113:114]
	s_cbranch_execz .LBB116_1008
	s_branch .LBB116_1009
.LBB116_1007:
                                        ; implicit-def: $vgpr11_vgpr12
.LBB116_1008:
	ds_load_b64 v[11:12], v110
.LBB116_1009:
	s_mov_b32 s1, exec_lo
	v_cmpx_ne_u32_e32 49, v0
	s_cbranch_execz .LBB116_1013
; %bb.1010:
	v_add_nc_u32_e32 v113, 0x1b8, v109
	v_add3_u32 v114, 0, v109, 8
	v_mov_b32_e32 v115, v0
	s_mov_b32 s2, 0
.LBB116_1011:                           ; =>This Inner Loop Header: Depth=1
	scratch_load_b64 v[116:117], v114, off
	ds_load_b64 v[118:119], v113
	v_add_nc_u32_e32 v115, 1, v115
	v_add_nc_u32_e32 v113, 8, v113
	;; [unrolled: 1-line block ×3, first 2 shown]
	s_delay_alu instid0(VALU_DEP_3)
	v_cmp_lt_u32_e32 vcc_lo, 48, v115
	s_or_b32 s2, vcc_lo, s2
	s_waitcnt vmcnt(0) lgkmcnt(0)
	v_fma_f64 v[11:12], v[116:117], v[118:119], v[11:12]
	s_and_not1_b32 exec_lo, exec_lo, s2
	s_cbranch_execnz .LBB116_1011
; %bb.1012:
	s_or_b32 exec_lo, exec_lo, s2
.LBB116_1013:
	s_delay_alu instid0(SALU_CYCLE_1)
	s_or_b32 exec_lo, exec_lo, s1
	v_mov_b32_e32 v113, 0
	ds_load_b64 v[113:114], v113 offset:400
	s_waitcnt lgkmcnt(0)
	v_mul_f64 v[11:12], v[11:12], v[113:114]
	scratch_store_b64 off, v[11:12], off offset:400
.LBB116_1014:
	s_or_b32 exec_lo, exec_lo, s0
	scratch_load_b64 v[11:12], off, off offset:408
	v_cmp_gt_u32_e64 s0, 51, v0
	s_waitcnt vmcnt(0)
	ds_store_b64 v110, v[11:12]
	s_waitcnt lgkmcnt(0)
	s_waitcnt_vscnt null, 0x0
	s_barrier
	buffer_gl0_inv
	s_and_saveexec_b32 s1, s0
	s_cbranch_execz .LBB116_1024
; %bb.1015:
	v_cmp_ne_u32_e32 vcc_lo, 1, v112
	s_cbranch_vccnz .LBB116_1017
; %bb.1016:
	scratch_load_b64 v[11:12], v111, off
	ds_load_b64 v[113:114], v110
	s_waitcnt vmcnt(0) lgkmcnt(0)
	v_mul_f64 v[11:12], v[11:12], v[113:114]
	s_cbranch_execz .LBB116_1018
	s_branch .LBB116_1019
.LBB116_1017:
                                        ; implicit-def: $vgpr11_vgpr12
.LBB116_1018:
	ds_load_b64 v[11:12], v110
.LBB116_1019:
	s_mov_b32 s2, exec_lo
	v_cmpx_ne_u32_e32 50, v0
	s_cbranch_execz .LBB116_1023
; %bb.1020:
	v_add_nc_u32_e32 v113, 0x1b8, v109
	v_add3_u32 v114, 0, v109, 8
	v_mov_b32_e32 v115, v0
	s_mov_b32 s3, 0
.LBB116_1021:                           ; =>This Inner Loop Header: Depth=1
	scratch_load_b64 v[116:117], v114, off
	ds_load_b64 v[118:119], v113
	v_add_nc_u32_e32 v115, 1, v115
	v_add_nc_u32_e32 v113, 8, v113
	;; [unrolled: 1-line block ×3, first 2 shown]
	s_delay_alu instid0(VALU_DEP_3)
	v_cmp_lt_u32_e32 vcc_lo, 49, v115
	s_or_b32 s3, vcc_lo, s3
	s_waitcnt vmcnt(0) lgkmcnt(0)
	v_fma_f64 v[11:12], v[116:117], v[118:119], v[11:12]
	s_and_not1_b32 exec_lo, exec_lo, s3
	s_cbranch_execnz .LBB116_1021
; %bb.1022:
	s_or_b32 exec_lo, exec_lo, s3
.LBB116_1023:
	s_delay_alu instid0(SALU_CYCLE_1)
	s_or_b32 exec_lo, exec_lo, s2
	v_mov_b32_e32 v113, 0
	ds_load_b64 v[113:114], v113 offset:408
	s_waitcnt lgkmcnt(0)
	v_mul_f64 v[11:12], v[11:12], v[113:114]
	scratch_store_b64 off, v[11:12], off offset:408
.LBB116_1024:
	s_or_b32 exec_lo, exec_lo, s1
	scratch_load_b64 v[11:12], off, off offset:416
	s_mov_b32 s1, exec_lo
	s_waitcnt vmcnt(0)
	ds_store_b64 v110, v[11:12]
	s_waitcnt lgkmcnt(0)
	s_waitcnt_vscnt null, 0x0
	s_barrier
	buffer_gl0_inv
	v_cmpx_ne_u32_e32 52, v0
	s_cbranch_execz .LBB116_1034
; %bb.1025:
	v_cmp_ne_u32_e32 vcc_lo, 1, v112
	s_cbranch_vccnz .LBB116_1027
; %bb.1026:
	scratch_load_b64 v[11:12], v111, off
	ds_load_b64 v[111:112], v110
	s_waitcnt vmcnt(0) lgkmcnt(0)
	v_mul_f64 v[11:12], v[11:12], v[111:112]
	s_cbranch_execz .LBB116_1028
	s_branch .LBB116_1029
.LBB116_1027:
                                        ; implicit-def: $vgpr11_vgpr12
.LBB116_1028:
	ds_load_b64 v[11:12], v110
.LBB116_1029:
	s_and_saveexec_b32 s2, s0
	s_cbranch_execz .LBB116_1033
; %bb.1030:
	v_add_nc_u32_e32 v110, 0x1b8, v109
	v_add3_u32 v109, 0, v109, 8
	s_mov_b32 s0, 0
.LBB116_1031:                           ; =>This Inner Loop Header: Depth=1
	scratch_load_b64 v[111:112], v109, off
	ds_load_b64 v[113:114], v110
	v_add_nc_u32_e32 v0, 1, v0
	v_add_nc_u32_e32 v110, 8, v110
	;; [unrolled: 1-line block ×3, first 2 shown]
	s_delay_alu instid0(VALU_DEP_3)
	v_cmp_lt_u32_e32 vcc_lo, 50, v0
	s_or_b32 s0, vcc_lo, s0
	s_waitcnt vmcnt(0) lgkmcnt(0)
	v_fma_f64 v[11:12], v[111:112], v[113:114], v[11:12]
	s_and_not1_b32 exec_lo, exec_lo, s0
	s_cbranch_execnz .LBB116_1031
; %bb.1032:
	s_or_b32 exec_lo, exec_lo, s0
.LBB116_1033:
	s_delay_alu instid0(SALU_CYCLE_1)
	s_or_b32 exec_lo, exec_lo, s2
	v_mov_b32_e32 v0, 0
	ds_load_b64 v[109:110], v0 offset:416
	s_waitcnt lgkmcnt(0)
	v_mul_f64 v[11:12], v[11:12], v[109:110]
	scratch_store_b64 off, v[11:12], off offset:416
.LBB116_1034:
	s_or_b32 exec_lo, exec_lo, s1
.LBB116_1035:
	s_clause 0xa
	scratch_load_b128 v[109:112], off, off
	scratch_load_b128 v[113:116], off, off offset:16
	scratch_load_b128 v[117:120], off, off offset:32
	;; [unrolled: 1-line block ×10, first 2 shown]
	s_waitcnt vmcnt(10)
	s_clause 0x1
	global_store_b64 v[25:26], v[109:110], off
	global_store_b64 v[31:32], v[111:112], off
	scratch_load_b128 v[109:112], off, off offset:144
	s_waitcnt vmcnt(10)
	s_clause 0x1
	global_store_b64 v[17:18], v[113:114], off
	global_store_b64 v[15:16], v[115:116], off
	scratch_load_b128 v[15:18], off, off offset:176
	s_waitcnt vmcnt(10)
	s_clause 0x1
	global_store_b64 v[19:20], v[117:118], off
	global_store_b64 v[13:14], v[119:120], off
	s_waitcnt vmcnt(9)
	s_clause 0x1
	global_store_b64 v[21:22], v[121:122], off
	global_store_b64 v[23:24], v[123:124], off
	;; [unrolled: 4-line block ×7, first 2 shown]
	s_clause 0xd
	scratch_load_b128 v[113:116], off, off offset:192
	scratch_load_b128 v[11:14], off, off offset:208
	;; [unrolled: 1-line block ×13, first 2 shown]
	scratch_load_b64 v[31:32], off, off offset:416
	s_waitcnt vmcnt(15)
	s_clause 0x3
	global_store_b64 v[33:34], v[109:110], off
	global_store_b64 v[35:36], v[111:112], off
	;; [unrolled: 1-line block ×4, first 2 shown]
	s_waitcnt vmcnt(14)
	s_clause 0x1
	global_store_b64 v[41:42], v[15:16], off
	global_store_b64 v[45:46], v[17:18], off
	s_waitcnt vmcnt(13)
	s_clause 0x1
	global_store_b64 v[47:48], v[113:114], off
	global_store_b64 v[51:52], v[115:116], off
	;; [unrolled: 4-line block ×13, first 2 shown]
	global_store_b64 v[1:2], v[149:150], off
	global_store_b64 v[3:4], v[151:152], off
	s_waitcnt vmcnt(1)
	s_clause 0x1
	global_store_b64 v[5:6], v[141:142], off
	global_store_b64 v[7:8], v[143:144], off
	s_waitcnt vmcnt(0)
	global_store_b64 v[9:10], v[31:32], off
.LBB116_1036:
	s_endpgm
	.section	.rodata,"a",@progbits
	.p2align	6, 0x0
	.amdhsa_kernel _ZN9rocsolver6v33100L18trti2_kernel_smallILi53EdPKPdEEv13rocblas_fill_17rocblas_diagonal_T1_iil
		.amdhsa_group_segment_fixed_size 856
		.amdhsa_private_segment_fixed_size 432
		.amdhsa_kernarg_size 32
		.amdhsa_user_sgpr_count 15
		.amdhsa_user_sgpr_dispatch_ptr 0
		.amdhsa_user_sgpr_queue_ptr 0
		.amdhsa_user_sgpr_kernarg_segment_ptr 1
		.amdhsa_user_sgpr_dispatch_id 0
		.amdhsa_user_sgpr_private_segment_size 0
		.amdhsa_wavefront_size32 1
		.amdhsa_uses_dynamic_stack 0
		.amdhsa_enable_private_segment 1
		.amdhsa_system_sgpr_workgroup_id_x 1
		.amdhsa_system_sgpr_workgroup_id_y 0
		.amdhsa_system_sgpr_workgroup_id_z 0
		.amdhsa_system_sgpr_workgroup_info 0
		.amdhsa_system_vgpr_workitem_id 0
		.amdhsa_next_free_vgpr 153
		.amdhsa_next_free_sgpr 24
		.amdhsa_reserve_vcc 1
		.amdhsa_float_round_mode_32 0
		.amdhsa_float_round_mode_16_64 0
		.amdhsa_float_denorm_mode_32 3
		.amdhsa_float_denorm_mode_16_64 3
		.amdhsa_dx10_clamp 1
		.amdhsa_ieee_mode 1
		.amdhsa_fp16_overflow 0
		.amdhsa_workgroup_processor_mode 1
		.amdhsa_memory_ordered 1
		.amdhsa_forward_progress 0
		.amdhsa_shared_vgpr_count 0
		.amdhsa_exception_fp_ieee_invalid_op 0
		.amdhsa_exception_fp_denorm_src 0
		.amdhsa_exception_fp_ieee_div_zero 0
		.amdhsa_exception_fp_ieee_overflow 0
		.amdhsa_exception_fp_ieee_underflow 0
		.amdhsa_exception_fp_ieee_inexact 0
		.amdhsa_exception_int_div_zero 0
	.end_amdhsa_kernel
	.section	.text._ZN9rocsolver6v33100L18trti2_kernel_smallILi53EdPKPdEEv13rocblas_fill_17rocblas_diagonal_T1_iil,"axG",@progbits,_ZN9rocsolver6v33100L18trti2_kernel_smallILi53EdPKPdEEv13rocblas_fill_17rocblas_diagonal_T1_iil,comdat
.Lfunc_end116:
	.size	_ZN9rocsolver6v33100L18trti2_kernel_smallILi53EdPKPdEEv13rocblas_fill_17rocblas_diagonal_T1_iil, .Lfunc_end116-_ZN9rocsolver6v33100L18trti2_kernel_smallILi53EdPKPdEEv13rocblas_fill_17rocblas_diagonal_T1_iil
                                        ; -- End function
	.section	.AMDGPU.csdata,"",@progbits
; Kernel info:
; codeLenInByte = 29008
; NumSgprs: 26
; NumVgprs: 153
; ScratchSize: 432
; MemoryBound: 0
; FloatMode: 240
; IeeeMode: 1
; LDSByteSize: 856 bytes/workgroup (compile time only)
; SGPRBlocks: 3
; VGPRBlocks: 19
; NumSGPRsForWavesPerEU: 26
; NumVGPRsForWavesPerEU: 153
; Occupancy: 9
; WaveLimiterHint : 1
; COMPUTE_PGM_RSRC2:SCRATCH_EN: 1
; COMPUTE_PGM_RSRC2:USER_SGPR: 15
; COMPUTE_PGM_RSRC2:TRAP_HANDLER: 0
; COMPUTE_PGM_RSRC2:TGID_X_EN: 1
; COMPUTE_PGM_RSRC2:TGID_Y_EN: 0
; COMPUTE_PGM_RSRC2:TGID_Z_EN: 0
; COMPUTE_PGM_RSRC2:TIDIG_COMP_CNT: 0
	.section	.text._ZN9rocsolver6v33100L18trti2_kernel_smallILi54EdPKPdEEv13rocblas_fill_17rocblas_diagonal_T1_iil,"axG",@progbits,_ZN9rocsolver6v33100L18trti2_kernel_smallILi54EdPKPdEEv13rocblas_fill_17rocblas_diagonal_T1_iil,comdat
	.globl	_ZN9rocsolver6v33100L18trti2_kernel_smallILi54EdPKPdEEv13rocblas_fill_17rocblas_diagonal_T1_iil ; -- Begin function _ZN9rocsolver6v33100L18trti2_kernel_smallILi54EdPKPdEEv13rocblas_fill_17rocblas_diagonal_T1_iil
	.p2align	8
	.type	_ZN9rocsolver6v33100L18trti2_kernel_smallILi54EdPKPdEEv13rocblas_fill_17rocblas_diagonal_T1_iil,@function
_ZN9rocsolver6v33100L18trti2_kernel_smallILi54EdPKPdEEv13rocblas_fill_17rocblas_diagonal_T1_iil: ; @_ZN9rocsolver6v33100L18trti2_kernel_smallILi54EdPKPdEEv13rocblas_fill_17rocblas_diagonal_T1_iil
; %bb.0:
	s_mov_b32 s2, exec_lo
	v_cmpx_gt_u32_e32 54, v0
	s_cbranch_execz .LBB117_1056
; %bb.1:
	s_clause 0x1
	s_load_b64 s[4:5], s[0:1], 0x10
	s_load_b128 s[0:3], s[0:1], 0x0
	s_mov_b32 s6, s15
	s_ashr_i32 s7, s15, 31
	v_lshlrev_b32_e32 v111, 3, v0
	s_lshl_b64 s[8:9], s[6:7], 3
	s_waitcnt lgkmcnt(0)
	s_ashr_i32 s7, s4, 31
	s_add_u32 s2, s2, s8
	s_addc_u32 s3, s3, s9
	s_mov_b32 s6, s4
	s_load_b64 s[2:3], s[2:3], 0x0
	s_lshl_b64 s[6:7], s[6:7], 3
	v_add3_u32 v1, s5, s5, v0
	s_mov_b32 s8, s5
	s_delay_alu instid0(VALU_DEP_1) | instskip(SKIP_1) | instid1(VALU_DEP_2)
	v_add_nc_u32_e32 v3, s5, v1
	v_ashrrev_i32_e32 v2, 31, v1
	v_ashrrev_i32_e32 v4, 31, v3
	s_delay_alu instid0(VALU_DEP_2) | instskip(SKIP_1) | instid1(VALU_DEP_3)
	v_lshlrev_b64 v[1:2], 3, v[1:2]
	v_add_nc_u32_e32 v7, s5, v3
	v_lshlrev_b64 v[3:4], 3, v[3:4]
	s_delay_alu instid0(VALU_DEP_2)
	v_add_nc_u32_e32 v9, s5, v7
	s_waitcnt lgkmcnt(0)
	s_add_u32 s2, s2, s6
	s_addc_u32 s3, s3, s7
	v_add_co_u32 v11, s4, s2, v111
	s_ashr_i32 s9, s5, 31
	v_add_co_ci_u32_e64 v12, null, s3, 0, s4
	s_lshl_b64 s[6:7], s[8:9], 3
	v_ashrrev_i32_e32 v8, 31, v7
	v_add_co_u32 v19, vcc_lo, v11, s6
	s_delay_alu instid0(VALU_DEP_3)
	v_add_co_ci_u32_e32 v20, vcc_lo, s7, v12, vcc_lo
	s_clause 0x1
	global_load_b64 v[55:56], v111, s[2:3]
	global_load_b64 v[57:58], v[19:20], off
	v_add_co_u32 v1, vcc_lo, s2, v1
	v_add_co_ci_u32_e32 v2, vcc_lo, s3, v2, vcc_lo
	v_add_co_u32 v5, vcc_lo, s2, v3
	v_add_co_ci_u32_e32 v6, vcc_lo, s3, v4, vcc_lo
	s_clause 0x1
	global_load_b64 v[59:60], v[1:2], off
	global_load_b64 v[61:62], v[5:6], off
	v_add_nc_u32_e32 v3, s5, v9
	v_ashrrev_i32_e32 v10, 31, v9
	v_lshlrev_b64 v[7:8], 3, v[7:8]
	s_cmpk_lg_i32 s1, 0x84
	s_delay_alu instid0(VALU_DEP_3) | instskip(SKIP_2) | instid1(VALU_DEP_4)
	v_add_nc_u32_e32 v13, s5, v3
	v_ashrrev_i32_e32 v4, 31, v3
	v_lshlrev_b64 v[9:10], 3, v[9:10]
	v_add_co_u32 v27, vcc_lo, s2, v7
	s_delay_alu instid0(VALU_DEP_4) | instskip(NEXT) | instid1(VALU_DEP_4)
	v_add_nc_u32_e32 v17, s5, v13
	v_lshlrev_b64 v[3:4], 3, v[3:4]
	v_ashrrev_i32_e32 v14, 31, v13
	v_add_co_ci_u32_e32 v28, vcc_lo, s3, v8, vcc_lo
	s_delay_alu instid0(VALU_DEP_4) | instskip(SKIP_3) | instid1(VALU_DEP_4)
	v_add_nc_u32_e32 v21, s5, v17
	v_add_co_u32 v33, vcc_lo, s2, v9
	v_ashrrev_i32_e32 v18, 31, v17
	v_add_co_ci_u32_e32 v34, vcc_lo, s3, v10, vcc_lo
	v_add_nc_u32_e32 v23, s5, v21
	v_lshlrev_b64 v[7:8], 3, v[13:14]
	v_add_co_u32 v15, vcc_lo, s2, v3
	v_add_co_ci_u32_e32 v16, vcc_lo, s3, v4, vcc_lo
	s_delay_alu instid0(VALU_DEP_4) | instskip(SKIP_3) | instid1(VALU_DEP_4)
	v_add_nc_u32_e32 v29, s5, v23
	v_lshlrev_b64 v[3:4], 3, v[17:18]
	v_ashrrev_i32_e32 v22, 31, v21
	v_add_co_u32 v31, vcc_lo, s2, v7
	v_add_nc_u32_e32 v35, s5, v29
	v_ashrrev_i32_e32 v24, 31, v23
	v_add_co_ci_u32_e32 v32, vcc_lo, s3, v8, vcc_lo
	v_lshlrev_b64 v[7:8], 3, v[21:22]
	s_delay_alu instid0(VALU_DEP_4) | instskip(SKIP_3) | instid1(VALU_DEP_4)
	v_add_nc_u32_e32 v37, s5, v35
	v_add_co_u32 v13, vcc_lo, s2, v3
	v_ashrrev_i32_e32 v30, 31, v29
	v_add_co_ci_u32_e32 v14, vcc_lo, s3, v4, vcc_lo
	v_add_nc_u32_e32 v39, s5, v37
	v_lshlrev_b64 v[3:4], 3, v[23:24]
	v_add_co_u32 v25, vcc_lo, s2, v7
	v_lshlrev_b64 v[9:10], 3, v[29:30]
	s_delay_alu instid0(VALU_DEP_4)
	v_add_nc_u32_e32 v41, s5, v39
	v_ashrrev_i32_e32 v36, 31, v35
	v_add_co_ci_u32_e32 v26, vcc_lo, s3, v8, vcc_lo
	s_clause 0x1
	global_load_b64 v[65:66], v[33:34], off
	global_load_b64 v[63:64], v[27:28], off
	v_add_nc_u32_e32 v43, s5, v41
	v_add_co_u32 v7, vcc_lo, s2, v3
	v_ashrrev_i32_e32 v38, 31, v37
	v_add_co_ci_u32_e32 v8, vcc_lo, s3, v4, vcc_lo
	s_delay_alu instid0(VALU_DEP_4) | instskip(SKIP_3) | instid1(VALU_DEP_4)
	v_add_nc_u32_e32 v45, s5, v43
	v_lshlrev_b64 v[3:4], 3, v[35:36]
	v_add_co_u32 v21, vcc_lo, s2, v9
	v_ashrrev_i32_e32 v40, 31, v39
	v_add_nc_u32_e32 v47, s5, v45
	v_add_co_ci_u32_e32 v22, vcc_lo, s3, v10, vcc_lo
	v_lshlrev_b64 v[9:10], 3, v[37:38]
	v_ashrrev_i32_e32 v42, 31, v41
	s_delay_alu instid0(VALU_DEP_4) | instskip(SKIP_3) | instid1(VALU_DEP_4)
	v_add_nc_u32_e32 v49, s5, v47
	v_add_co_u32 v3, vcc_lo, s2, v3
	v_lshlrev_b64 v[23:24], 3, v[39:40]
	v_ashrrev_i32_e32 v44, 31, v43
	v_add_nc_u32_e32 v51, s5, v49
	v_add_co_ci_u32_e32 v4, vcc_lo, s3, v4, vcc_lo
	v_add_co_u32 v17, vcc_lo, s2, v9
	s_delay_alu instid0(VALU_DEP_3)
	v_add_nc_u32_e32 v53, s5, v51
	v_lshlrev_b64 v[29:30], 3, v[41:42]
	s_clause 0x2
	global_load_b64 v[69:70], v[15:16], off
	global_load_b64 v[71:72], v[31:32], off
	;; [unrolled: 1-line block ×3, first 2 shown]
	v_ashrrev_i32_e32 v46, 31, v45
	global_load_b64 v[75:76], v[25:26], off
	v_add_nc_u32_e32 v67, s5, v53
	v_add_co_ci_u32_e32 v18, vcc_lo, s3, v10, vcc_lo
	v_add_co_u32 v9, vcc_lo, s2, v23
	s_delay_alu instid0(VALU_DEP_3) | instskip(SKIP_3) | instid1(VALU_DEP_4)
	v_add_nc_u32_e32 v99, s5, v67
	v_lshlrev_b64 v[35:36], 3, v[43:44]
	v_ashrrev_i32_e32 v48, 31, v47
	v_add_co_ci_u32_e32 v10, vcc_lo, s3, v24, vcc_lo
	v_add_nc_u32_e32 v101, s5, v99
	v_add_co_u32 v23, vcc_lo, s2, v29
	v_lshlrev_b64 v[37:38], 3, v[45:46]
	v_ashrrev_i32_e32 v50, 31, v49
	s_delay_alu instid0(VALU_DEP_4) | instskip(SKIP_2) | instid1(VALU_DEP_3)
	v_add_nc_u32_e32 v103, s5, v101
	v_add_co_ci_u32_e32 v24, vcc_lo, s3, v30, vcc_lo
	v_add_co_u32 v29, vcc_lo, s2, v35
	v_add_nc_u32_e32 v109, s5, v103
	v_lshlrev_b64 v[39:40], 3, v[47:48]
	v_add_co_ci_u32_e32 v30, vcc_lo, s3, v36, vcc_lo
	v_add_co_u32 v35, vcc_lo, s2, v37
	s_delay_alu instid0(VALU_DEP_4)
	v_add_nc_u32_e32 v112, s5, v109
	v_lshlrev_b64 v[41:42], 3, v[49:50]
	v_ashrrev_i32_e32 v52, 31, v51
	s_clause 0x3
	global_load_b64 v[77:78], v[7:8], off
	global_load_b64 v[79:80], v[21:22], off
	;; [unrolled: 1-line block ×4, first 2 shown]
	v_add_nc_u32_e32 v120, s5, v112
	v_add_co_ci_u32_e32 v36, vcc_lo, s3, v38, vcc_lo
	v_add_co_u32 v37, vcc_lo, s2, v39
	s_delay_alu instid0(VALU_DEP_3) | instskip(SKIP_3) | instid1(VALU_DEP_4)
	v_add_nc_u32_e32 v122, s5, v120
	v_ashrrev_i32_e32 v54, 31, v53
	v_add_co_ci_u32_e32 v38, vcc_lo, s3, v40, vcc_lo
	v_lshlrev_b64 v[43:44], 3, v[51:52]
	v_add_nc_u32_e32 v124, s5, v122
	v_add_co_u32 v39, vcc_lo, s2, v41
	v_add_co_ci_u32_e32 v40, vcc_lo, s3, v42, vcc_lo
	s_delay_alu instid0(VALU_DEP_3) | instskip(SKIP_3) | instid1(VALU_DEP_4)
	v_add_nc_u32_e32 v126, s5, v124
	v_lshlrev_b64 v[41:42], 3, v[53:54]
	v_ashrrev_i32_e32 v68, 31, v67
	v_add_co_u32 v43, vcc_lo, s2, v43
	v_add_nc_u32_e32 v128, s5, v126
	v_ashrrev_i32_e32 v100, 31, v99
	s_clause 0x2
	global_load_b64 v[85:86], v[9:10], off
	global_load_b64 v[87:88], v[23:24], off
	global_load_b64 v[89:90], v[29:30], off
	v_add_co_ci_u32_e32 v44, vcc_lo, s3, v44, vcc_lo
	v_add_nc_u32_e32 v130, s5, v128
	v_lshlrev_b64 v[47:48], 3, v[67:68]
	global_load_b64 v[91:92], v[35:36], off
	v_add_co_u32 v45, vcc_lo, s2, v41
	v_add_nc_u32_e32 v132, s5, v130
	v_add_co_ci_u32_e32 v46, vcc_lo, s3, v42, vcc_lo
	v_lshlrev_b64 v[41:42], 3, v[99:100]
	v_ashrrev_i32_e32 v102, 31, v101
	s_delay_alu instid0(VALU_DEP_4) | instskip(SKIP_2) | instid1(VALU_DEP_3)
	v_add_nc_u32_e32 v134, s5, v132
	v_add_co_u32 v47, vcc_lo, s2, v47
	v_add_co_ci_u32_e32 v48, vcc_lo, s3, v48, vcc_lo
	v_add_nc_u32_e32 v136, s5, v134
	v_lshlrev_b64 v[53:54], 3, v[101:102]
	v_ashrrev_i32_e32 v104, 31, v103
	v_add_co_u32 v49, vcc_lo, s2, v41
	s_delay_alu instid0(VALU_DEP_4)
	v_add_nc_u32_e32 v138, s5, v136
	v_add_co_ci_u32_e32 v50, vcc_lo, s3, v42, vcc_lo
	s_clause 0x3
	global_load_b64 v[93:94], v[37:38], off
	global_load_b64 v[95:96], v[39:40], off
	;; [unrolled: 1-line block ×4, first 2 shown]
	v_add_nc_u32_e32 v140, s5, v138
	v_lshlrev_b64 v[67:68], 3, v[103:104]
	v_ashrrev_i32_e32 v110, 31, v109
	v_ashrrev_i32_e32 v113, 31, v112
	v_ashrrev_i32_e32 v121, 31, v120
	v_add_nc_u32_e32 v142, s5, v140
	v_ashrrev_i32_e32 v123, 31, v122
	v_ashrrev_i32_e32 v125, 31, v124
	v_ashrrev_i32_e32 v127, 31, v126
	v_ashrrev_i32_e32 v129, 31, v128
	v_add_nc_u32_e32 v144, s5, v142
	v_ashrrev_i32_e32 v131, 31, v130
	;; [unrolled: 5-line block ×4, first 2 shown]
	s_delay_alu instid0(VALU_DEP_2) | instskip(SKIP_1) | instid1(VALU_DEP_2)
	v_add_nc_u32_e32 v150, s5, v148
	v_ashrrev_i32_e32 v149, 31, v148
	v_add_nc_u32_e32 v152, s5, v150
	v_ashrrev_i32_e32 v151, 31, v150
	s_delay_alu instid0(VALU_DEP_2) | instskip(SKIP_1) | instid1(VALU_DEP_2)
	v_add_nc_u32_e32 v154, s5, v152
	v_ashrrev_i32_e32 v153, 31, v152
	v_add_nc_u32_e32 v156, s5, v154
	v_ashrrev_i32_e32 v155, 31, v154
	;; [unrolled: 5-line block ×5, first 2 shown]
	s_delay_alu instid0(VALU_DEP_2) | instskip(SKIP_1) | instid1(VALU_DEP_2)
	v_add_nc_u32_e32 v51, s5, v168
	v_ashrrev_i32_e32 v169, 31, v168
	v_ashrrev_i32_e32 v52, 31, v51
	s_delay_alu instid0(VALU_DEP_1) | instskip(SKIP_2) | instid1(VALU_DEP_3)
	v_lshlrev_b64 v[41:42], 3, v[51:52]
	v_add_co_u32 v51, vcc_lo, s2, v53
	v_add_co_ci_u32_e32 v52, vcc_lo, s3, v54, vcc_lo
	v_add_co_u32 v41, vcc_lo, s2, v41
	s_delay_alu instid0(VALU_DEP_4)
	v_add_co_ci_u32_e32 v42, vcc_lo, s3, v42, vcc_lo
	v_add_co_u32 v53, vcc_lo, s2, v67
	v_add_co_ci_u32_e32 v54, vcc_lo, s3, v68, vcc_lo
	global_load_b64 v[114:115], v[41:42], off
	v_lshlrev_b64 v[67:68], 3, v[124:125]
	s_waitcnt vmcnt(21)
	scratch_store_b128 off, v[55:58], off
	v_lshlrev_b64 v[55:56], 3, v[109:110]
	s_clause 0x3
	global_load_b64 v[101:102], v[47:48], off
	global_load_b64 v[103:104], v[49:50], off
	global_load_b64 v[105:106], v[51:52], off
	global_load_b64 v[107:108], v[53:54], off
	v_lshlrev_b64 v[57:58], 3, v[112:113]
	v_lshlrev_b64 v[109:110], 3, v[130:131]
	;; [unrolled: 1-line block ×3, first 2 shown]
	v_add_co_u32 v55, vcc_lo, s2, v55
	v_add_co_ci_u32_e32 v56, vcc_lo, s3, v56, vcc_lo
	v_add_co_u32 v57, vcc_lo, s2, v57
	v_add_co_ci_u32_e32 v58, vcc_lo, s3, v58, vcc_lo
	s_waitcnt vmcnt(23)
	scratch_store_b128 off, v[59:62], off offset:16
	s_clause 0x1
	global_load_b64 v[116:117], v[55:56], off
	global_load_b64 v[118:119], v[57:58], off
	v_lshlrev_b64 v[59:60], 3, v[120:121]
	v_lshlrev_b64 v[61:62], 3, v[122:123]
	s_delay_alu instid0(VALU_DEP_2) | instskip(NEXT) | instid1(VALU_DEP_3)
	v_add_co_u32 v59, vcc_lo, s2, v59
	v_add_co_ci_u32_e32 v60, vcc_lo, s3, v60, vcc_lo
	s_delay_alu instid0(VALU_DEP_3) | instskip(NEXT) | instid1(VALU_DEP_4)
	v_add_co_u32 v61, vcc_lo, s2, v61
	v_add_co_ci_u32_e32 v62, vcc_lo, s3, v62, vcc_lo
	global_load_b64 v[120:121], v[59:60], off
	s_waitcnt vmcnt(24)
	scratch_store_b128 off, v[63:66], off offset:32
	v_lshlrev_b64 v[65:66], 3, v[126:127]
	v_add_co_u32 v63, vcc_lo, s2, v67
	v_add_co_ci_u32_e32 v64, vcc_lo, s3, v68, vcc_lo
	v_lshlrev_b64 v[67:68], 3, v[128:129]
	s_delay_alu instid0(VALU_DEP_4)
	v_add_co_u32 v65, vcc_lo, s2, v65
	v_add_co_ci_u32_e32 v66, vcc_lo, s3, v66, vcc_lo
	s_waitcnt vmcnt(22)
	scratch_store_b128 off, v[69:72], off offset:48
	s_waitcnt vmcnt(20)
	scratch_store_b128 off, v[73:76], off offset:64
	v_add_co_u32 v67, vcc_lo, s2, v67
	v_add_co_ci_u32_e32 v68, vcc_lo, s3, v68, vcc_lo
	v_add_co_u32 v69, vcc_lo, s2, v109
	v_lshlrev_b64 v[73:74], 3, v[134:135]
	v_add_co_ci_u32_e32 v70, vcc_lo, s3, v110, vcc_lo
	v_add_co_u32 v71, vcc_lo, s2, v112
	v_lshlrev_b64 v[75:76], 3, v[136:137]
	;; [unrolled: 3-line block ×4, first 2 shown]
	v_add_co_ci_u32_e32 v76, vcc_lo, s3, v76, vcc_lo
	s_clause 0x3
	global_load_b64 v[122:123], v[61:62], off
	global_load_b64 v[124:125], v[63:64], off
	global_load_b64 v[126:127], v[65:66], off
	global_load_b64 v[128:129], v[67:68], off
	s_waitcnt vmcnt(22)
	scratch_store_b128 off, v[77:80], off offset:80
	s_waitcnt vmcnt(20)
	scratch_store_b128 off, v[81:84], off offset:96
	v_add_co_u32 v77, vcc_lo, s2, v109
	v_lshlrev_b64 v[81:82], 3, v[142:143]
	v_add_co_ci_u32_e32 v78, vcc_lo, s3, v110, vcc_lo
	v_add_co_u32 v79, vcc_lo, s2, v112
	v_lshlrev_b64 v[83:84], 3, v[144:145]
	v_add_co_ci_u32_e32 v80, vcc_lo, s3, v113, vcc_lo
	v_add_co_u32 v81, vcc_lo, s2, v81
	v_lshlrev_b64 v[109:110], 3, v[146:147]
	v_add_co_ci_u32_e32 v82, vcc_lo, s3, v82, vcc_lo
	v_add_co_u32 v83, vcc_lo, s2, v83
	v_lshlrev_b64 v[112:113], 3, v[148:149]
	v_add_co_ci_u32_e32 v84, vcc_lo, s3, v84, vcc_lo
	s_clause 0x3
	global_load_b64 v[130:131], v[69:70], off
	global_load_b64 v[132:133], v[71:72], off
	global_load_b64 v[134:135], v[73:74], off
	global_load_b64 v[136:137], v[75:76], off
	s_waitcnt vmcnt(22)
	scratch_store_b128 off, v[85:88], off offset:112
	s_waitcnt vmcnt(20)
	scratch_store_b128 off, v[89:92], off offset:128
	v_add_co_u32 v85, vcc_lo, s2, v109
	v_lshlrev_b64 v[89:90], 3, v[150:151]
	v_add_co_ci_u32_e32 v86, vcc_lo, s3, v110, vcc_lo
	v_add_co_u32 v87, vcc_lo, s2, v112
	v_lshlrev_b64 v[91:92], 3, v[152:153]
	v_add_co_ci_u32_e32 v88, vcc_lo, s3, v113, vcc_lo
	v_add_co_u32 v89, vcc_lo, s2, v89
	v_lshlrev_b64 v[109:110], 3, v[154:155]
	v_add_co_ci_u32_e32 v90, vcc_lo, s3, v90, vcc_lo
	v_add_co_u32 v91, vcc_lo, s2, v91
	v_lshlrev_b64 v[112:113], 3, v[156:157]
	;; [unrolled: 21-line block ×3, first 2 shown]
	v_add_co_ci_u32_e32 v100, vcc_lo, s3, v100, vcc_lo
	s_clause 0x3
	global_load_b64 v[146:147], v[85:86], off
	global_load_b64 v[148:149], v[87:88], off
	;; [unrolled: 1-line block ×4, first 2 shown]
	s_waitcnt vmcnt(21)
	scratch_store_b128 off, v[101:104], off offset:176
	s_waitcnt vmcnt(19)
	scratch_store_b128 off, v[105:108], off offset:192
	v_add_co_u32 v101, vcc_lo, s2, v109
	v_lshlrev_b64 v[103:104], 3, v[166:167]
	v_add_co_ci_u32_e32 v102, vcc_lo, s3, v110, vcc_lo
	v_add_co_u32 v105, vcc_lo, s2, v112
	v_lshlrev_b64 v[109:110], 3, v[168:169]
	v_add_co_ci_u32_e32 v106, vcc_lo, s3, v113, vcc_lo
	v_add_co_u32 v107, vcc_lo, s2, v103
	v_add_co_ci_u32_e32 v108, vcc_lo, s3, v104, vcc_lo
	s_delay_alu instid0(VALU_DEP_4)
	v_add_co_u32 v103, vcc_lo, s2, v109
	v_add_co_ci_u32_e32 v104, vcc_lo, s3, v110, vcc_lo
	s_clause 0x3
	global_load_b64 v[154:155], v[93:94], off
	global_load_b64 v[156:157], v[95:96], off
	;; [unrolled: 1-line block ×4, first 2 shown]
	s_waitcnt vmcnt(21)
	scratch_store_b128 off, v[116:119], off offset:208
	s_clause 0x3
	global_load_b64 v[162:163], v[101:102], off
	global_load_b64 v[116:117], v[105:106], off
	;; [unrolled: 1-line block ×4, first 2 shown]
	v_mov_b32_e32 v109, 0
	v_mov_b32_e32 v110, 0xbff00000
	s_cselect_b32 s2, -1, 0
	s_cmpk_eq_i32 s1, 0x84
	s_waitcnt vmcnt(23)
	scratch_store_b128 off, v[120:123], off offset:224
	s_waitcnt vmcnt(21)
	scratch_store_b128 off, v[124:127], off offset:240
	;; [unrolled: 2-line block ×13, first 2 shown]
	s_cbranch_scc1 .LBB117_3
; %bb.2:
	scratch_load_b64 v[109:110], v111, off
	s_waitcnt vmcnt(0)
	v_div_scale_f64 v[112:113], null, v[109:110], v[109:110], 1.0
	v_div_scale_f64 v[118:119], vcc_lo, 1.0, v[109:110], 1.0
	s_delay_alu instid0(VALU_DEP_2) | instskip(SKIP_2) | instid1(VALU_DEP_1)
	v_rcp_f64_e32 v[114:115], v[112:113]
	s_waitcnt_depctr 0xfff
	v_fma_f64 v[116:117], -v[112:113], v[114:115], 1.0
	v_fma_f64 v[114:115], v[114:115], v[116:117], v[114:115]
	s_delay_alu instid0(VALU_DEP_1) | instskip(NEXT) | instid1(VALU_DEP_1)
	v_fma_f64 v[116:117], -v[112:113], v[114:115], 1.0
	v_fma_f64 v[114:115], v[114:115], v[116:117], v[114:115]
	s_delay_alu instid0(VALU_DEP_1) | instskip(NEXT) | instid1(VALU_DEP_1)
	v_mul_f64 v[116:117], v[118:119], v[114:115]
	v_fma_f64 v[112:113], -v[112:113], v[116:117], v[118:119]
	s_delay_alu instid0(VALU_DEP_1) | instskip(NEXT) | instid1(VALU_DEP_1)
	v_div_fmas_f64 v[112:113], v[112:113], v[114:115], v[116:117]
	v_div_fixup_f64 v[109:110], v[112:113], v[109:110], 1.0
	scratch_store_b64 v111, v[109:110], off
	v_xor_b32_e32 v110, 0x80000000, v110
.LBB117_3:
	v_add_nc_u32_e32 v112, 0x1b0, v111
	v_add_nc_u32_e32 v113, 0, v111
	s_cmpk_eq_i32 s0, 0x79
	s_mov_b32 s0, -1
	ds_store_b64 v111, v[109:110]
	s_cbranch_scc1 .LBB117_529
; %bb.4:
	scratch_load_b64 v[109:110], off, off offset:416
	v_cmp_eq_u32_e64 s0, 53, v0
	s_movk_i32 s1, 0x50
	s_movk_i32 s3, 0x60
	;; [unrolled: 1-line block ×21, first 2 shown]
	s_waitcnt vmcnt(0)
	ds_store_b64 v112, v[109:110]
	s_waitcnt lgkmcnt(0)
	s_waitcnt_vscnt null, 0x0
	s_barrier
	buffer_gl0_inv
	s_and_saveexec_b32 s23, s0
	s_cbranch_execz .LBB117_10
; %bb.5:
	s_and_b32 vcc_lo, exec_lo, s2
	s_cbranch_vccz .LBB117_7
; %bb.6:
	scratch_load_b64 v[109:110], v113, off
	ds_load_b64 v[114:115], v112
	s_waitcnt vmcnt(0) lgkmcnt(0)
	v_mul_f64 v[109:110], v[109:110], v[114:115]
	s_cbranch_execz .LBB117_8
	s_branch .LBB117_9
.LBB117_7:
                                        ; implicit-def: $vgpr109_vgpr110
.LBB117_8:
	ds_load_b64 v[109:110], v112
.LBB117_9:
	v_mov_b32_e32 v114, 0
	ds_load_b64 v[114:115], v114 offset:416
	s_waitcnt lgkmcnt(0)
	v_mul_f64 v[109:110], v[109:110], v[114:115]
	scratch_store_b64 off, v[109:110], off offset:416
.LBB117_10:
	s_or_b32 exec_lo, exec_lo, s23
	scratch_load_b64 v[109:110], off, off offset:408
	v_add_nc_u32_e64 v114, 0, 16
	v_add_nc_u32_e64 v115, 0, 32
	;; [unrolled: 1-line block ×25, first 2 shown]
	v_cmp_lt_u32_e64 s1, 51, v0
	s_waitcnt vmcnt(0)
	ds_store_b64 v112, v[109:110]
	s_waitcnt lgkmcnt(0)
	s_waitcnt_vscnt null, 0x0
	s_barrier
	buffer_gl0_inv
	s_and_saveexec_b32 s3, s1
	s_cbranch_execz .LBB117_18
; %bb.11:
	s_and_not1_b32 vcc_lo, exec_lo, s2
	s_cbranch_vccnz .LBB117_13
; %bb.12:
	scratch_load_b64 v[109:110], v113, off
	ds_load_b64 v[139:140], v112
	s_waitcnt vmcnt(0) lgkmcnt(0)
	v_mul_f64 v[109:110], v[109:110], v[139:140]
	s_cbranch_execz .LBB117_14
	s_branch .LBB117_15
.LBB117_13:
                                        ; implicit-def: $vgpr109_vgpr110
.LBB117_14:
	ds_load_b64 v[109:110], v112
.LBB117_15:
	s_and_saveexec_b32 s4, s0
	s_cbranch_execz .LBB117_17
; %bb.16:
	scratch_load_b64 v[139:140], off, off offset:416
	v_mov_b32_e32 v141, 0
	ds_load_b64 v[141:142], v141 offset:848
	s_waitcnt vmcnt(0) lgkmcnt(0)
	v_fma_f64 v[109:110], v[139:140], v[141:142], v[109:110]
.LBB117_17:
	s_or_b32 exec_lo, exec_lo, s4
	v_mov_b32_e32 v139, 0
	ds_load_b64 v[139:140], v139 offset:408
	s_waitcnt lgkmcnt(0)
	v_mul_f64 v[109:110], v[109:110], v[139:140]
	scratch_store_b64 off, v[109:110], off offset:408
.LBB117_18:
	s_or_b32 exec_lo, exec_lo, s3
	scratch_load_b64 v[109:110], off, off offset:400
	v_cmp_lt_u32_e64 s0, 50, v0
	s_waitcnt vmcnt(0)
	ds_store_b64 v112, v[109:110]
	s_waitcnt lgkmcnt(0)
	s_waitcnt_vscnt null, 0x0
	s_barrier
	buffer_gl0_inv
	s_and_saveexec_b32 s3, s0
	s_cbranch_execz .LBB117_28
; %bb.19:
	s_and_not1_b32 vcc_lo, exec_lo, s2
	s_cbranch_vccnz .LBB117_21
; %bb.20:
	scratch_load_b64 v[109:110], v113, off
	ds_load_b64 v[139:140], v112
	s_waitcnt vmcnt(0) lgkmcnt(0)
	v_mul_f64 v[109:110], v[109:110], v[139:140]
	s_cbranch_execz .LBB117_22
	s_branch .LBB117_23
.LBB117_21:
                                        ; implicit-def: $vgpr109_vgpr110
.LBB117_22:
	ds_load_b64 v[109:110], v112
.LBB117_23:
	s_and_saveexec_b32 s4, s1
	s_cbranch_execz .LBB117_27
; %bb.24:
	v_mov_b32_e32 v139, 0
	v_subrev_nc_u32_e32 v140, 51, v0
	s_movk_i32 s5, 0x348
	s_mov_b32 s1, 0
	s_delay_alu instid0(VALU_DEP_2)
	v_add_nc_u32_e32 v139, 0x198, v139
.LBB117_25:                             ; =>This Inner Loop Header: Depth=1
	scratch_load_b64 v[141:142], v139, off
	v_dual_mov_b32 v143, s5 :: v_dual_add_nc_u32 v140, -1, v140
	v_add_nc_u32_e32 v139, 8, v139
	s_add_i32 s5, s5, 8
	ds_load_b64 v[143:144], v143
	v_cmp_eq_u32_e32 vcc_lo, 0, v140
	s_or_b32 s1, vcc_lo, s1
	s_waitcnt vmcnt(0) lgkmcnt(0)
	v_fma_f64 v[109:110], v[141:142], v[143:144], v[109:110]
	s_and_not1_b32 exec_lo, exec_lo, s1
	s_cbranch_execnz .LBB117_25
; %bb.26:
	s_or_b32 exec_lo, exec_lo, s1
.LBB117_27:
	s_delay_alu instid0(SALU_CYCLE_1)
	s_or_b32 exec_lo, exec_lo, s4
	v_mov_b32_e32 v139, 0
	ds_load_b64 v[139:140], v139 offset:400
	s_waitcnt lgkmcnt(0)
	v_mul_f64 v[109:110], v[109:110], v[139:140]
	scratch_store_b64 off, v[109:110], off offset:400
.LBB117_28:
	s_or_b32 exec_lo, exec_lo, s3
	scratch_load_b64 v[109:110], off, off offset:392
	v_cmp_lt_u32_e64 s1, 49, v0
	s_waitcnt vmcnt(0)
	ds_store_b64 v112, v[109:110]
	s_waitcnt lgkmcnt(0)
	s_waitcnt_vscnt null, 0x0
	s_barrier
	buffer_gl0_inv
	s_and_saveexec_b32 s3, s1
	s_cbranch_execz .LBB117_38
; %bb.29:
	s_and_not1_b32 vcc_lo, exec_lo, s2
	s_cbranch_vccnz .LBB117_31
; %bb.30:
	scratch_load_b64 v[109:110], v113, off
	ds_load_b64 v[139:140], v112
	s_waitcnt vmcnt(0) lgkmcnt(0)
	v_mul_f64 v[109:110], v[109:110], v[139:140]
	s_cbranch_execz .LBB117_32
	s_branch .LBB117_33
.LBB117_31:
                                        ; implicit-def: $vgpr109_vgpr110
.LBB117_32:
	ds_load_b64 v[109:110], v112
.LBB117_33:
	s_and_saveexec_b32 s4, s0
	s_cbranch_execz .LBB117_37
; %bb.34:
	v_subrev_nc_u32_e32 v139, 50, v0
	s_movk_i32 s5, 0x340
	s_mov_b32 s0, 0
.LBB117_35:                             ; =>This Inner Loop Header: Depth=1
	scratch_load_b64 v[140:141], v138, off
	v_dual_mov_b32 v142, s5 :: v_dual_add_nc_u32 v139, -1, v139
	v_add_nc_u32_e32 v138, 8, v138
	s_add_i32 s5, s5, 8
	ds_load_b64 v[142:143], v142
	v_cmp_eq_u32_e32 vcc_lo, 0, v139
	s_or_b32 s0, vcc_lo, s0
	s_waitcnt vmcnt(0) lgkmcnt(0)
	v_fma_f64 v[109:110], v[140:141], v[142:143], v[109:110]
	s_and_not1_b32 exec_lo, exec_lo, s0
	s_cbranch_execnz .LBB117_35
; %bb.36:
	s_or_b32 exec_lo, exec_lo, s0
.LBB117_37:
	s_delay_alu instid0(SALU_CYCLE_1)
	s_or_b32 exec_lo, exec_lo, s4
	v_mov_b32_e32 v138, 0
	ds_load_b64 v[138:139], v138 offset:392
	s_waitcnt lgkmcnt(0)
	v_mul_f64 v[109:110], v[109:110], v[138:139]
	scratch_store_b64 off, v[109:110], off offset:392
.LBB117_38:
	s_or_b32 exec_lo, exec_lo, s3
	scratch_load_b64 v[109:110], off, off offset:384
	v_cmp_lt_u32_e64 s0, 48, v0
	s_waitcnt vmcnt(0)
	ds_store_b64 v112, v[109:110]
	s_waitcnt lgkmcnt(0)
	s_waitcnt_vscnt null, 0x0
	s_barrier
	buffer_gl0_inv
	s_and_saveexec_b32 s3, s0
	s_cbranch_execz .LBB117_48
; %bb.39:
	s_and_not1_b32 vcc_lo, exec_lo, s2
	s_cbranch_vccnz .LBB117_41
; %bb.40:
	scratch_load_b64 v[109:110], v113, off
	ds_load_b64 v[138:139], v112
	s_waitcnt vmcnt(0) lgkmcnt(0)
	v_mul_f64 v[109:110], v[109:110], v[138:139]
	s_cbranch_execz .LBB117_42
	s_branch .LBB117_43
.LBB117_41:
                                        ; implicit-def: $vgpr109_vgpr110
.LBB117_42:
	ds_load_b64 v[109:110], v112
.LBB117_43:
	s_and_saveexec_b32 s4, s1
	s_cbranch_execz .LBB117_47
; %bb.44:
	v_mov_b32_e32 v138, 0
	v_subrev_nc_u32_e32 v139, 49, v0
	s_movk_i32 s5, 0x338
	s_mov_b32 s1, 0
	s_delay_alu instid0(VALU_DEP_2)
	v_add_nc_u32_e32 v138, 0x188, v138
.LBB117_45:                             ; =>This Inner Loop Header: Depth=1
	scratch_load_b64 v[140:141], v138, off
	v_dual_mov_b32 v142, s5 :: v_dual_add_nc_u32 v139, -1, v139
	v_add_nc_u32_e32 v138, 8, v138
	s_add_i32 s5, s5, 8
	ds_load_b64 v[142:143], v142
	v_cmp_eq_u32_e32 vcc_lo, 0, v139
	s_or_b32 s1, vcc_lo, s1
	s_waitcnt vmcnt(0) lgkmcnt(0)
	v_fma_f64 v[109:110], v[140:141], v[142:143], v[109:110]
	s_and_not1_b32 exec_lo, exec_lo, s1
	s_cbranch_execnz .LBB117_45
; %bb.46:
	s_or_b32 exec_lo, exec_lo, s1
.LBB117_47:
	s_delay_alu instid0(SALU_CYCLE_1)
	s_or_b32 exec_lo, exec_lo, s4
	v_mov_b32_e32 v138, 0
	ds_load_b64 v[138:139], v138 offset:384
	s_waitcnt lgkmcnt(0)
	v_mul_f64 v[109:110], v[109:110], v[138:139]
	scratch_store_b64 off, v[109:110], off offset:384
.LBB117_48:
	s_or_b32 exec_lo, exec_lo, s3
	scratch_load_b64 v[109:110], off, off offset:376
	v_cmp_lt_u32_e64 s1, 47, v0
	s_waitcnt vmcnt(0)
	ds_store_b64 v112, v[109:110]
	s_waitcnt lgkmcnt(0)
	s_waitcnt_vscnt null, 0x0
	s_barrier
	buffer_gl0_inv
	s_and_saveexec_b32 s3, s1
	s_cbranch_execz .LBB117_58
; %bb.49:
	s_and_not1_b32 vcc_lo, exec_lo, s2
	s_cbranch_vccnz .LBB117_51
; %bb.50:
	scratch_load_b64 v[109:110], v113, off
	ds_load_b64 v[138:139], v112
	s_waitcnt vmcnt(0) lgkmcnt(0)
	v_mul_f64 v[109:110], v[109:110], v[138:139]
	s_cbranch_execz .LBB117_52
	s_branch .LBB117_53
.LBB117_51:
                                        ; implicit-def: $vgpr109_vgpr110
.LBB117_52:
	ds_load_b64 v[109:110], v112
.LBB117_53:
	s_and_saveexec_b32 s4, s0
	s_cbranch_execz .LBB117_57
; %bb.54:
	v_subrev_nc_u32_e32 v138, 48, v0
	s_movk_i32 s5, 0x330
	s_mov_b32 s0, 0
.LBB117_55:                             ; =>This Inner Loop Header: Depth=1
	scratch_load_b64 v[139:140], v137, off
	v_dual_mov_b32 v141, s5 :: v_dual_add_nc_u32 v138, -1, v138
	v_add_nc_u32_e32 v137, 8, v137
	s_add_i32 s5, s5, 8
	ds_load_b64 v[141:142], v141
	v_cmp_eq_u32_e32 vcc_lo, 0, v138
	s_or_b32 s0, vcc_lo, s0
	s_waitcnt vmcnt(0) lgkmcnt(0)
	v_fma_f64 v[109:110], v[139:140], v[141:142], v[109:110]
	s_and_not1_b32 exec_lo, exec_lo, s0
	s_cbranch_execnz .LBB117_55
; %bb.56:
	s_or_b32 exec_lo, exec_lo, s0
.LBB117_57:
	s_delay_alu instid0(SALU_CYCLE_1)
	s_or_b32 exec_lo, exec_lo, s4
	v_mov_b32_e32 v137, 0
	ds_load_b64 v[137:138], v137 offset:376
	s_waitcnt lgkmcnt(0)
	v_mul_f64 v[109:110], v[109:110], v[137:138]
	scratch_store_b64 off, v[109:110], off offset:376
.LBB117_58:
	s_or_b32 exec_lo, exec_lo, s3
	scratch_load_b64 v[109:110], off, off offset:368
	v_cmp_lt_u32_e64 s0, 46, v0
	s_waitcnt vmcnt(0)
	ds_store_b64 v112, v[109:110]
	s_waitcnt lgkmcnt(0)
	s_waitcnt_vscnt null, 0x0
	s_barrier
	buffer_gl0_inv
	s_and_saveexec_b32 s3, s0
	s_cbranch_execz .LBB117_68
; %bb.59:
	s_and_not1_b32 vcc_lo, exec_lo, s2
	s_cbranch_vccnz .LBB117_61
; %bb.60:
	scratch_load_b64 v[109:110], v113, off
	ds_load_b64 v[137:138], v112
	s_waitcnt vmcnt(0) lgkmcnt(0)
	v_mul_f64 v[109:110], v[109:110], v[137:138]
	s_cbranch_execz .LBB117_62
	s_branch .LBB117_63
.LBB117_61:
                                        ; implicit-def: $vgpr109_vgpr110
.LBB117_62:
	ds_load_b64 v[109:110], v112
.LBB117_63:
	s_and_saveexec_b32 s4, s1
	s_cbranch_execz .LBB117_67
; %bb.64:
	v_mov_b32_e32 v137, 0
	v_subrev_nc_u32_e32 v138, 47, v0
	s_movk_i32 s5, 0x328
	s_mov_b32 s1, 0
	s_delay_alu instid0(VALU_DEP_2)
	v_add_nc_u32_e32 v137, 0x178, v137
.LBB117_65:                             ; =>This Inner Loop Header: Depth=1
	scratch_load_b64 v[139:140], v137, off
	v_dual_mov_b32 v141, s5 :: v_dual_add_nc_u32 v138, -1, v138
	v_add_nc_u32_e32 v137, 8, v137
	s_add_i32 s5, s5, 8
	ds_load_b64 v[141:142], v141
	v_cmp_eq_u32_e32 vcc_lo, 0, v138
	s_or_b32 s1, vcc_lo, s1
	s_waitcnt vmcnt(0) lgkmcnt(0)
	v_fma_f64 v[109:110], v[139:140], v[141:142], v[109:110]
	s_and_not1_b32 exec_lo, exec_lo, s1
	s_cbranch_execnz .LBB117_65
; %bb.66:
	s_or_b32 exec_lo, exec_lo, s1
.LBB117_67:
	s_delay_alu instid0(SALU_CYCLE_1)
	s_or_b32 exec_lo, exec_lo, s4
	v_mov_b32_e32 v137, 0
	ds_load_b64 v[137:138], v137 offset:368
	s_waitcnt lgkmcnt(0)
	v_mul_f64 v[109:110], v[109:110], v[137:138]
	scratch_store_b64 off, v[109:110], off offset:368
.LBB117_68:
	s_or_b32 exec_lo, exec_lo, s3
	scratch_load_b64 v[109:110], off, off offset:360
	v_cmp_lt_u32_e64 s1, 45, v0
	s_waitcnt vmcnt(0)
	ds_store_b64 v112, v[109:110]
	s_waitcnt lgkmcnt(0)
	s_waitcnt_vscnt null, 0x0
	s_barrier
	buffer_gl0_inv
	s_and_saveexec_b32 s3, s1
	s_cbranch_execz .LBB117_78
; %bb.69:
	s_and_not1_b32 vcc_lo, exec_lo, s2
	s_cbranch_vccnz .LBB117_71
; %bb.70:
	scratch_load_b64 v[109:110], v113, off
	ds_load_b64 v[137:138], v112
	s_waitcnt vmcnt(0) lgkmcnt(0)
	v_mul_f64 v[109:110], v[109:110], v[137:138]
	s_cbranch_execz .LBB117_72
	s_branch .LBB117_73
.LBB117_71:
                                        ; implicit-def: $vgpr109_vgpr110
.LBB117_72:
	ds_load_b64 v[109:110], v112
.LBB117_73:
	s_and_saveexec_b32 s4, s0
	s_cbranch_execz .LBB117_77
; %bb.74:
	v_subrev_nc_u32_e32 v137, 46, v0
	s_movk_i32 s5, 0x320
	s_mov_b32 s0, 0
.LBB117_75:                             ; =>This Inner Loop Header: Depth=1
	scratch_load_b64 v[138:139], v136, off
	v_dual_mov_b32 v140, s5 :: v_dual_add_nc_u32 v137, -1, v137
	v_add_nc_u32_e32 v136, 8, v136
	s_add_i32 s5, s5, 8
	ds_load_b64 v[140:141], v140
	v_cmp_eq_u32_e32 vcc_lo, 0, v137
	s_or_b32 s0, vcc_lo, s0
	s_waitcnt vmcnt(0) lgkmcnt(0)
	v_fma_f64 v[109:110], v[138:139], v[140:141], v[109:110]
	s_and_not1_b32 exec_lo, exec_lo, s0
	s_cbranch_execnz .LBB117_75
; %bb.76:
	s_or_b32 exec_lo, exec_lo, s0
.LBB117_77:
	s_delay_alu instid0(SALU_CYCLE_1)
	s_or_b32 exec_lo, exec_lo, s4
	v_mov_b32_e32 v136, 0
	ds_load_b64 v[136:137], v136 offset:360
	s_waitcnt lgkmcnt(0)
	v_mul_f64 v[109:110], v[109:110], v[136:137]
	scratch_store_b64 off, v[109:110], off offset:360
.LBB117_78:
	s_or_b32 exec_lo, exec_lo, s3
	scratch_load_b64 v[109:110], off, off offset:352
	v_cmp_lt_u32_e64 s0, 44, v0
	s_waitcnt vmcnt(0)
	ds_store_b64 v112, v[109:110]
	s_waitcnt lgkmcnt(0)
	s_waitcnt_vscnt null, 0x0
	s_barrier
	buffer_gl0_inv
	s_and_saveexec_b32 s3, s0
	s_cbranch_execz .LBB117_88
; %bb.79:
	s_and_not1_b32 vcc_lo, exec_lo, s2
	s_cbranch_vccnz .LBB117_81
; %bb.80:
	scratch_load_b64 v[109:110], v113, off
	ds_load_b64 v[136:137], v112
	s_waitcnt vmcnt(0) lgkmcnt(0)
	v_mul_f64 v[109:110], v[109:110], v[136:137]
	s_cbranch_execz .LBB117_82
	s_branch .LBB117_83
.LBB117_81:
                                        ; implicit-def: $vgpr109_vgpr110
.LBB117_82:
	ds_load_b64 v[109:110], v112
.LBB117_83:
	s_and_saveexec_b32 s4, s1
	s_cbranch_execz .LBB117_87
; %bb.84:
	v_mov_b32_e32 v136, 0
	v_subrev_nc_u32_e32 v137, 45, v0
	s_movk_i32 s5, 0x318
	s_mov_b32 s1, 0
	s_delay_alu instid0(VALU_DEP_2)
	v_add_nc_u32_e32 v136, 0x168, v136
.LBB117_85:                             ; =>This Inner Loop Header: Depth=1
	scratch_load_b64 v[138:139], v136, off
	v_dual_mov_b32 v140, s5 :: v_dual_add_nc_u32 v137, -1, v137
	v_add_nc_u32_e32 v136, 8, v136
	s_add_i32 s5, s5, 8
	ds_load_b64 v[140:141], v140
	v_cmp_eq_u32_e32 vcc_lo, 0, v137
	s_or_b32 s1, vcc_lo, s1
	s_waitcnt vmcnt(0) lgkmcnt(0)
	v_fma_f64 v[109:110], v[138:139], v[140:141], v[109:110]
	s_and_not1_b32 exec_lo, exec_lo, s1
	s_cbranch_execnz .LBB117_85
; %bb.86:
	s_or_b32 exec_lo, exec_lo, s1
.LBB117_87:
	s_delay_alu instid0(SALU_CYCLE_1)
	s_or_b32 exec_lo, exec_lo, s4
	v_mov_b32_e32 v136, 0
	ds_load_b64 v[136:137], v136 offset:352
	s_waitcnt lgkmcnt(0)
	v_mul_f64 v[109:110], v[109:110], v[136:137]
	scratch_store_b64 off, v[109:110], off offset:352
.LBB117_88:
	s_or_b32 exec_lo, exec_lo, s3
	scratch_load_b64 v[109:110], off, off offset:344
	v_cmp_lt_u32_e64 s1, 43, v0
	s_waitcnt vmcnt(0)
	ds_store_b64 v112, v[109:110]
	s_waitcnt lgkmcnt(0)
	s_waitcnt_vscnt null, 0x0
	s_barrier
	buffer_gl0_inv
	s_and_saveexec_b32 s3, s1
	s_cbranch_execz .LBB117_98
; %bb.89:
	s_and_not1_b32 vcc_lo, exec_lo, s2
	s_cbranch_vccnz .LBB117_91
; %bb.90:
	scratch_load_b64 v[109:110], v113, off
	ds_load_b64 v[136:137], v112
	s_waitcnt vmcnt(0) lgkmcnt(0)
	v_mul_f64 v[109:110], v[109:110], v[136:137]
	s_cbranch_execz .LBB117_92
	s_branch .LBB117_93
.LBB117_91:
                                        ; implicit-def: $vgpr109_vgpr110
.LBB117_92:
	ds_load_b64 v[109:110], v112
.LBB117_93:
	s_and_saveexec_b32 s4, s0
	s_cbranch_execz .LBB117_97
; %bb.94:
	v_subrev_nc_u32_e32 v136, 44, v0
	s_movk_i32 s5, 0x310
	s_mov_b32 s0, 0
.LBB117_95:                             ; =>This Inner Loop Header: Depth=1
	scratch_load_b64 v[137:138], v135, off
	v_dual_mov_b32 v139, s5 :: v_dual_add_nc_u32 v136, -1, v136
	v_add_nc_u32_e32 v135, 8, v135
	s_add_i32 s5, s5, 8
	ds_load_b64 v[139:140], v139
	v_cmp_eq_u32_e32 vcc_lo, 0, v136
	s_or_b32 s0, vcc_lo, s0
	s_waitcnt vmcnt(0) lgkmcnt(0)
	v_fma_f64 v[109:110], v[137:138], v[139:140], v[109:110]
	s_and_not1_b32 exec_lo, exec_lo, s0
	s_cbranch_execnz .LBB117_95
; %bb.96:
	s_or_b32 exec_lo, exec_lo, s0
.LBB117_97:
	s_delay_alu instid0(SALU_CYCLE_1)
	s_or_b32 exec_lo, exec_lo, s4
	v_mov_b32_e32 v135, 0
	ds_load_b64 v[135:136], v135 offset:344
	s_waitcnt lgkmcnt(0)
	v_mul_f64 v[109:110], v[109:110], v[135:136]
	scratch_store_b64 off, v[109:110], off offset:344
.LBB117_98:
	s_or_b32 exec_lo, exec_lo, s3
	scratch_load_b64 v[109:110], off, off offset:336
	v_cmp_lt_u32_e64 s0, 42, v0
	s_waitcnt vmcnt(0)
	ds_store_b64 v112, v[109:110]
	s_waitcnt lgkmcnt(0)
	s_waitcnt_vscnt null, 0x0
	s_barrier
	buffer_gl0_inv
	s_and_saveexec_b32 s3, s0
	s_cbranch_execz .LBB117_108
; %bb.99:
	s_and_not1_b32 vcc_lo, exec_lo, s2
	s_cbranch_vccnz .LBB117_101
; %bb.100:
	scratch_load_b64 v[109:110], v113, off
	ds_load_b64 v[135:136], v112
	s_waitcnt vmcnt(0) lgkmcnt(0)
	v_mul_f64 v[109:110], v[109:110], v[135:136]
	s_cbranch_execz .LBB117_102
	s_branch .LBB117_103
.LBB117_101:
                                        ; implicit-def: $vgpr109_vgpr110
.LBB117_102:
	ds_load_b64 v[109:110], v112
.LBB117_103:
	s_and_saveexec_b32 s4, s1
	s_cbranch_execz .LBB117_107
; %bb.104:
	v_mov_b32_e32 v135, 0
	v_subrev_nc_u32_e32 v136, 43, v0
	s_movk_i32 s5, 0x308
	s_mov_b32 s1, 0
	s_delay_alu instid0(VALU_DEP_2)
	v_add_nc_u32_e32 v135, 0x158, v135
.LBB117_105:                            ; =>This Inner Loop Header: Depth=1
	scratch_load_b64 v[137:138], v135, off
	v_dual_mov_b32 v139, s5 :: v_dual_add_nc_u32 v136, -1, v136
	v_add_nc_u32_e32 v135, 8, v135
	s_add_i32 s5, s5, 8
	ds_load_b64 v[139:140], v139
	v_cmp_eq_u32_e32 vcc_lo, 0, v136
	s_or_b32 s1, vcc_lo, s1
	s_waitcnt vmcnt(0) lgkmcnt(0)
	v_fma_f64 v[109:110], v[137:138], v[139:140], v[109:110]
	s_and_not1_b32 exec_lo, exec_lo, s1
	s_cbranch_execnz .LBB117_105
; %bb.106:
	s_or_b32 exec_lo, exec_lo, s1
.LBB117_107:
	s_delay_alu instid0(SALU_CYCLE_1)
	s_or_b32 exec_lo, exec_lo, s4
	v_mov_b32_e32 v135, 0
	ds_load_b64 v[135:136], v135 offset:336
	s_waitcnt lgkmcnt(0)
	v_mul_f64 v[109:110], v[109:110], v[135:136]
	scratch_store_b64 off, v[109:110], off offset:336
.LBB117_108:
	s_or_b32 exec_lo, exec_lo, s3
	scratch_load_b64 v[109:110], off, off offset:328
	v_cmp_lt_u32_e64 s1, 41, v0
	s_waitcnt vmcnt(0)
	ds_store_b64 v112, v[109:110]
	s_waitcnt lgkmcnt(0)
	s_waitcnt_vscnt null, 0x0
	s_barrier
	buffer_gl0_inv
	s_and_saveexec_b32 s3, s1
	s_cbranch_execz .LBB117_118
; %bb.109:
	s_and_not1_b32 vcc_lo, exec_lo, s2
	s_cbranch_vccnz .LBB117_111
; %bb.110:
	scratch_load_b64 v[109:110], v113, off
	ds_load_b64 v[135:136], v112
	s_waitcnt vmcnt(0) lgkmcnt(0)
	v_mul_f64 v[109:110], v[109:110], v[135:136]
	s_cbranch_execz .LBB117_112
	s_branch .LBB117_113
.LBB117_111:
                                        ; implicit-def: $vgpr109_vgpr110
.LBB117_112:
	ds_load_b64 v[109:110], v112
.LBB117_113:
	s_and_saveexec_b32 s4, s0
	s_cbranch_execz .LBB117_117
; %bb.114:
	v_subrev_nc_u32_e32 v135, 42, v0
	s_movk_i32 s5, 0x300
	s_mov_b32 s0, 0
.LBB117_115:                            ; =>This Inner Loop Header: Depth=1
	scratch_load_b64 v[136:137], v134, off
	v_dual_mov_b32 v138, s5 :: v_dual_add_nc_u32 v135, -1, v135
	v_add_nc_u32_e32 v134, 8, v134
	s_add_i32 s5, s5, 8
	ds_load_b64 v[138:139], v138
	v_cmp_eq_u32_e32 vcc_lo, 0, v135
	s_or_b32 s0, vcc_lo, s0
	s_waitcnt vmcnt(0) lgkmcnt(0)
	v_fma_f64 v[109:110], v[136:137], v[138:139], v[109:110]
	s_and_not1_b32 exec_lo, exec_lo, s0
	s_cbranch_execnz .LBB117_115
; %bb.116:
	s_or_b32 exec_lo, exec_lo, s0
.LBB117_117:
	s_delay_alu instid0(SALU_CYCLE_1)
	s_or_b32 exec_lo, exec_lo, s4
	v_mov_b32_e32 v134, 0
	ds_load_b64 v[134:135], v134 offset:328
	s_waitcnt lgkmcnt(0)
	v_mul_f64 v[109:110], v[109:110], v[134:135]
	scratch_store_b64 off, v[109:110], off offset:328
.LBB117_118:
	s_or_b32 exec_lo, exec_lo, s3
	scratch_load_b64 v[109:110], off, off offset:320
	v_cmp_lt_u32_e64 s0, 40, v0
	s_waitcnt vmcnt(0)
	ds_store_b64 v112, v[109:110]
	s_waitcnt lgkmcnt(0)
	s_waitcnt_vscnt null, 0x0
	s_barrier
	buffer_gl0_inv
	s_and_saveexec_b32 s3, s0
	s_cbranch_execz .LBB117_128
; %bb.119:
	s_and_not1_b32 vcc_lo, exec_lo, s2
	s_cbranch_vccnz .LBB117_121
; %bb.120:
	scratch_load_b64 v[109:110], v113, off
	ds_load_b64 v[134:135], v112
	s_waitcnt vmcnt(0) lgkmcnt(0)
	v_mul_f64 v[109:110], v[109:110], v[134:135]
	s_cbranch_execz .LBB117_122
	s_branch .LBB117_123
.LBB117_121:
                                        ; implicit-def: $vgpr109_vgpr110
.LBB117_122:
	ds_load_b64 v[109:110], v112
.LBB117_123:
	s_and_saveexec_b32 s4, s1
	s_cbranch_execz .LBB117_127
; %bb.124:
	v_mov_b32_e32 v134, 0
	v_subrev_nc_u32_e32 v135, 41, v0
	s_movk_i32 s5, 0x2f8
	s_mov_b32 s1, 0
	s_delay_alu instid0(VALU_DEP_2)
	v_add_nc_u32_e32 v134, 0x148, v134
.LBB117_125:                            ; =>This Inner Loop Header: Depth=1
	scratch_load_b64 v[136:137], v134, off
	v_dual_mov_b32 v138, s5 :: v_dual_add_nc_u32 v135, -1, v135
	v_add_nc_u32_e32 v134, 8, v134
	s_add_i32 s5, s5, 8
	ds_load_b64 v[138:139], v138
	v_cmp_eq_u32_e32 vcc_lo, 0, v135
	s_or_b32 s1, vcc_lo, s1
	s_waitcnt vmcnt(0) lgkmcnt(0)
	v_fma_f64 v[109:110], v[136:137], v[138:139], v[109:110]
	s_and_not1_b32 exec_lo, exec_lo, s1
	s_cbranch_execnz .LBB117_125
; %bb.126:
	s_or_b32 exec_lo, exec_lo, s1
.LBB117_127:
	s_delay_alu instid0(SALU_CYCLE_1)
	s_or_b32 exec_lo, exec_lo, s4
	v_mov_b32_e32 v134, 0
	ds_load_b64 v[134:135], v134 offset:320
	s_waitcnt lgkmcnt(0)
	v_mul_f64 v[109:110], v[109:110], v[134:135]
	scratch_store_b64 off, v[109:110], off offset:320
.LBB117_128:
	s_or_b32 exec_lo, exec_lo, s3
	scratch_load_b64 v[109:110], off, off offset:312
	v_cmp_lt_u32_e64 s1, 39, v0
	s_waitcnt vmcnt(0)
	ds_store_b64 v112, v[109:110]
	s_waitcnt lgkmcnt(0)
	s_waitcnt_vscnt null, 0x0
	s_barrier
	buffer_gl0_inv
	s_and_saveexec_b32 s3, s1
	s_cbranch_execz .LBB117_138
; %bb.129:
	s_and_not1_b32 vcc_lo, exec_lo, s2
	s_cbranch_vccnz .LBB117_131
; %bb.130:
	scratch_load_b64 v[109:110], v113, off
	ds_load_b64 v[134:135], v112
	s_waitcnt vmcnt(0) lgkmcnt(0)
	v_mul_f64 v[109:110], v[109:110], v[134:135]
	s_cbranch_execz .LBB117_132
	s_branch .LBB117_133
.LBB117_131:
                                        ; implicit-def: $vgpr109_vgpr110
.LBB117_132:
	ds_load_b64 v[109:110], v112
.LBB117_133:
	s_and_saveexec_b32 s4, s0
	s_cbranch_execz .LBB117_137
; %bb.134:
	v_subrev_nc_u32_e32 v134, 40, v0
	s_movk_i32 s5, 0x2f0
	s_mov_b32 s0, 0
.LBB117_135:                            ; =>This Inner Loop Header: Depth=1
	scratch_load_b64 v[135:136], v133, off
	v_dual_mov_b32 v137, s5 :: v_dual_add_nc_u32 v134, -1, v134
	v_add_nc_u32_e32 v133, 8, v133
	s_add_i32 s5, s5, 8
	ds_load_b64 v[137:138], v137
	v_cmp_eq_u32_e32 vcc_lo, 0, v134
	s_or_b32 s0, vcc_lo, s0
	s_waitcnt vmcnt(0) lgkmcnt(0)
	v_fma_f64 v[109:110], v[135:136], v[137:138], v[109:110]
	s_and_not1_b32 exec_lo, exec_lo, s0
	s_cbranch_execnz .LBB117_135
; %bb.136:
	s_or_b32 exec_lo, exec_lo, s0
.LBB117_137:
	s_delay_alu instid0(SALU_CYCLE_1)
	s_or_b32 exec_lo, exec_lo, s4
	v_mov_b32_e32 v133, 0
	ds_load_b64 v[133:134], v133 offset:312
	s_waitcnt lgkmcnt(0)
	v_mul_f64 v[109:110], v[109:110], v[133:134]
	scratch_store_b64 off, v[109:110], off offset:312
.LBB117_138:
	s_or_b32 exec_lo, exec_lo, s3
	scratch_load_b64 v[109:110], off, off offset:304
	v_cmp_lt_u32_e64 s0, 38, v0
	s_waitcnt vmcnt(0)
	ds_store_b64 v112, v[109:110]
	s_waitcnt lgkmcnt(0)
	s_waitcnt_vscnt null, 0x0
	s_barrier
	buffer_gl0_inv
	s_and_saveexec_b32 s3, s0
	s_cbranch_execz .LBB117_148
; %bb.139:
	s_and_not1_b32 vcc_lo, exec_lo, s2
	s_cbranch_vccnz .LBB117_141
; %bb.140:
	scratch_load_b64 v[109:110], v113, off
	ds_load_b64 v[133:134], v112
	s_waitcnt vmcnt(0) lgkmcnt(0)
	v_mul_f64 v[109:110], v[109:110], v[133:134]
	s_cbranch_execz .LBB117_142
	s_branch .LBB117_143
.LBB117_141:
                                        ; implicit-def: $vgpr109_vgpr110
.LBB117_142:
	ds_load_b64 v[109:110], v112
.LBB117_143:
	s_and_saveexec_b32 s4, s1
	s_cbranch_execz .LBB117_147
; %bb.144:
	v_mov_b32_e32 v133, 0
	v_subrev_nc_u32_e32 v134, 39, v0
	s_movk_i32 s5, 0x2e8
	s_mov_b32 s1, 0
	s_delay_alu instid0(VALU_DEP_2)
	v_add_nc_u32_e32 v133, 0x138, v133
.LBB117_145:                            ; =>This Inner Loop Header: Depth=1
	scratch_load_b64 v[135:136], v133, off
	v_dual_mov_b32 v137, s5 :: v_dual_add_nc_u32 v134, -1, v134
	v_add_nc_u32_e32 v133, 8, v133
	s_add_i32 s5, s5, 8
	ds_load_b64 v[137:138], v137
	v_cmp_eq_u32_e32 vcc_lo, 0, v134
	s_or_b32 s1, vcc_lo, s1
	s_waitcnt vmcnt(0) lgkmcnt(0)
	v_fma_f64 v[109:110], v[135:136], v[137:138], v[109:110]
	s_and_not1_b32 exec_lo, exec_lo, s1
	s_cbranch_execnz .LBB117_145
; %bb.146:
	s_or_b32 exec_lo, exec_lo, s1
.LBB117_147:
	s_delay_alu instid0(SALU_CYCLE_1)
	s_or_b32 exec_lo, exec_lo, s4
	v_mov_b32_e32 v133, 0
	ds_load_b64 v[133:134], v133 offset:304
	s_waitcnt lgkmcnt(0)
	v_mul_f64 v[109:110], v[109:110], v[133:134]
	scratch_store_b64 off, v[109:110], off offset:304
.LBB117_148:
	s_or_b32 exec_lo, exec_lo, s3
	scratch_load_b64 v[109:110], off, off offset:296
	v_cmp_lt_u32_e64 s1, 37, v0
	s_waitcnt vmcnt(0)
	ds_store_b64 v112, v[109:110]
	s_waitcnt lgkmcnt(0)
	s_waitcnt_vscnt null, 0x0
	s_barrier
	buffer_gl0_inv
	s_and_saveexec_b32 s3, s1
	s_cbranch_execz .LBB117_158
; %bb.149:
	s_and_not1_b32 vcc_lo, exec_lo, s2
	s_cbranch_vccnz .LBB117_151
; %bb.150:
	scratch_load_b64 v[109:110], v113, off
	ds_load_b64 v[133:134], v112
	s_waitcnt vmcnt(0) lgkmcnt(0)
	v_mul_f64 v[109:110], v[109:110], v[133:134]
	s_cbranch_execz .LBB117_152
	s_branch .LBB117_153
.LBB117_151:
                                        ; implicit-def: $vgpr109_vgpr110
.LBB117_152:
	ds_load_b64 v[109:110], v112
.LBB117_153:
	s_and_saveexec_b32 s4, s0
	s_cbranch_execz .LBB117_157
; %bb.154:
	v_subrev_nc_u32_e32 v133, 38, v0
	s_movk_i32 s5, 0x2e0
	s_mov_b32 s0, 0
.LBB117_155:                            ; =>This Inner Loop Header: Depth=1
	scratch_load_b64 v[134:135], v132, off
	v_dual_mov_b32 v136, s5 :: v_dual_add_nc_u32 v133, -1, v133
	v_add_nc_u32_e32 v132, 8, v132
	s_add_i32 s5, s5, 8
	ds_load_b64 v[136:137], v136
	v_cmp_eq_u32_e32 vcc_lo, 0, v133
	s_or_b32 s0, vcc_lo, s0
	s_waitcnt vmcnt(0) lgkmcnt(0)
	v_fma_f64 v[109:110], v[134:135], v[136:137], v[109:110]
	s_and_not1_b32 exec_lo, exec_lo, s0
	s_cbranch_execnz .LBB117_155
; %bb.156:
	s_or_b32 exec_lo, exec_lo, s0
.LBB117_157:
	s_delay_alu instid0(SALU_CYCLE_1)
	s_or_b32 exec_lo, exec_lo, s4
	v_mov_b32_e32 v132, 0
	ds_load_b64 v[132:133], v132 offset:296
	s_waitcnt lgkmcnt(0)
	v_mul_f64 v[109:110], v[109:110], v[132:133]
	scratch_store_b64 off, v[109:110], off offset:296
.LBB117_158:
	s_or_b32 exec_lo, exec_lo, s3
	scratch_load_b64 v[109:110], off, off offset:288
	v_cmp_lt_u32_e64 s0, 36, v0
	s_waitcnt vmcnt(0)
	ds_store_b64 v112, v[109:110]
	s_waitcnt lgkmcnt(0)
	s_waitcnt_vscnt null, 0x0
	s_barrier
	buffer_gl0_inv
	s_and_saveexec_b32 s3, s0
	s_cbranch_execz .LBB117_168
; %bb.159:
	s_and_not1_b32 vcc_lo, exec_lo, s2
	s_cbranch_vccnz .LBB117_161
; %bb.160:
	scratch_load_b64 v[109:110], v113, off
	ds_load_b64 v[132:133], v112
	s_waitcnt vmcnt(0) lgkmcnt(0)
	v_mul_f64 v[109:110], v[109:110], v[132:133]
	s_cbranch_execz .LBB117_162
	s_branch .LBB117_163
.LBB117_161:
                                        ; implicit-def: $vgpr109_vgpr110
.LBB117_162:
	ds_load_b64 v[109:110], v112
.LBB117_163:
	s_and_saveexec_b32 s4, s1
	s_cbranch_execz .LBB117_167
; %bb.164:
	v_mov_b32_e32 v132, 0
	v_subrev_nc_u32_e32 v133, 37, v0
	s_movk_i32 s5, 0x2d8
	s_mov_b32 s1, 0
	s_delay_alu instid0(VALU_DEP_2)
	v_add_nc_u32_e32 v132, 0x128, v132
.LBB117_165:                            ; =>This Inner Loop Header: Depth=1
	scratch_load_b64 v[134:135], v132, off
	v_dual_mov_b32 v136, s5 :: v_dual_add_nc_u32 v133, -1, v133
	v_add_nc_u32_e32 v132, 8, v132
	s_add_i32 s5, s5, 8
	ds_load_b64 v[136:137], v136
	v_cmp_eq_u32_e32 vcc_lo, 0, v133
	s_or_b32 s1, vcc_lo, s1
	s_waitcnt vmcnt(0) lgkmcnt(0)
	v_fma_f64 v[109:110], v[134:135], v[136:137], v[109:110]
	s_and_not1_b32 exec_lo, exec_lo, s1
	s_cbranch_execnz .LBB117_165
; %bb.166:
	s_or_b32 exec_lo, exec_lo, s1
.LBB117_167:
	s_delay_alu instid0(SALU_CYCLE_1)
	s_or_b32 exec_lo, exec_lo, s4
	v_mov_b32_e32 v132, 0
	ds_load_b64 v[132:133], v132 offset:288
	s_waitcnt lgkmcnt(0)
	v_mul_f64 v[109:110], v[109:110], v[132:133]
	scratch_store_b64 off, v[109:110], off offset:288
.LBB117_168:
	s_or_b32 exec_lo, exec_lo, s3
	scratch_load_b64 v[109:110], off, off offset:280
	v_cmp_lt_u32_e64 s1, 35, v0
	s_waitcnt vmcnt(0)
	ds_store_b64 v112, v[109:110]
	s_waitcnt lgkmcnt(0)
	s_waitcnt_vscnt null, 0x0
	s_barrier
	buffer_gl0_inv
	s_and_saveexec_b32 s3, s1
	s_cbranch_execz .LBB117_178
; %bb.169:
	s_and_not1_b32 vcc_lo, exec_lo, s2
	s_cbranch_vccnz .LBB117_171
; %bb.170:
	scratch_load_b64 v[109:110], v113, off
	ds_load_b64 v[132:133], v112
	s_waitcnt vmcnt(0) lgkmcnt(0)
	v_mul_f64 v[109:110], v[109:110], v[132:133]
	s_cbranch_execz .LBB117_172
	s_branch .LBB117_173
.LBB117_171:
                                        ; implicit-def: $vgpr109_vgpr110
.LBB117_172:
	ds_load_b64 v[109:110], v112
.LBB117_173:
	s_and_saveexec_b32 s4, s0
	s_cbranch_execz .LBB117_177
; %bb.174:
	v_subrev_nc_u32_e32 v132, 36, v0
	s_movk_i32 s5, 0x2d0
	s_mov_b32 s0, 0
.LBB117_175:                            ; =>This Inner Loop Header: Depth=1
	scratch_load_b64 v[133:134], v131, off
	v_dual_mov_b32 v135, s5 :: v_dual_add_nc_u32 v132, -1, v132
	v_add_nc_u32_e32 v131, 8, v131
	s_add_i32 s5, s5, 8
	ds_load_b64 v[135:136], v135
	v_cmp_eq_u32_e32 vcc_lo, 0, v132
	s_or_b32 s0, vcc_lo, s0
	s_waitcnt vmcnt(0) lgkmcnt(0)
	v_fma_f64 v[109:110], v[133:134], v[135:136], v[109:110]
	s_and_not1_b32 exec_lo, exec_lo, s0
	s_cbranch_execnz .LBB117_175
; %bb.176:
	s_or_b32 exec_lo, exec_lo, s0
.LBB117_177:
	s_delay_alu instid0(SALU_CYCLE_1)
	s_or_b32 exec_lo, exec_lo, s4
	v_mov_b32_e32 v131, 0
	ds_load_b64 v[131:132], v131 offset:280
	s_waitcnt lgkmcnt(0)
	v_mul_f64 v[109:110], v[109:110], v[131:132]
	scratch_store_b64 off, v[109:110], off offset:280
.LBB117_178:
	s_or_b32 exec_lo, exec_lo, s3
	scratch_load_b64 v[109:110], off, off offset:272
	v_cmp_lt_u32_e64 s0, 34, v0
	s_waitcnt vmcnt(0)
	ds_store_b64 v112, v[109:110]
	s_waitcnt lgkmcnt(0)
	s_waitcnt_vscnt null, 0x0
	s_barrier
	buffer_gl0_inv
	s_and_saveexec_b32 s3, s0
	s_cbranch_execz .LBB117_188
; %bb.179:
	s_and_not1_b32 vcc_lo, exec_lo, s2
	s_cbranch_vccnz .LBB117_181
; %bb.180:
	scratch_load_b64 v[109:110], v113, off
	ds_load_b64 v[131:132], v112
	s_waitcnt vmcnt(0) lgkmcnt(0)
	v_mul_f64 v[109:110], v[109:110], v[131:132]
	s_cbranch_execz .LBB117_182
	s_branch .LBB117_183
.LBB117_181:
                                        ; implicit-def: $vgpr109_vgpr110
.LBB117_182:
	ds_load_b64 v[109:110], v112
.LBB117_183:
	s_and_saveexec_b32 s4, s1
	s_cbranch_execz .LBB117_187
; %bb.184:
	v_mov_b32_e32 v131, 0
	v_subrev_nc_u32_e32 v132, 35, v0
	s_movk_i32 s5, 0x2c8
	s_mov_b32 s1, 0
	s_delay_alu instid0(VALU_DEP_2)
	v_add_nc_u32_e32 v131, 0x118, v131
.LBB117_185:                            ; =>This Inner Loop Header: Depth=1
	scratch_load_b64 v[133:134], v131, off
	v_dual_mov_b32 v135, s5 :: v_dual_add_nc_u32 v132, -1, v132
	v_add_nc_u32_e32 v131, 8, v131
	s_add_i32 s5, s5, 8
	ds_load_b64 v[135:136], v135
	v_cmp_eq_u32_e32 vcc_lo, 0, v132
	s_or_b32 s1, vcc_lo, s1
	s_waitcnt vmcnt(0) lgkmcnt(0)
	v_fma_f64 v[109:110], v[133:134], v[135:136], v[109:110]
	s_and_not1_b32 exec_lo, exec_lo, s1
	s_cbranch_execnz .LBB117_185
; %bb.186:
	s_or_b32 exec_lo, exec_lo, s1
.LBB117_187:
	s_delay_alu instid0(SALU_CYCLE_1)
	s_or_b32 exec_lo, exec_lo, s4
	v_mov_b32_e32 v131, 0
	ds_load_b64 v[131:132], v131 offset:272
	s_waitcnt lgkmcnt(0)
	v_mul_f64 v[109:110], v[109:110], v[131:132]
	scratch_store_b64 off, v[109:110], off offset:272
.LBB117_188:
	s_or_b32 exec_lo, exec_lo, s3
	scratch_load_b64 v[109:110], off, off offset:264
	v_cmp_lt_u32_e64 s1, 33, v0
	s_waitcnt vmcnt(0)
	ds_store_b64 v112, v[109:110]
	s_waitcnt lgkmcnt(0)
	s_waitcnt_vscnt null, 0x0
	s_barrier
	buffer_gl0_inv
	s_and_saveexec_b32 s3, s1
	s_cbranch_execz .LBB117_198
; %bb.189:
	s_and_not1_b32 vcc_lo, exec_lo, s2
	s_cbranch_vccnz .LBB117_191
; %bb.190:
	scratch_load_b64 v[109:110], v113, off
	ds_load_b64 v[131:132], v112
	s_waitcnt vmcnt(0) lgkmcnt(0)
	v_mul_f64 v[109:110], v[109:110], v[131:132]
	s_cbranch_execz .LBB117_192
	s_branch .LBB117_193
.LBB117_191:
                                        ; implicit-def: $vgpr109_vgpr110
.LBB117_192:
	ds_load_b64 v[109:110], v112
.LBB117_193:
	s_and_saveexec_b32 s4, s0
	s_cbranch_execz .LBB117_197
; %bb.194:
	v_subrev_nc_u32_e32 v131, 34, v0
	s_movk_i32 s5, 0x2c0
	s_mov_b32 s0, 0
.LBB117_195:                            ; =>This Inner Loop Header: Depth=1
	scratch_load_b64 v[132:133], v130, off
	v_dual_mov_b32 v134, s5 :: v_dual_add_nc_u32 v131, -1, v131
	v_add_nc_u32_e32 v130, 8, v130
	s_add_i32 s5, s5, 8
	ds_load_b64 v[134:135], v134
	v_cmp_eq_u32_e32 vcc_lo, 0, v131
	s_or_b32 s0, vcc_lo, s0
	s_waitcnt vmcnt(0) lgkmcnt(0)
	v_fma_f64 v[109:110], v[132:133], v[134:135], v[109:110]
	s_and_not1_b32 exec_lo, exec_lo, s0
	s_cbranch_execnz .LBB117_195
; %bb.196:
	s_or_b32 exec_lo, exec_lo, s0
.LBB117_197:
	s_delay_alu instid0(SALU_CYCLE_1)
	s_or_b32 exec_lo, exec_lo, s4
	v_mov_b32_e32 v130, 0
	ds_load_b64 v[130:131], v130 offset:264
	s_waitcnt lgkmcnt(0)
	v_mul_f64 v[109:110], v[109:110], v[130:131]
	scratch_store_b64 off, v[109:110], off offset:264
.LBB117_198:
	s_or_b32 exec_lo, exec_lo, s3
	scratch_load_b64 v[109:110], off, off offset:256
	v_cmp_lt_u32_e64 s0, 32, v0
	s_waitcnt vmcnt(0)
	ds_store_b64 v112, v[109:110]
	s_waitcnt lgkmcnt(0)
	s_waitcnt_vscnt null, 0x0
	s_barrier
	buffer_gl0_inv
	s_and_saveexec_b32 s3, s0
	s_cbranch_execz .LBB117_208
; %bb.199:
	s_and_not1_b32 vcc_lo, exec_lo, s2
	s_cbranch_vccnz .LBB117_201
; %bb.200:
	scratch_load_b64 v[109:110], v113, off
	ds_load_b64 v[130:131], v112
	s_waitcnt vmcnt(0) lgkmcnt(0)
	v_mul_f64 v[109:110], v[109:110], v[130:131]
	s_cbranch_execz .LBB117_202
	s_branch .LBB117_203
.LBB117_201:
                                        ; implicit-def: $vgpr109_vgpr110
.LBB117_202:
	ds_load_b64 v[109:110], v112
.LBB117_203:
	s_and_saveexec_b32 s4, s1
	s_cbranch_execz .LBB117_207
; %bb.204:
	v_mov_b32_e32 v130, 0
	v_subrev_nc_u32_e32 v131, 33, v0
	s_movk_i32 s5, 0x2b8
	s_mov_b32 s1, 0
	s_delay_alu instid0(VALU_DEP_2)
	v_add_nc_u32_e32 v130, 0x108, v130
.LBB117_205:                            ; =>This Inner Loop Header: Depth=1
	scratch_load_b64 v[132:133], v130, off
	v_dual_mov_b32 v134, s5 :: v_dual_add_nc_u32 v131, -1, v131
	v_add_nc_u32_e32 v130, 8, v130
	s_add_i32 s5, s5, 8
	ds_load_b64 v[134:135], v134
	v_cmp_eq_u32_e32 vcc_lo, 0, v131
	s_or_b32 s1, vcc_lo, s1
	s_waitcnt vmcnt(0) lgkmcnt(0)
	v_fma_f64 v[109:110], v[132:133], v[134:135], v[109:110]
	s_and_not1_b32 exec_lo, exec_lo, s1
	s_cbranch_execnz .LBB117_205
; %bb.206:
	s_or_b32 exec_lo, exec_lo, s1
.LBB117_207:
	s_delay_alu instid0(SALU_CYCLE_1)
	s_or_b32 exec_lo, exec_lo, s4
	v_mov_b32_e32 v130, 0
	ds_load_b64 v[130:131], v130 offset:256
	s_waitcnt lgkmcnt(0)
	v_mul_f64 v[109:110], v[109:110], v[130:131]
	scratch_store_b64 off, v[109:110], off offset:256
.LBB117_208:
	s_or_b32 exec_lo, exec_lo, s3
	scratch_load_b64 v[109:110], off, off offset:248
	v_cmp_lt_u32_e64 s1, 31, v0
	s_waitcnt vmcnt(0)
	ds_store_b64 v112, v[109:110]
	s_waitcnt lgkmcnt(0)
	s_waitcnt_vscnt null, 0x0
	s_barrier
	buffer_gl0_inv
	s_and_saveexec_b32 s3, s1
	s_cbranch_execz .LBB117_218
; %bb.209:
	s_and_not1_b32 vcc_lo, exec_lo, s2
	s_cbranch_vccnz .LBB117_211
; %bb.210:
	scratch_load_b64 v[109:110], v113, off
	ds_load_b64 v[130:131], v112
	s_waitcnt vmcnt(0) lgkmcnt(0)
	v_mul_f64 v[109:110], v[109:110], v[130:131]
	s_cbranch_execz .LBB117_212
	s_branch .LBB117_213
.LBB117_211:
                                        ; implicit-def: $vgpr109_vgpr110
.LBB117_212:
	ds_load_b64 v[109:110], v112
.LBB117_213:
	s_and_saveexec_b32 s4, s0
	s_cbranch_execz .LBB117_217
; %bb.214:
	v_subrev_nc_u32_e32 v130, 32, v0
	s_movk_i32 s5, 0x2b0
	s_mov_b32 s0, 0
.LBB117_215:                            ; =>This Inner Loop Header: Depth=1
	scratch_load_b64 v[131:132], v129, off
	v_dual_mov_b32 v133, s5 :: v_dual_add_nc_u32 v130, -1, v130
	v_add_nc_u32_e32 v129, 8, v129
	s_add_i32 s5, s5, 8
	ds_load_b64 v[133:134], v133
	v_cmp_eq_u32_e32 vcc_lo, 0, v130
	s_or_b32 s0, vcc_lo, s0
	s_waitcnt vmcnt(0) lgkmcnt(0)
	v_fma_f64 v[109:110], v[131:132], v[133:134], v[109:110]
	s_and_not1_b32 exec_lo, exec_lo, s0
	s_cbranch_execnz .LBB117_215
; %bb.216:
	s_or_b32 exec_lo, exec_lo, s0
.LBB117_217:
	s_delay_alu instid0(SALU_CYCLE_1)
	s_or_b32 exec_lo, exec_lo, s4
	v_mov_b32_e32 v129, 0
	ds_load_b64 v[129:130], v129 offset:248
	s_waitcnt lgkmcnt(0)
	v_mul_f64 v[109:110], v[109:110], v[129:130]
	scratch_store_b64 off, v[109:110], off offset:248
.LBB117_218:
	s_or_b32 exec_lo, exec_lo, s3
	scratch_load_b64 v[109:110], off, off offset:240
	v_cmp_lt_u32_e64 s0, 30, v0
	s_waitcnt vmcnt(0)
	ds_store_b64 v112, v[109:110]
	s_waitcnt lgkmcnt(0)
	s_waitcnt_vscnt null, 0x0
	s_barrier
	buffer_gl0_inv
	s_and_saveexec_b32 s3, s0
	s_cbranch_execz .LBB117_228
; %bb.219:
	s_and_not1_b32 vcc_lo, exec_lo, s2
	s_cbranch_vccnz .LBB117_221
; %bb.220:
	scratch_load_b64 v[109:110], v113, off
	ds_load_b64 v[129:130], v112
	s_waitcnt vmcnt(0) lgkmcnt(0)
	v_mul_f64 v[109:110], v[109:110], v[129:130]
	s_cbranch_execz .LBB117_222
	s_branch .LBB117_223
.LBB117_221:
                                        ; implicit-def: $vgpr109_vgpr110
.LBB117_222:
	ds_load_b64 v[109:110], v112
.LBB117_223:
	s_and_saveexec_b32 s4, s1
	s_cbranch_execz .LBB117_227
; %bb.224:
	v_mov_b32_e32 v129, 0
	v_subrev_nc_u32_e32 v130, 31, v0
	s_movk_i32 s5, 0x2a8
	s_mov_b32 s1, 0
	s_delay_alu instid0(VALU_DEP_2)
	v_add_nc_u32_e32 v129, 0xf8, v129
.LBB117_225:                            ; =>This Inner Loop Header: Depth=1
	scratch_load_b64 v[131:132], v129, off
	v_dual_mov_b32 v133, s5 :: v_dual_add_nc_u32 v130, -1, v130
	v_add_nc_u32_e32 v129, 8, v129
	s_add_i32 s5, s5, 8
	ds_load_b64 v[133:134], v133
	v_cmp_eq_u32_e32 vcc_lo, 0, v130
	s_or_b32 s1, vcc_lo, s1
	s_waitcnt vmcnt(0) lgkmcnt(0)
	v_fma_f64 v[109:110], v[131:132], v[133:134], v[109:110]
	s_and_not1_b32 exec_lo, exec_lo, s1
	s_cbranch_execnz .LBB117_225
; %bb.226:
	s_or_b32 exec_lo, exec_lo, s1
.LBB117_227:
	s_delay_alu instid0(SALU_CYCLE_1)
	s_or_b32 exec_lo, exec_lo, s4
	v_mov_b32_e32 v129, 0
	ds_load_b64 v[129:130], v129 offset:240
	s_waitcnt lgkmcnt(0)
	v_mul_f64 v[109:110], v[109:110], v[129:130]
	scratch_store_b64 off, v[109:110], off offset:240
.LBB117_228:
	s_or_b32 exec_lo, exec_lo, s3
	scratch_load_b64 v[109:110], off, off offset:232
	v_cmp_lt_u32_e64 s1, 29, v0
	s_waitcnt vmcnt(0)
	ds_store_b64 v112, v[109:110]
	s_waitcnt lgkmcnt(0)
	s_waitcnt_vscnt null, 0x0
	s_barrier
	buffer_gl0_inv
	s_and_saveexec_b32 s3, s1
	s_cbranch_execz .LBB117_238
; %bb.229:
	s_and_not1_b32 vcc_lo, exec_lo, s2
	s_cbranch_vccnz .LBB117_231
; %bb.230:
	scratch_load_b64 v[109:110], v113, off
	ds_load_b64 v[129:130], v112
	s_waitcnt vmcnt(0) lgkmcnt(0)
	v_mul_f64 v[109:110], v[109:110], v[129:130]
	s_cbranch_execz .LBB117_232
	s_branch .LBB117_233
.LBB117_231:
                                        ; implicit-def: $vgpr109_vgpr110
.LBB117_232:
	ds_load_b64 v[109:110], v112
.LBB117_233:
	s_and_saveexec_b32 s4, s0
	s_cbranch_execz .LBB117_237
; %bb.234:
	v_subrev_nc_u32_e32 v129, 30, v0
	s_movk_i32 s5, 0x2a0
	s_mov_b32 s0, 0
.LBB117_235:                            ; =>This Inner Loop Header: Depth=1
	scratch_load_b64 v[130:131], v128, off
	v_dual_mov_b32 v132, s5 :: v_dual_add_nc_u32 v129, -1, v129
	v_add_nc_u32_e32 v128, 8, v128
	s_add_i32 s5, s5, 8
	ds_load_b64 v[132:133], v132
	v_cmp_eq_u32_e32 vcc_lo, 0, v129
	s_or_b32 s0, vcc_lo, s0
	s_waitcnt vmcnt(0) lgkmcnt(0)
	v_fma_f64 v[109:110], v[130:131], v[132:133], v[109:110]
	s_and_not1_b32 exec_lo, exec_lo, s0
	s_cbranch_execnz .LBB117_235
; %bb.236:
	s_or_b32 exec_lo, exec_lo, s0
.LBB117_237:
	s_delay_alu instid0(SALU_CYCLE_1)
	s_or_b32 exec_lo, exec_lo, s4
	v_mov_b32_e32 v128, 0
	ds_load_b64 v[128:129], v128 offset:232
	s_waitcnt lgkmcnt(0)
	v_mul_f64 v[109:110], v[109:110], v[128:129]
	scratch_store_b64 off, v[109:110], off offset:232
.LBB117_238:
	s_or_b32 exec_lo, exec_lo, s3
	scratch_load_b64 v[109:110], off, off offset:224
	v_cmp_lt_u32_e64 s0, 28, v0
	s_waitcnt vmcnt(0)
	ds_store_b64 v112, v[109:110]
	s_waitcnt lgkmcnt(0)
	s_waitcnt_vscnt null, 0x0
	s_barrier
	buffer_gl0_inv
	s_and_saveexec_b32 s3, s0
	s_cbranch_execz .LBB117_248
; %bb.239:
	s_and_not1_b32 vcc_lo, exec_lo, s2
	s_cbranch_vccnz .LBB117_241
; %bb.240:
	scratch_load_b64 v[109:110], v113, off
	ds_load_b64 v[128:129], v112
	s_waitcnt vmcnt(0) lgkmcnt(0)
	v_mul_f64 v[109:110], v[109:110], v[128:129]
	s_cbranch_execz .LBB117_242
	s_branch .LBB117_243
.LBB117_241:
                                        ; implicit-def: $vgpr109_vgpr110
.LBB117_242:
	ds_load_b64 v[109:110], v112
.LBB117_243:
	s_and_saveexec_b32 s4, s1
	s_cbranch_execz .LBB117_247
; %bb.244:
	v_mov_b32_e32 v128, 0
	v_subrev_nc_u32_e32 v129, 29, v0
	s_movk_i32 s5, 0x298
	s_mov_b32 s1, 0
	s_delay_alu instid0(VALU_DEP_2)
	v_add_nc_u32_e32 v128, 0xe8, v128
.LBB117_245:                            ; =>This Inner Loop Header: Depth=1
	scratch_load_b64 v[130:131], v128, off
	v_dual_mov_b32 v132, s5 :: v_dual_add_nc_u32 v129, -1, v129
	v_add_nc_u32_e32 v128, 8, v128
	s_add_i32 s5, s5, 8
	ds_load_b64 v[132:133], v132
	v_cmp_eq_u32_e32 vcc_lo, 0, v129
	s_or_b32 s1, vcc_lo, s1
	s_waitcnt vmcnt(0) lgkmcnt(0)
	v_fma_f64 v[109:110], v[130:131], v[132:133], v[109:110]
	s_and_not1_b32 exec_lo, exec_lo, s1
	s_cbranch_execnz .LBB117_245
; %bb.246:
	s_or_b32 exec_lo, exec_lo, s1
.LBB117_247:
	s_delay_alu instid0(SALU_CYCLE_1)
	s_or_b32 exec_lo, exec_lo, s4
	v_mov_b32_e32 v128, 0
	ds_load_b64 v[128:129], v128 offset:224
	s_waitcnt lgkmcnt(0)
	v_mul_f64 v[109:110], v[109:110], v[128:129]
	scratch_store_b64 off, v[109:110], off offset:224
.LBB117_248:
	s_or_b32 exec_lo, exec_lo, s3
	scratch_load_b64 v[109:110], off, off offset:216
	v_cmp_lt_u32_e64 s1, 27, v0
	s_waitcnt vmcnt(0)
	ds_store_b64 v112, v[109:110]
	s_waitcnt lgkmcnt(0)
	s_waitcnt_vscnt null, 0x0
	s_barrier
	buffer_gl0_inv
	s_and_saveexec_b32 s3, s1
	s_cbranch_execz .LBB117_258
; %bb.249:
	s_and_not1_b32 vcc_lo, exec_lo, s2
	s_cbranch_vccnz .LBB117_251
; %bb.250:
	scratch_load_b64 v[109:110], v113, off
	ds_load_b64 v[128:129], v112
	s_waitcnt vmcnt(0) lgkmcnt(0)
	v_mul_f64 v[109:110], v[109:110], v[128:129]
	s_cbranch_execz .LBB117_252
	s_branch .LBB117_253
.LBB117_251:
                                        ; implicit-def: $vgpr109_vgpr110
.LBB117_252:
	ds_load_b64 v[109:110], v112
.LBB117_253:
	s_and_saveexec_b32 s4, s0
	s_cbranch_execz .LBB117_257
; %bb.254:
	v_subrev_nc_u32_e32 v128, 28, v0
	s_movk_i32 s5, 0x290
	s_mov_b32 s0, 0
.LBB117_255:                            ; =>This Inner Loop Header: Depth=1
	scratch_load_b64 v[129:130], v127, off
	v_dual_mov_b32 v131, s5 :: v_dual_add_nc_u32 v128, -1, v128
	v_add_nc_u32_e32 v127, 8, v127
	s_add_i32 s5, s5, 8
	ds_load_b64 v[131:132], v131
	v_cmp_eq_u32_e32 vcc_lo, 0, v128
	s_or_b32 s0, vcc_lo, s0
	s_waitcnt vmcnt(0) lgkmcnt(0)
	v_fma_f64 v[109:110], v[129:130], v[131:132], v[109:110]
	s_and_not1_b32 exec_lo, exec_lo, s0
	s_cbranch_execnz .LBB117_255
; %bb.256:
	s_or_b32 exec_lo, exec_lo, s0
.LBB117_257:
	s_delay_alu instid0(SALU_CYCLE_1)
	s_or_b32 exec_lo, exec_lo, s4
	v_mov_b32_e32 v127, 0
	ds_load_b64 v[127:128], v127 offset:216
	s_waitcnt lgkmcnt(0)
	v_mul_f64 v[109:110], v[109:110], v[127:128]
	scratch_store_b64 off, v[109:110], off offset:216
.LBB117_258:
	s_or_b32 exec_lo, exec_lo, s3
	scratch_load_b64 v[109:110], off, off offset:208
	v_cmp_lt_u32_e64 s0, 26, v0
	s_waitcnt vmcnt(0)
	ds_store_b64 v112, v[109:110]
	s_waitcnt lgkmcnt(0)
	s_waitcnt_vscnt null, 0x0
	s_barrier
	buffer_gl0_inv
	s_and_saveexec_b32 s3, s0
	s_cbranch_execz .LBB117_268
; %bb.259:
	s_and_not1_b32 vcc_lo, exec_lo, s2
	s_cbranch_vccnz .LBB117_261
; %bb.260:
	scratch_load_b64 v[109:110], v113, off
	ds_load_b64 v[127:128], v112
	s_waitcnt vmcnt(0) lgkmcnt(0)
	v_mul_f64 v[109:110], v[109:110], v[127:128]
	s_cbranch_execz .LBB117_262
	s_branch .LBB117_263
.LBB117_261:
                                        ; implicit-def: $vgpr109_vgpr110
.LBB117_262:
	ds_load_b64 v[109:110], v112
.LBB117_263:
	s_and_saveexec_b32 s4, s1
	s_cbranch_execz .LBB117_267
; %bb.264:
	v_mov_b32_e32 v127, 0
	v_subrev_nc_u32_e32 v128, 27, v0
	s_movk_i32 s5, 0x288
	s_mov_b32 s1, 0
	s_delay_alu instid0(VALU_DEP_2)
	v_add_nc_u32_e32 v127, 0xd8, v127
.LBB117_265:                            ; =>This Inner Loop Header: Depth=1
	scratch_load_b64 v[129:130], v127, off
	v_dual_mov_b32 v131, s5 :: v_dual_add_nc_u32 v128, -1, v128
	v_add_nc_u32_e32 v127, 8, v127
	s_add_i32 s5, s5, 8
	ds_load_b64 v[131:132], v131
	v_cmp_eq_u32_e32 vcc_lo, 0, v128
	s_or_b32 s1, vcc_lo, s1
	s_waitcnt vmcnt(0) lgkmcnt(0)
	v_fma_f64 v[109:110], v[129:130], v[131:132], v[109:110]
	s_and_not1_b32 exec_lo, exec_lo, s1
	s_cbranch_execnz .LBB117_265
; %bb.266:
	s_or_b32 exec_lo, exec_lo, s1
.LBB117_267:
	s_delay_alu instid0(SALU_CYCLE_1)
	s_or_b32 exec_lo, exec_lo, s4
	v_mov_b32_e32 v127, 0
	ds_load_b64 v[127:128], v127 offset:208
	s_waitcnt lgkmcnt(0)
	v_mul_f64 v[109:110], v[109:110], v[127:128]
	scratch_store_b64 off, v[109:110], off offset:208
.LBB117_268:
	s_or_b32 exec_lo, exec_lo, s3
	scratch_load_b64 v[109:110], off, off offset:200
	v_cmp_lt_u32_e64 s1, 25, v0
	s_waitcnt vmcnt(0)
	ds_store_b64 v112, v[109:110]
	s_waitcnt lgkmcnt(0)
	s_waitcnt_vscnt null, 0x0
	s_barrier
	buffer_gl0_inv
	s_and_saveexec_b32 s3, s1
	s_cbranch_execz .LBB117_278
; %bb.269:
	s_and_not1_b32 vcc_lo, exec_lo, s2
	s_cbranch_vccnz .LBB117_271
; %bb.270:
	scratch_load_b64 v[109:110], v113, off
	ds_load_b64 v[127:128], v112
	s_waitcnt vmcnt(0) lgkmcnt(0)
	v_mul_f64 v[109:110], v[109:110], v[127:128]
	s_cbranch_execz .LBB117_272
	s_branch .LBB117_273
.LBB117_271:
                                        ; implicit-def: $vgpr109_vgpr110
.LBB117_272:
	ds_load_b64 v[109:110], v112
.LBB117_273:
	s_and_saveexec_b32 s4, s0
	s_cbranch_execz .LBB117_277
; %bb.274:
	v_subrev_nc_u32_e32 v127, 26, v0
	s_movk_i32 s5, 0x280
	s_mov_b32 s0, 0
.LBB117_275:                            ; =>This Inner Loop Header: Depth=1
	scratch_load_b64 v[128:129], v126, off
	v_dual_mov_b32 v130, s5 :: v_dual_add_nc_u32 v127, -1, v127
	v_add_nc_u32_e32 v126, 8, v126
	s_add_i32 s5, s5, 8
	ds_load_b64 v[130:131], v130
	v_cmp_eq_u32_e32 vcc_lo, 0, v127
	s_or_b32 s0, vcc_lo, s0
	s_waitcnt vmcnt(0) lgkmcnt(0)
	v_fma_f64 v[109:110], v[128:129], v[130:131], v[109:110]
	s_and_not1_b32 exec_lo, exec_lo, s0
	s_cbranch_execnz .LBB117_275
; %bb.276:
	s_or_b32 exec_lo, exec_lo, s0
.LBB117_277:
	s_delay_alu instid0(SALU_CYCLE_1)
	s_or_b32 exec_lo, exec_lo, s4
	v_mov_b32_e32 v126, 0
	ds_load_b64 v[126:127], v126 offset:200
	s_waitcnt lgkmcnt(0)
	v_mul_f64 v[109:110], v[109:110], v[126:127]
	scratch_store_b64 off, v[109:110], off offset:200
.LBB117_278:
	s_or_b32 exec_lo, exec_lo, s3
	scratch_load_b64 v[109:110], off, off offset:192
	v_cmp_lt_u32_e64 s0, 24, v0
	s_waitcnt vmcnt(0)
	ds_store_b64 v112, v[109:110]
	s_waitcnt lgkmcnt(0)
	s_waitcnt_vscnt null, 0x0
	s_barrier
	buffer_gl0_inv
	s_and_saveexec_b32 s3, s0
	s_cbranch_execz .LBB117_288
; %bb.279:
	s_and_not1_b32 vcc_lo, exec_lo, s2
	s_cbranch_vccnz .LBB117_281
; %bb.280:
	scratch_load_b64 v[109:110], v113, off
	ds_load_b64 v[126:127], v112
	s_waitcnt vmcnt(0) lgkmcnt(0)
	v_mul_f64 v[109:110], v[109:110], v[126:127]
	s_cbranch_execz .LBB117_282
	s_branch .LBB117_283
.LBB117_281:
                                        ; implicit-def: $vgpr109_vgpr110
.LBB117_282:
	ds_load_b64 v[109:110], v112
.LBB117_283:
	s_and_saveexec_b32 s4, s1
	s_cbranch_execz .LBB117_287
; %bb.284:
	v_mov_b32_e32 v126, 0
	v_subrev_nc_u32_e32 v127, 25, v0
	s_movk_i32 s5, 0x278
	s_mov_b32 s1, 0
	s_delay_alu instid0(VALU_DEP_2)
	v_add_nc_u32_e32 v126, 0xc8, v126
.LBB117_285:                            ; =>This Inner Loop Header: Depth=1
	scratch_load_b64 v[128:129], v126, off
	v_dual_mov_b32 v130, s5 :: v_dual_add_nc_u32 v127, -1, v127
	v_add_nc_u32_e32 v126, 8, v126
	s_add_i32 s5, s5, 8
	ds_load_b64 v[130:131], v130
	v_cmp_eq_u32_e32 vcc_lo, 0, v127
	s_or_b32 s1, vcc_lo, s1
	s_waitcnt vmcnt(0) lgkmcnt(0)
	v_fma_f64 v[109:110], v[128:129], v[130:131], v[109:110]
	s_and_not1_b32 exec_lo, exec_lo, s1
	s_cbranch_execnz .LBB117_285
; %bb.286:
	s_or_b32 exec_lo, exec_lo, s1
.LBB117_287:
	s_delay_alu instid0(SALU_CYCLE_1)
	s_or_b32 exec_lo, exec_lo, s4
	v_mov_b32_e32 v126, 0
	ds_load_b64 v[126:127], v126 offset:192
	s_waitcnt lgkmcnt(0)
	v_mul_f64 v[109:110], v[109:110], v[126:127]
	scratch_store_b64 off, v[109:110], off offset:192
.LBB117_288:
	s_or_b32 exec_lo, exec_lo, s3
	scratch_load_b64 v[109:110], off, off offset:184
	v_cmp_lt_u32_e64 s1, 23, v0
	s_waitcnt vmcnt(0)
	ds_store_b64 v112, v[109:110]
	s_waitcnt lgkmcnt(0)
	s_waitcnt_vscnt null, 0x0
	s_barrier
	buffer_gl0_inv
	s_and_saveexec_b32 s3, s1
	s_cbranch_execz .LBB117_298
; %bb.289:
	s_and_not1_b32 vcc_lo, exec_lo, s2
	s_cbranch_vccnz .LBB117_291
; %bb.290:
	scratch_load_b64 v[109:110], v113, off
	ds_load_b64 v[126:127], v112
	s_waitcnt vmcnt(0) lgkmcnt(0)
	v_mul_f64 v[109:110], v[109:110], v[126:127]
	s_cbranch_execz .LBB117_292
	s_branch .LBB117_293
.LBB117_291:
                                        ; implicit-def: $vgpr109_vgpr110
.LBB117_292:
	ds_load_b64 v[109:110], v112
.LBB117_293:
	s_and_saveexec_b32 s4, s0
	s_cbranch_execz .LBB117_297
; %bb.294:
	v_subrev_nc_u32_e32 v126, 24, v0
	s_movk_i32 s5, 0x270
	s_mov_b32 s0, 0
.LBB117_295:                            ; =>This Inner Loop Header: Depth=1
	scratch_load_b64 v[127:128], v125, off
	v_dual_mov_b32 v129, s5 :: v_dual_add_nc_u32 v126, -1, v126
	v_add_nc_u32_e32 v125, 8, v125
	s_add_i32 s5, s5, 8
	ds_load_b64 v[129:130], v129
	v_cmp_eq_u32_e32 vcc_lo, 0, v126
	s_or_b32 s0, vcc_lo, s0
	s_waitcnt vmcnt(0) lgkmcnt(0)
	v_fma_f64 v[109:110], v[127:128], v[129:130], v[109:110]
	s_and_not1_b32 exec_lo, exec_lo, s0
	s_cbranch_execnz .LBB117_295
; %bb.296:
	s_or_b32 exec_lo, exec_lo, s0
.LBB117_297:
	s_delay_alu instid0(SALU_CYCLE_1)
	s_or_b32 exec_lo, exec_lo, s4
	v_mov_b32_e32 v125, 0
	ds_load_b64 v[125:126], v125 offset:184
	s_waitcnt lgkmcnt(0)
	v_mul_f64 v[109:110], v[109:110], v[125:126]
	scratch_store_b64 off, v[109:110], off offset:184
.LBB117_298:
	s_or_b32 exec_lo, exec_lo, s3
	scratch_load_b64 v[109:110], off, off offset:176
	v_cmp_lt_u32_e64 s0, 22, v0
	s_waitcnt vmcnt(0)
	ds_store_b64 v112, v[109:110]
	s_waitcnt lgkmcnt(0)
	s_waitcnt_vscnt null, 0x0
	s_barrier
	buffer_gl0_inv
	s_and_saveexec_b32 s3, s0
	s_cbranch_execz .LBB117_308
; %bb.299:
	s_and_not1_b32 vcc_lo, exec_lo, s2
	s_cbranch_vccnz .LBB117_301
; %bb.300:
	scratch_load_b64 v[109:110], v113, off
	ds_load_b64 v[125:126], v112
	s_waitcnt vmcnt(0) lgkmcnt(0)
	v_mul_f64 v[109:110], v[109:110], v[125:126]
	s_cbranch_execz .LBB117_302
	s_branch .LBB117_303
.LBB117_301:
                                        ; implicit-def: $vgpr109_vgpr110
.LBB117_302:
	ds_load_b64 v[109:110], v112
.LBB117_303:
	s_and_saveexec_b32 s4, s1
	s_cbranch_execz .LBB117_307
; %bb.304:
	v_mov_b32_e32 v125, 0
	v_subrev_nc_u32_e32 v126, 23, v0
	s_movk_i32 s5, 0x268
	s_mov_b32 s1, 0
	s_delay_alu instid0(VALU_DEP_2)
	v_add_nc_u32_e32 v125, 0xb8, v125
.LBB117_305:                            ; =>This Inner Loop Header: Depth=1
	scratch_load_b64 v[127:128], v125, off
	v_dual_mov_b32 v129, s5 :: v_dual_add_nc_u32 v126, -1, v126
	v_add_nc_u32_e32 v125, 8, v125
	s_add_i32 s5, s5, 8
	ds_load_b64 v[129:130], v129
	v_cmp_eq_u32_e32 vcc_lo, 0, v126
	s_or_b32 s1, vcc_lo, s1
	s_waitcnt vmcnt(0) lgkmcnt(0)
	v_fma_f64 v[109:110], v[127:128], v[129:130], v[109:110]
	s_and_not1_b32 exec_lo, exec_lo, s1
	s_cbranch_execnz .LBB117_305
; %bb.306:
	s_or_b32 exec_lo, exec_lo, s1
.LBB117_307:
	s_delay_alu instid0(SALU_CYCLE_1)
	s_or_b32 exec_lo, exec_lo, s4
	v_mov_b32_e32 v125, 0
	ds_load_b64 v[125:126], v125 offset:176
	s_waitcnt lgkmcnt(0)
	v_mul_f64 v[109:110], v[109:110], v[125:126]
	scratch_store_b64 off, v[109:110], off offset:176
.LBB117_308:
	s_or_b32 exec_lo, exec_lo, s3
	scratch_load_b64 v[109:110], off, off offset:168
	v_cmp_lt_u32_e64 s1, 21, v0
	s_waitcnt vmcnt(0)
	ds_store_b64 v112, v[109:110]
	s_waitcnt lgkmcnt(0)
	s_waitcnt_vscnt null, 0x0
	s_barrier
	buffer_gl0_inv
	s_and_saveexec_b32 s3, s1
	s_cbranch_execz .LBB117_318
; %bb.309:
	s_and_not1_b32 vcc_lo, exec_lo, s2
	s_cbranch_vccnz .LBB117_311
; %bb.310:
	scratch_load_b64 v[109:110], v113, off
	ds_load_b64 v[125:126], v112
	s_waitcnt vmcnt(0) lgkmcnt(0)
	v_mul_f64 v[109:110], v[109:110], v[125:126]
	s_cbranch_execz .LBB117_312
	s_branch .LBB117_313
.LBB117_311:
                                        ; implicit-def: $vgpr109_vgpr110
.LBB117_312:
	ds_load_b64 v[109:110], v112
.LBB117_313:
	s_and_saveexec_b32 s4, s0
	s_cbranch_execz .LBB117_317
; %bb.314:
	v_subrev_nc_u32_e32 v125, 22, v0
	s_movk_i32 s5, 0x260
	s_mov_b32 s0, 0
.LBB117_315:                            ; =>This Inner Loop Header: Depth=1
	scratch_load_b64 v[126:127], v124, off
	v_dual_mov_b32 v128, s5 :: v_dual_add_nc_u32 v125, -1, v125
	v_add_nc_u32_e32 v124, 8, v124
	s_add_i32 s5, s5, 8
	ds_load_b64 v[128:129], v128
	v_cmp_eq_u32_e32 vcc_lo, 0, v125
	s_or_b32 s0, vcc_lo, s0
	s_waitcnt vmcnt(0) lgkmcnt(0)
	v_fma_f64 v[109:110], v[126:127], v[128:129], v[109:110]
	s_and_not1_b32 exec_lo, exec_lo, s0
	s_cbranch_execnz .LBB117_315
; %bb.316:
	s_or_b32 exec_lo, exec_lo, s0
.LBB117_317:
	s_delay_alu instid0(SALU_CYCLE_1)
	s_or_b32 exec_lo, exec_lo, s4
	v_mov_b32_e32 v124, 0
	ds_load_b64 v[124:125], v124 offset:168
	s_waitcnt lgkmcnt(0)
	v_mul_f64 v[109:110], v[109:110], v[124:125]
	scratch_store_b64 off, v[109:110], off offset:168
.LBB117_318:
	s_or_b32 exec_lo, exec_lo, s3
	scratch_load_b64 v[109:110], off, off offset:160
	v_cmp_lt_u32_e64 s0, 20, v0
	s_waitcnt vmcnt(0)
	ds_store_b64 v112, v[109:110]
	s_waitcnt lgkmcnt(0)
	s_waitcnt_vscnt null, 0x0
	s_barrier
	buffer_gl0_inv
	s_and_saveexec_b32 s3, s0
	s_cbranch_execz .LBB117_328
; %bb.319:
	s_and_not1_b32 vcc_lo, exec_lo, s2
	s_cbranch_vccnz .LBB117_321
; %bb.320:
	scratch_load_b64 v[109:110], v113, off
	ds_load_b64 v[124:125], v112
	s_waitcnt vmcnt(0) lgkmcnt(0)
	v_mul_f64 v[109:110], v[109:110], v[124:125]
	s_cbranch_execz .LBB117_322
	s_branch .LBB117_323
.LBB117_321:
                                        ; implicit-def: $vgpr109_vgpr110
.LBB117_322:
	ds_load_b64 v[109:110], v112
.LBB117_323:
	s_and_saveexec_b32 s4, s1
	s_cbranch_execz .LBB117_327
; %bb.324:
	v_mov_b32_e32 v124, 0
	v_subrev_nc_u32_e32 v125, 21, v0
	s_movk_i32 s5, 0x258
	s_mov_b32 s1, 0
	s_delay_alu instid0(VALU_DEP_2)
	v_add_nc_u32_e32 v124, 0xa8, v124
.LBB117_325:                            ; =>This Inner Loop Header: Depth=1
	scratch_load_b64 v[126:127], v124, off
	v_dual_mov_b32 v128, s5 :: v_dual_add_nc_u32 v125, -1, v125
	v_add_nc_u32_e32 v124, 8, v124
	s_add_i32 s5, s5, 8
	ds_load_b64 v[128:129], v128
	v_cmp_eq_u32_e32 vcc_lo, 0, v125
	s_or_b32 s1, vcc_lo, s1
	s_waitcnt vmcnt(0) lgkmcnt(0)
	v_fma_f64 v[109:110], v[126:127], v[128:129], v[109:110]
	s_and_not1_b32 exec_lo, exec_lo, s1
	s_cbranch_execnz .LBB117_325
; %bb.326:
	s_or_b32 exec_lo, exec_lo, s1
.LBB117_327:
	s_delay_alu instid0(SALU_CYCLE_1)
	s_or_b32 exec_lo, exec_lo, s4
	v_mov_b32_e32 v124, 0
	ds_load_b64 v[124:125], v124 offset:160
	s_waitcnt lgkmcnt(0)
	v_mul_f64 v[109:110], v[109:110], v[124:125]
	scratch_store_b64 off, v[109:110], off offset:160
.LBB117_328:
	s_or_b32 exec_lo, exec_lo, s3
	scratch_load_b64 v[109:110], off, off offset:152
	v_cmp_lt_u32_e64 s1, 19, v0
	s_waitcnt vmcnt(0)
	ds_store_b64 v112, v[109:110]
	s_waitcnt lgkmcnt(0)
	s_waitcnt_vscnt null, 0x0
	s_barrier
	buffer_gl0_inv
	s_and_saveexec_b32 s3, s1
	s_cbranch_execz .LBB117_338
; %bb.329:
	s_and_not1_b32 vcc_lo, exec_lo, s2
	s_cbranch_vccnz .LBB117_331
; %bb.330:
	scratch_load_b64 v[109:110], v113, off
	ds_load_b64 v[124:125], v112
	s_waitcnt vmcnt(0) lgkmcnt(0)
	v_mul_f64 v[109:110], v[109:110], v[124:125]
	s_cbranch_execz .LBB117_332
	s_branch .LBB117_333
.LBB117_331:
                                        ; implicit-def: $vgpr109_vgpr110
.LBB117_332:
	ds_load_b64 v[109:110], v112
.LBB117_333:
	s_and_saveexec_b32 s4, s0
	s_cbranch_execz .LBB117_337
; %bb.334:
	v_subrev_nc_u32_e32 v124, 20, v0
	s_movk_i32 s5, 0x250
	s_mov_b32 s0, 0
.LBB117_335:                            ; =>This Inner Loop Header: Depth=1
	scratch_load_b64 v[125:126], v123, off
	v_dual_mov_b32 v127, s5 :: v_dual_add_nc_u32 v124, -1, v124
	v_add_nc_u32_e32 v123, 8, v123
	s_add_i32 s5, s5, 8
	ds_load_b64 v[127:128], v127
	v_cmp_eq_u32_e32 vcc_lo, 0, v124
	s_or_b32 s0, vcc_lo, s0
	s_waitcnt vmcnt(0) lgkmcnt(0)
	v_fma_f64 v[109:110], v[125:126], v[127:128], v[109:110]
	s_and_not1_b32 exec_lo, exec_lo, s0
	s_cbranch_execnz .LBB117_335
; %bb.336:
	s_or_b32 exec_lo, exec_lo, s0
.LBB117_337:
	s_delay_alu instid0(SALU_CYCLE_1)
	s_or_b32 exec_lo, exec_lo, s4
	v_mov_b32_e32 v123, 0
	ds_load_b64 v[123:124], v123 offset:152
	s_waitcnt lgkmcnt(0)
	v_mul_f64 v[109:110], v[109:110], v[123:124]
	scratch_store_b64 off, v[109:110], off offset:152
.LBB117_338:
	s_or_b32 exec_lo, exec_lo, s3
	scratch_load_b64 v[109:110], off, off offset:144
	v_cmp_lt_u32_e64 s0, 18, v0
	s_waitcnt vmcnt(0)
	ds_store_b64 v112, v[109:110]
	s_waitcnt lgkmcnt(0)
	s_waitcnt_vscnt null, 0x0
	s_barrier
	buffer_gl0_inv
	s_and_saveexec_b32 s3, s0
	s_cbranch_execz .LBB117_348
; %bb.339:
	s_and_not1_b32 vcc_lo, exec_lo, s2
	s_cbranch_vccnz .LBB117_341
; %bb.340:
	scratch_load_b64 v[109:110], v113, off
	ds_load_b64 v[123:124], v112
	s_waitcnt vmcnt(0) lgkmcnt(0)
	v_mul_f64 v[109:110], v[109:110], v[123:124]
	s_cbranch_execz .LBB117_342
	s_branch .LBB117_343
.LBB117_341:
                                        ; implicit-def: $vgpr109_vgpr110
.LBB117_342:
	ds_load_b64 v[109:110], v112
.LBB117_343:
	s_and_saveexec_b32 s4, s1
	s_cbranch_execz .LBB117_347
; %bb.344:
	v_mov_b32_e32 v123, 0
	v_subrev_nc_u32_e32 v124, 19, v0
	s_movk_i32 s5, 0x248
	s_mov_b32 s1, 0
	s_delay_alu instid0(VALU_DEP_2)
	v_add_nc_u32_e32 v123, 0x98, v123
.LBB117_345:                            ; =>This Inner Loop Header: Depth=1
	scratch_load_b64 v[125:126], v123, off
	v_dual_mov_b32 v127, s5 :: v_dual_add_nc_u32 v124, -1, v124
	v_add_nc_u32_e32 v123, 8, v123
	s_add_i32 s5, s5, 8
	ds_load_b64 v[127:128], v127
	v_cmp_eq_u32_e32 vcc_lo, 0, v124
	s_or_b32 s1, vcc_lo, s1
	s_waitcnt vmcnt(0) lgkmcnt(0)
	v_fma_f64 v[109:110], v[125:126], v[127:128], v[109:110]
	s_and_not1_b32 exec_lo, exec_lo, s1
	s_cbranch_execnz .LBB117_345
; %bb.346:
	s_or_b32 exec_lo, exec_lo, s1
.LBB117_347:
	s_delay_alu instid0(SALU_CYCLE_1)
	s_or_b32 exec_lo, exec_lo, s4
	v_mov_b32_e32 v123, 0
	ds_load_b64 v[123:124], v123 offset:144
	s_waitcnt lgkmcnt(0)
	v_mul_f64 v[109:110], v[109:110], v[123:124]
	scratch_store_b64 off, v[109:110], off offset:144
.LBB117_348:
	s_or_b32 exec_lo, exec_lo, s3
	scratch_load_b64 v[109:110], off, off offset:136
	v_cmp_lt_u32_e64 s1, 17, v0
	s_waitcnt vmcnt(0)
	ds_store_b64 v112, v[109:110]
	s_waitcnt lgkmcnt(0)
	s_waitcnt_vscnt null, 0x0
	s_barrier
	buffer_gl0_inv
	s_and_saveexec_b32 s3, s1
	s_cbranch_execz .LBB117_358
; %bb.349:
	s_and_not1_b32 vcc_lo, exec_lo, s2
	s_cbranch_vccnz .LBB117_351
; %bb.350:
	scratch_load_b64 v[109:110], v113, off
	ds_load_b64 v[123:124], v112
	s_waitcnt vmcnt(0) lgkmcnt(0)
	v_mul_f64 v[109:110], v[109:110], v[123:124]
	s_cbranch_execz .LBB117_352
	s_branch .LBB117_353
.LBB117_351:
                                        ; implicit-def: $vgpr109_vgpr110
.LBB117_352:
	ds_load_b64 v[109:110], v112
.LBB117_353:
	s_and_saveexec_b32 s4, s0
	s_cbranch_execz .LBB117_357
; %bb.354:
	v_subrev_nc_u32_e32 v123, 18, v0
	s_movk_i32 s5, 0x240
	s_mov_b32 s0, 0
.LBB117_355:                            ; =>This Inner Loop Header: Depth=1
	scratch_load_b64 v[124:125], v122, off
	v_dual_mov_b32 v126, s5 :: v_dual_add_nc_u32 v123, -1, v123
	v_add_nc_u32_e32 v122, 8, v122
	s_add_i32 s5, s5, 8
	ds_load_b64 v[126:127], v126
	v_cmp_eq_u32_e32 vcc_lo, 0, v123
	s_or_b32 s0, vcc_lo, s0
	s_waitcnt vmcnt(0) lgkmcnt(0)
	v_fma_f64 v[109:110], v[124:125], v[126:127], v[109:110]
	s_and_not1_b32 exec_lo, exec_lo, s0
	s_cbranch_execnz .LBB117_355
; %bb.356:
	s_or_b32 exec_lo, exec_lo, s0
.LBB117_357:
	s_delay_alu instid0(SALU_CYCLE_1)
	s_or_b32 exec_lo, exec_lo, s4
	v_mov_b32_e32 v122, 0
	ds_load_b64 v[122:123], v122 offset:136
	s_waitcnt lgkmcnt(0)
	v_mul_f64 v[109:110], v[109:110], v[122:123]
	scratch_store_b64 off, v[109:110], off offset:136
.LBB117_358:
	s_or_b32 exec_lo, exec_lo, s3
	scratch_load_b64 v[109:110], off, off offset:128
	v_cmp_lt_u32_e64 s0, 16, v0
	s_waitcnt vmcnt(0)
	ds_store_b64 v112, v[109:110]
	s_waitcnt lgkmcnt(0)
	s_waitcnt_vscnt null, 0x0
	s_barrier
	buffer_gl0_inv
	s_and_saveexec_b32 s3, s0
	s_cbranch_execz .LBB117_368
; %bb.359:
	s_and_not1_b32 vcc_lo, exec_lo, s2
	s_cbranch_vccnz .LBB117_361
; %bb.360:
	scratch_load_b64 v[109:110], v113, off
	ds_load_b64 v[122:123], v112
	s_waitcnt vmcnt(0) lgkmcnt(0)
	v_mul_f64 v[109:110], v[109:110], v[122:123]
	s_cbranch_execz .LBB117_362
	s_branch .LBB117_363
.LBB117_361:
                                        ; implicit-def: $vgpr109_vgpr110
.LBB117_362:
	ds_load_b64 v[109:110], v112
.LBB117_363:
	s_and_saveexec_b32 s4, s1
	s_cbranch_execz .LBB117_367
; %bb.364:
	v_mov_b32_e32 v122, 0
	v_subrev_nc_u32_e32 v123, 17, v0
	s_movk_i32 s5, 0x238
	s_mov_b32 s1, 0
	s_delay_alu instid0(VALU_DEP_2)
	v_add_nc_u32_e32 v122, 0x88, v122
.LBB117_365:                            ; =>This Inner Loop Header: Depth=1
	scratch_load_b64 v[124:125], v122, off
	v_dual_mov_b32 v126, s5 :: v_dual_add_nc_u32 v123, -1, v123
	v_add_nc_u32_e32 v122, 8, v122
	s_add_i32 s5, s5, 8
	ds_load_b64 v[126:127], v126
	v_cmp_eq_u32_e32 vcc_lo, 0, v123
	s_or_b32 s1, vcc_lo, s1
	s_waitcnt vmcnt(0) lgkmcnt(0)
	v_fma_f64 v[109:110], v[124:125], v[126:127], v[109:110]
	s_and_not1_b32 exec_lo, exec_lo, s1
	s_cbranch_execnz .LBB117_365
; %bb.366:
	s_or_b32 exec_lo, exec_lo, s1
.LBB117_367:
	s_delay_alu instid0(SALU_CYCLE_1)
	s_or_b32 exec_lo, exec_lo, s4
	v_mov_b32_e32 v122, 0
	ds_load_b64 v[122:123], v122 offset:128
	s_waitcnt lgkmcnt(0)
	v_mul_f64 v[109:110], v[109:110], v[122:123]
	scratch_store_b64 off, v[109:110], off offset:128
.LBB117_368:
	s_or_b32 exec_lo, exec_lo, s3
	scratch_load_b64 v[109:110], off, off offset:120
	v_cmp_lt_u32_e64 s1, 15, v0
	s_waitcnt vmcnt(0)
	ds_store_b64 v112, v[109:110]
	s_waitcnt lgkmcnt(0)
	s_waitcnt_vscnt null, 0x0
	s_barrier
	buffer_gl0_inv
	s_and_saveexec_b32 s3, s1
	s_cbranch_execz .LBB117_378
; %bb.369:
	s_and_not1_b32 vcc_lo, exec_lo, s2
	s_cbranch_vccnz .LBB117_371
; %bb.370:
	scratch_load_b64 v[109:110], v113, off
	ds_load_b64 v[122:123], v112
	s_waitcnt vmcnt(0) lgkmcnt(0)
	v_mul_f64 v[109:110], v[109:110], v[122:123]
	s_cbranch_execz .LBB117_372
	s_branch .LBB117_373
.LBB117_371:
                                        ; implicit-def: $vgpr109_vgpr110
.LBB117_372:
	ds_load_b64 v[109:110], v112
.LBB117_373:
	s_and_saveexec_b32 s4, s0
	s_cbranch_execz .LBB117_377
; %bb.374:
	v_add_nc_u32_e32 v122, -16, v0
	s_movk_i32 s5, 0x230
	s_mov_b32 s0, 0
.LBB117_375:                            ; =>This Inner Loop Header: Depth=1
	scratch_load_b64 v[123:124], v121, off
	v_dual_mov_b32 v125, s5 :: v_dual_add_nc_u32 v122, -1, v122
	v_add_nc_u32_e32 v121, 8, v121
	s_add_i32 s5, s5, 8
	ds_load_b64 v[125:126], v125
	v_cmp_eq_u32_e32 vcc_lo, 0, v122
	s_or_b32 s0, vcc_lo, s0
	s_waitcnt vmcnt(0) lgkmcnt(0)
	v_fma_f64 v[109:110], v[123:124], v[125:126], v[109:110]
	s_and_not1_b32 exec_lo, exec_lo, s0
	s_cbranch_execnz .LBB117_375
; %bb.376:
	s_or_b32 exec_lo, exec_lo, s0
.LBB117_377:
	s_delay_alu instid0(SALU_CYCLE_1)
	s_or_b32 exec_lo, exec_lo, s4
	v_mov_b32_e32 v121, 0
	ds_load_b64 v[121:122], v121 offset:120
	s_waitcnt lgkmcnt(0)
	v_mul_f64 v[109:110], v[109:110], v[121:122]
	scratch_store_b64 off, v[109:110], off offset:120
.LBB117_378:
	s_or_b32 exec_lo, exec_lo, s3
	scratch_load_b64 v[109:110], off, off offset:112
	v_cmp_lt_u32_e64 s0, 14, v0
	s_waitcnt vmcnt(0)
	ds_store_b64 v112, v[109:110]
	s_waitcnt lgkmcnt(0)
	s_waitcnt_vscnt null, 0x0
	s_barrier
	buffer_gl0_inv
	s_and_saveexec_b32 s3, s0
	s_cbranch_execz .LBB117_388
; %bb.379:
	s_and_not1_b32 vcc_lo, exec_lo, s2
	s_cbranch_vccnz .LBB117_381
; %bb.380:
	scratch_load_b64 v[109:110], v113, off
	ds_load_b64 v[121:122], v112
	s_waitcnt vmcnt(0) lgkmcnt(0)
	v_mul_f64 v[109:110], v[109:110], v[121:122]
	s_cbranch_execz .LBB117_382
	s_branch .LBB117_383
.LBB117_381:
                                        ; implicit-def: $vgpr109_vgpr110
.LBB117_382:
	ds_load_b64 v[109:110], v112
.LBB117_383:
	s_and_saveexec_b32 s4, s1
	s_cbranch_execz .LBB117_387
; %bb.384:
	v_dual_mov_b32 v121, 0 :: v_dual_add_nc_u32 v122, -15, v0
	s_movk_i32 s5, 0x228
	s_mov_b32 s1, 0
	s_delay_alu instid0(VALU_DEP_1)
	v_add_nc_u32_e32 v121, 0x78, v121
.LBB117_385:                            ; =>This Inner Loop Header: Depth=1
	scratch_load_b64 v[123:124], v121, off
	v_dual_mov_b32 v125, s5 :: v_dual_add_nc_u32 v122, -1, v122
	v_add_nc_u32_e32 v121, 8, v121
	s_add_i32 s5, s5, 8
	ds_load_b64 v[125:126], v125
	v_cmp_eq_u32_e32 vcc_lo, 0, v122
	s_or_b32 s1, vcc_lo, s1
	s_waitcnt vmcnt(0) lgkmcnt(0)
	v_fma_f64 v[109:110], v[123:124], v[125:126], v[109:110]
	s_and_not1_b32 exec_lo, exec_lo, s1
	s_cbranch_execnz .LBB117_385
; %bb.386:
	s_or_b32 exec_lo, exec_lo, s1
.LBB117_387:
	s_delay_alu instid0(SALU_CYCLE_1)
	s_or_b32 exec_lo, exec_lo, s4
	v_mov_b32_e32 v121, 0
	ds_load_b64 v[121:122], v121 offset:112
	s_waitcnt lgkmcnt(0)
	v_mul_f64 v[109:110], v[109:110], v[121:122]
	scratch_store_b64 off, v[109:110], off offset:112
.LBB117_388:
	s_or_b32 exec_lo, exec_lo, s3
	scratch_load_b64 v[109:110], off, off offset:104
	v_cmp_lt_u32_e64 s1, 13, v0
	s_waitcnt vmcnt(0)
	ds_store_b64 v112, v[109:110]
	s_waitcnt lgkmcnt(0)
	s_waitcnt_vscnt null, 0x0
	s_barrier
	buffer_gl0_inv
	s_and_saveexec_b32 s3, s1
	s_cbranch_execz .LBB117_398
; %bb.389:
	s_and_not1_b32 vcc_lo, exec_lo, s2
	s_cbranch_vccnz .LBB117_391
; %bb.390:
	scratch_load_b64 v[109:110], v113, off
	ds_load_b64 v[121:122], v112
	s_waitcnt vmcnt(0) lgkmcnt(0)
	v_mul_f64 v[109:110], v[109:110], v[121:122]
	s_cbranch_execz .LBB117_392
	s_branch .LBB117_393
.LBB117_391:
                                        ; implicit-def: $vgpr109_vgpr110
.LBB117_392:
	ds_load_b64 v[109:110], v112
.LBB117_393:
	s_and_saveexec_b32 s4, s0
	s_cbranch_execz .LBB117_397
; %bb.394:
	v_add_nc_u32_e32 v121, -14, v0
	s_movk_i32 s5, 0x220
	s_mov_b32 s0, 0
.LBB117_395:                            ; =>This Inner Loop Header: Depth=1
	scratch_load_b64 v[122:123], v120, off
	v_dual_mov_b32 v124, s5 :: v_dual_add_nc_u32 v121, -1, v121
	v_add_nc_u32_e32 v120, 8, v120
	s_add_i32 s5, s5, 8
	ds_load_b64 v[124:125], v124
	v_cmp_eq_u32_e32 vcc_lo, 0, v121
	s_or_b32 s0, vcc_lo, s0
	s_waitcnt vmcnt(0) lgkmcnt(0)
	v_fma_f64 v[109:110], v[122:123], v[124:125], v[109:110]
	s_and_not1_b32 exec_lo, exec_lo, s0
	s_cbranch_execnz .LBB117_395
; %bb.396:
	s_or_b32 exec_lo, exec_lo, s0
.LBB117_397:
	s_delay_alu instid0(SALU_CYCLE_1)
	s_or_b32 exec_lo, exec_lo, s4
	v_mov_b32_e32 v120, 0
	ds_load_b64 v[120:121], v120 offset:104
	s_waitcnt lgkmcnt(0)
	v_mul_f64 v[109:110], v[109:110], v[120:121]
	scratch_store_b64 off, v[109:110], off offset:104
.LBB117_398:
	s_or_b32 exec_lo, exec_lo, s3
	scratch_load_b64 v[109:110], off, off offset:96
	v_cmp_lt_u32_e64 s0, 12, v0
	s_waitcnt vmcnt(0)
	ds_store_b64 v112, v[109:110]
	s_waitcnt lgkmcnt(0)
	s_waitcnt_vscnt null, 0x0
	s_barrier
	buffer_gl0_inv
	s_and_saveexec_b32 s3, s0
	s_cbranch_execz .LBB117_408
; %bb.399:
	s_and_not1_b32 vcc_lo, exec_lo, s2
	s_cbranch_vccnz .LBB117_401
; %bb.400:
	scratch_load_b64 v[109:110], v113, off
	ds_load_b64 v[120:121], v112
	s_waitcnt vmcnt(0) lgkmcnt(0)
	v_mul_f64 v[109:110], v[109:110], v[120:121]
	s_cbranch_execz .LBB117_402
	s_branch .LBB117_403
.LBB117_401:
                                        ; implicit-def: $vgpr109_vgpr110
.LBB117_402:
	ds_load_b64 v[109:110], v112
.LBB117_403:
	s_and_saveexec_b32 s4, s1
	s_cbranch_execz .LBB117_407
; %bb.404:
	v_dual_mov_b32 v120, 0 :: v_dual_add_nc_u32 v121, -13, v0
	s_movk_i32 s5, 0x218
	s_mov_b32 s1, 0
	s_delay_alu instid0(VALU_DEP_1)
	v_add_nc_u32_e32 v120, 0x68, v120
.LBB117_405:                            ; =>This Inner Loop Header: Depth=1
	scratch_load_b64 v[122:123], v120, off
	v_dual_mov_b32 v124, s5 :: v_dual_add_nc_u32 v121, -1, v121
	v_add_nc_u32_e32 v120, 8, v120
	s_add_i32 s5, s5, 8
	ds_load_b64 v[124:125], v124
	v_cmp_eq_u32_e32 vcc_lo, 0, v121
	s_or_b32 s1, vcc_lo, s1
	s_waitcnt vmcnt(0) lgkmcnt(0)
	v_fma_f64 v[109:110], v[122:123], v[124:125], v[109:110]
	s_and_not1_b32 exec_lo, exec_lo, s1
	s_cbranch_execnz .LBB117_405
; %bb.406:
	s_or_b32 exec_lo, exec_lo, s1
.LBB117_407:
	s_delay_alu instid0(SALU_CYCLE_1)
	s_or_b32 exec_lo, exec_lo, s4
	v_mov_b32_e32 v120, 0
	ds_load_b64 v[120:121], v120 offset:96
	s_waitcnt lgkmcnt(0)
	v_mul_f64 v[109:110], v[109:110], v[120:121]
	scratch_store_b64 off, v[109:110], off offset:96
.LBB117_408:
	s_or_b32 exec_lo, exec_lo, s3
	scratch_load_b64 v[109:110], off, off offset:88
	v_cmp_lt_u32_e64 s1, 11, v0
	s_waitcnt vmcnt(0)
	ds_store_b64 v112, v[109:110]
	s_waitcnt lgkmcnt(0)
	s_waitcnt_vscnt null, 0x0
	s_barrier
	buffer_gl0_inv
	s_and_saveexec_b32 s3, s1
	s_cbranch_execz .LBB117_418
; %bb.409:
	s_and_not1_b32 vcc_lo, exec_lo, s2
	s_cbranch_vccnz .LBB117_411
; %bb.410:
	scratch_load_b64 v[109:110], v113, off
	ds_load_b64 v[120:121], v112
	s_waitcnt vmcnt(0) lgkmcnt(0)
	v_mul_f64 v[109:110], v[109:110], v[120:121]
	s_cbranch_execz .LBB117_412
	s_branch .LBB117_413
.LBB117_411:
                                        ; implicit-def: $vgpr109_vgpr110
.LBB117_412:
	ds_load_b64 v[109:110], v112
.LBB117_413:
	s_and_saveexec_b32 s4, s0
	s_cbranch_execz .LBB117_417
; %bb.414:
	v_add_nc_u32_e32 v120, -12, v0
	s_movk_i32 s5, 0x210
	s_mov_b32 s0, 0
.LBB117_415:                            ; =>This Inner Loop Header: Depth=1
	scratch_load_b64 v[121:122], v119, off
	v_dual_mov_b32 v123, s5 :: v_dual_add_nc_u32 v120, -1, v120
	v_add_nc_u32_e32 v119, 8, v119
	s_add_i32 s5, s5, 8
	ds_load_b64 v[123:124], v123
	v_cmp_eq_u32_e32 vcc_lo, 0, v120
	s_or_b32 s0, vcc_lo, s0
	s_waitcnt vmcnt(0) lgkmcnt(0)
	v_fma_f64 v[109:110], v[121:122], v[123:124], v[109:110]
	s_and_not1_b32 exec_lo, exec_lo, s0
	s_cbranch_execnz .LBB117_415
; %bb.416:
	s_or_b32 exec_lo, exec_lo, s0
.LBB117_417:
	s_delay_alu instid0(SALU_CYCLE_1)
	s_or_b32 exec_lo, exec_lo, s4
	v_mov_b32_e32 v119, 0
	ds_load_b64 v[119:120], v119 offset:88
	s_waitcnt lgkmcnt(0)
	v_mul_f64 v[109:110], v[109:110], v[119:120]
	scratch_store_b64 off, v[109:110], off offset:88
.LBB117_418:
	s_or_b32 exec_lo, exec_lo, s3
	scratch_load_b64 v[109:110], off, off offset:80
	v_cmp_lt_u32_e64 s0, 10, v0
	s_waitcnt vmcnt(0)
	ds_store_b64 v112, v[109:110]
	s_waitcnt lgkmcnt(0)
	s_waitcnt_vscnt null, 0x0
	s_barrier
	buffer_gl0_inv
	s_and_saveexec_b32 s3, s0
	s_cbranch_execz .LBB117_428
; %bb.419:
	s_and_not1_b32 vcc_lo, exec_lo, s2
	s_cbranch_vccnz .LBB117_421
; %bb.420:
	scratch_load_b64 v[109:110], v113, off
	ds_load_b64 v[119:120], v112
	s_waitcnt vmcnt(0) lgkmcnt(0)
	v_mul_f64 v[109:110], v[109:110], v[119:120]
	s_cbranch_execz .LBB117_422
	s_branch .LBB117_423
.LBB117_421:
                                        ; implicit-def: $vgpr109_vgpr110
.LBB117_422:
	ds_load_b64 v[109:110], v112
.LBB117_423:
	s_and_saveexec_b32 s4, s1
	s_cbranch_execz .LBB117_427
; %bb.424:
	v_dual_mov_b32 v119, 0 :: v_dual_add_nc_u32 v120, -11, v0
	s_movk_i32 s5, 0x208
	s_mov_b32 s1, 0
	s_delay_alu instid0(VALU_DEP_1)
	v_add_nc_u32_e32 v119, 0x58, v119
.LBB117_425:                            ; =>This Inner Loop Header: Depth=1
	scratch_load_b64 v[121:122], v119, off
	v_dual_mov_b32 v123, s5 :: v_dual_add_nc_u32 v120, -1, v120
	v_add_nc_u32_e32 v119, 8, v119
	s_add_i32 s5, s5, 8
	ds_load_b64 v[123:124], v123
	v_cmp_eq_u32_e32 vcc_lo, 0, v120
	s_or_b32 s1, vcc_lo, s1
	s_waitcnt vmcnt(0) lgkmcnt(0)
	v_fma_f64 v[109:110], v[121:122], v[123:124], v[109:110]
	s_and_not1_b32 exec_lo, exec_lo, s1
	s_cbranch_execnz .LBB117_425
; %bb.426:
	s_or_b32 exec_lo, exec_lo, s1
.LBB117_427:
	s_delay_alu instid0(SALU_CYCLE_1)
	s_or_b32 exec_lo, exec_lo, s4
	v_mov_b32_e32 v119, 0
	ds_load_b64 v[119:120], v119 offset:80
	s_waitcnt lgkmcnt(0)
	v_mul_f64 v[109:110], v[109:110], v[119:120]
	scratch_store_b64 off, v[109:110], off offset:80
.LBB117_428:
	s_or_b32 exec_lo, exec_lo, s3
	scratch_load_b64 v[109:110], off, off offset:72
	v_cmp_lt_u32_e64 s1, 9, v0
	s_waitcnt vmcnt(0)
	ds_store_b64 v112, v[109:110]
	s_waitcnt lgkmcnt(0)
	s_waitcnt_vscnt null, 0x0
	s_barrier
	buffer_gl0_inv
	s_and_saveexec_b32 s3, s1
	s_cbranch_execz .LBB117_438
; %bb.429:
	s_and_not1_b32 vcc_lo, exec_lo, s2
	s_cbranch_vccnz .LBB117_431
; %bb.430:
	scratch_load_b64 v[109:110], v113, off
	ds_load_b64 v[119:120], v112
	s_waitcnt vmcnt(0) lgkmcnt(0)
	v_mul_f64 v[109:110], v[109:110], v[119:120]
	s_cbranch_execz .LBB117_432
	s_branch .LBB117_433
.LBB117_431:
                                        ; implicit-def: $vgpr109_vgpr110
.LBB117_432:
	ds_load_b64 v[109:110], v112
.LBB117_433:
	s_and_saveexec_b32 s4, s0
	s_cbranch_execz .LBB117_437
; %bb.434:
	v_add_nc_u32_e32 v119, -10, v0
	s_movk_i32 s5, 0x200
	s_mov_b32 s0, 0
.LBB117_435:                            ; =>This Inner Loop Header: Depth=1
	scratch_load_b64 v[120:121], v118, off
	v_dual_mov_b32 v122, s5 :: v_dual_add_nc_u32 v119, -1, v119
	v_add_nc_u32_e32 v118, 8, v118
	s_add_i32 s5, s5, 8
	ds_load_b64 v[122:123], v122
	v_cmp_eq_u32_e32 vcc_lo, 0, v119
	s_or_b32 s0, vcc_lo, s0
	s_waitcnt vmcnt(0) lgkmcnt(0)
	v_fma_f64 v[109:110], v[120:121], v[122:123], v[109:110]
	s_and_not1_b32 exec_lo, exec_lo, s0
	s_cbranch_execnz .LBB117_435
; %bb.436:
	s_or_b32 exec_lo, exec_lo, s0
.LBB117_437:
	s_delay_alu instid0(SALU_CYCLE_1)
	s_or_b32 exec_lo, exec_lo, s4
	v_mov_b32_e32 v118, 0
	ds_load_b64 v[118:119], v118 offset:72
	s_waitcnt lgkmcnt(0)
	v_mul_f64 v[109:110], v[109:110], v[118:119]
	scratch_store_b64 off, v[109:110], off offset:72
.LBB117_438:
	s_or_b32 exec_lo, exec_lo, s3
	scratch_load_b64 v[109:110], off, off offset:64
	v_cmp_lt_u32_e64 s0, 8, v0
	s_waitcnt vmcnt(0)
	ds_store_b64 v112, v[109:110]
	s_waitcnt lgkmcnt(0)
	s_waitcnt_vscnt null, 0x0
	s_barrier
	buffer_gl0_inv
	s_and_saveexec_b32 s3, s0
	s_cbranch_execz .LBB117_448
; %bb.439:
	s_and_not1_b32 vcc_lo, exec_lo, s2
	s_cbranch_vccnz .LBB117_441
; %bb.440:
	scratch_load_b64 v[109:110], v113, off
	ds_load_b64 v[118:119], v112
	s_waitcnt vmcnt(0) lgkmcnt(0)
	v_mul_f64 v[109:110], v[109:110], v[118:119]
	s_cbranch_execz .LBB117_442
	s_branch .LBB117_443
.LBB117_441:
                                        ; implicit-def: $vgpr109_vgpr110
.LBB117_442:
	ds_load_b64 v[109:110], v112
.LBB117_443:
	s_and_saveexec_b32 s4, s1
	s_cbranch_execz .LBB117_447
; %bb.444:
	v_dual_mov_b32 v118, 0 :: v_dual_add_nc_u32 v119, -9, v0
	s_movk_i32 s5, 0x1f8
	s_mov_b32 s1, 0
	s_delay_alu instid0(VALU_DEP_1)
	v_add_nc_u32_e32 v118, 0x48, v118
.LBB117_445:                            ; =>This Inner Loop Header: Depth=1
	scratch_load_b64 v[120:121], v118, off
	v_dual_mov_b32 v122, s5 :: v_dual_add_nc_u32 v119, -1, v119
	v_add_nc_u32_e32 v118, 8, v118
	s_add_i32 s5, s5, 8
	ds_load_b64 v[122:123], v122
	v_cmp_eq_u32_e32 vcc_lo, 0, v119
	s_or_b32 s1, vcc_lo, s1
	s_waitcnt vmcnt(0) lgkmcnt(0)
	v_fma_f64 v[109:110], v[120:121], v[122:123], v[109:110]
	s_and_not1_b32 exec_lo, exec_lo, s1
	s_cbranch_execnz .LBB117_445
; %bb.446:
	s_or_b32 exec_lo, exec_lo, s1
.LBB117_447:
	s_delay_alu instid0(SALU_CYCLE_1)
	s_or_b32 exec_lo, exec_lo, s4
	v_mov_b32_e32 v118, 0
	ds_load_b64 v[118:119], v118 offset:64
	s_waitcnt lgkmcnt(0)
	v_mul_f64 v[109:110], v[109:110], v[118:119]
	scratch_store_b64 off, v[109:110], off offset:64
.LBB117_448:
	s_or_b32 exec_lo, exec_lo, s3
	scratch_load_b64 v[109:110], off, off offset:56
	v_cmp_lt_u32_e64 s1, 7, v0
	s_waitcnt vmcnt(0)
	ds_store_b64 v112, v[109:110]
	s_waitcnt lgkmcnt(0)
	s_waitcnt_vscnt null, 0x0
	s_barrier
	buffer_gl0_inv
	s_and_saveexec_b32 s3, s1
	s_cbranch_execz .LBB117_458
; %bb.449:
	s_and_not1_b32 vcc_lo, exec_lo, s2
	s_cbranch_vccnz .LBB117_451
; %bb.450:
	scratch_load_b64 v[109:110], v113, off
	ds_load_b64 v[118:119], v112
	s_waitcnt vmcnt(0) lgkmcnt(0)
	v_mul_f64 v[109:110], v[109:110], v[118:119]
	s_cbranch_execz .LBB117_452
	s_branch .LBB117_453
.LBB117_451:
                                        ; implicit-def: $vgpr109_vgpr110
.LBB117_452:
	ds_load_b64 v[109:110], v112
.LBB117_453:
	s_and_saveexec_b32 s4, s0
	s_cbranch_execz .LBB117_457
; %bb.454:
	v_add_nc_u32_e32 v118, -8, v0
	s_movk_i32 s5, 0x1f0
	s_mov_b32 s0, 0
.LBB117_455:                            ; =>This Inner Loop Header: Depth=1
	scratch_load_b64 v[119:120], v117, off
	v_dual_mov_b32 v121, s5 :: v_dual_add_nc_u32 v118, -1, v118
	v_add_nc_u32_e32 v117, 8, v117
	s_add_i32 s5, s5, 8
	ds_load_b64 v[121:122], v121
	v_cmp_eq_u32_e32 vcc_lo, 0, v118
	s_or_b32 s0, vcc_lo, s0
	s_waitcnt vmcnt(0) lgkmcnt(0)
	v_fma_f64 v[109:110], v[119:120], v[121:122], v[109:110]
	s_and_not1_b32 exec_lo, exec_lo, s0
	s_cbranch_execnz .LBB117_455
; %bb.456:
	s_or_b32 exec_lo, exec_lo, s0
.LBB117_457:
	s_delay_alu instid0(SALU_CYCLE_1)
	s_or_b32 exec_lo, exec_lo, s4
	v_mov_b32_e32 v117, 0
	ds_load_b64 v[117:118], v117 offset:56
	s_waitcnt lgkmcnt(0)
	v_mul_f64 v[109:110], v[109:110], v[117:118]
	scratch_store_b64 off, v[109:110], off offset:56
.LBB117_458:
	s_or_b32 exec_lo, exec_lo, s3
	scratch_load_b64 v[109:110], off, off offset:48
	v_cmp_lt_u32_e64 s0, 6, v0
	s_waitcnt vmcnt(0)
	ds_store_b64 v112, v[109:110]
	s_waitcnt lgkmcnt(0)
	s_waitcnt_vscnt null, 0x0
	s_barrier
	buffer_gl0_inv
	s_and_saveexec_b32 s3, s0
	s_cbranch_execz .LBB117_468
; %bb.459:
	s_and_not1_b32 vcc_lo, exec_lo, s2
	s_cbranch_vccnz .LBB117_461
; %bb.460:
	scratch_load_b64 v[109:110], v113, off
	ds_load_b64 v[117:118], v112
	s_waitcnt vmcnt(0) lgkmcnt(0)
	v_mul_f64 v[109:110], v[109:110], v[117:118]
	s_cbranch_execz .LBB117_462
	s_branch .LBB117_463
.LBB117_461:
                                        ; implicit-def: $vgpr109_vgpr110
.LBB117_462:
	ds_load_b64 v[109:110], v112
.LBB117_463:
	s_and_saveexec_b32 s4, s1
	s_cbranch_execz .LBB117_467
; %bb.464:
	v_add_nc_u32_e64 v117, 0, 56
	v_add_nc_u32_e32 v118, -7, v0
	s_movk_i32 s5, 0x1e8
	s_mov_b32 s1, 0
.LBB117_465:                            ; =>This Inner Loop Header: Depth=1
	scratch_load_b64 v[119:120], v117, off
	v_dual_mov_b32 v121, s5 :: v_dual_add_nc_u32 v118, -1, v118
	v_add_nc_u32_e32 v117, 8, v117
	s_add_i32 s5, s5, 8
	ds_load_b64 v[121:122], v121
	v_cmp_eq_u32_e32 vcc_lo, 0, v118
	s_or_b32 s1, vcc_lo, s1
	s_waitcnt vmcnt(0) lgkmcnt(0)
	v_fma_f64 v[109:110], v[119:120], v[121:122], v[109:110]
	s_and_not1_b32 exec_lo, exec_lo, s1
	s_cbranch_execnz .LBB117_465
; %bb.466:
	s_or_b32 exec_lo, exec_lo, s1
.LBB117_467:
	s_delay_alu instid0(SALU_CYCLE_1)
	s_or_b32 exec_lo, exec_lo, s4
	v_mov_b32_e32 v117, 0
	ds_load_b64 v[117:118], v117 offset:48
	s_waitcnt lgkmcnt(0)
	v_mul_f64 v[109:110], v[109:110], v[117:118]
	scratch_store_b64 off, v[109:110], off offset:48
.LBB117_468:
	s_or_b32 exec_lo, exec_lo, s3
	scratch_load_b64 v[109:110], off, off offset:40
	v_cmp_lt_u32_e64 s1, 5, v0
	s_waitcnt vmcnt(0)
	ds_store_b64 v112, v[109:110]
	s_waitcnt lgkmcnt(0)
	s_waitcnt_vscnt null, 0x0
	s_barrier
	buffer_gl0_inv
	s_and_saveexec_b32 s3, s1
	s_cbranch_execz .LBB117_478
; %bb.469:
	s_and_not1_b32 vcc_lo, exec_lo, s2
	s_cbranch_vccnz .LBB117_471
; %bb.470:
	scratch_load_b64 v[109:110], v113, off
	ds_load_b64 v[117:118], v112
	s_waitcnt vmcnt(0) lgkmcnt(0)
	v_mul_f64 v[109:110], v[109:110], v[117:118]
	s_cbranch_execz .LBB117_472
	s_branch .LBB117_473
.LBB117_471:
                                        ; implicit-def: $vgpr109_vgpr110
.LBB117_472:
	ds_load_b64 v[109:110], v112
.LBB117_473:
	s_and_saveexec_b32 s4, s0
	s_cbranch_execz .LBB117_477
; %bb.474:
	v_add_nc_u32_e32 v117, -6, v0
	s_movk_i32 s5, 0x1e0
	s_mov_b32 s0, 0
.LBB117_475:                            ; =>This Inner Loop Header: Depth=1
	scratch_load_b64 v[118:119], v116, off
	v_dual_mov_b32 v120, s5 :: v_dual_add_nc_u32 v117, -1, v117
	v_add_nc_u32_e32 v116, 8, v116
	s_add_i32 s5, s5, 8
	ds_load_b64 v[120:121], v120
	v_cmp_eq_u32_e32 vcc_lo, 0, v117
	s_or_b32 s0, vcc_lo, s0
	s_waitcnt vmcnt(0) lgkmcnt(0)
	v_fma_f64 v[109:110], v[118:119], v[120:121], v[109:110]
	s_and_not1_b32 exec_lo, exec_lo, s0
	s_cbranch_execnz .LBB117_475
; %bb.476:
	s_or_b32 exec_lo, exec_lo, s0
.LBB117_477:
	s_delay_alu instid0(SALU_CYCLE_1)
	s_or_b32 exec_lo, exec_lo, s4
	v_mov_b32_e32 v116, 0
	ds_load_b64 v[116:117], v116 offset:40
	s_waitcnt lgkmcnt(0)
	v_mul_f64 v[109:110], v[109:110], v[116:117]
	scratch_store_b64 off, v[109:110], off offset:40
.LBB117_478:
	s_or_b32 exec_lo, exec_lo, s3
	scratch_load_b64 v[109:110], off, off offset:32
	v_cmp_lt_u32_e64 s0, 4, v0
	s_waitcnt vmcnt(0)
	ds_store_b64 v112, v[109:110]
	s_waitcnt lgkmcnt(0)
	s_waitcnt_vscnt null, 0x0
	s_barrier
	buffer_gl0_inv
	s_and_saveexec_b32 s3, s0
	s_cbranch_execz .LBB117_488
; %bb.479:
	s_and_not1_b32 vcc_lo, exec_lo, s2
	s_cbranch_vccnz .LBB117_481
; %bb.480:
	scratch_load_b64 v[109:110], v113, off
	ds_load_b64 v[116:117], v112
	s_waitcnt vmcnt(0) lgkmcnt(0)
	v_mul_f64 v[109:110], v[109:110], v[116:117]
	s_cbranch_execz .LBB117_482
	s_branch .LBB117_483
.LBB117_481:
                                        ; implicit-def: $vgpr109_vgpr110
.LBB117_482:
	ds_load_b64 v[109:110], v112
.LBB117_483:
	s_and_saveexec_b32 s4, s1
	s_cbranch_execz .LBB117_487
; %bb.484:
	v_add_nc_u32_e64 v116, 0, 40
	v_add_nc_u32_e32 v117, -5, v0
	s_movk_i32 s5, 0x1d8
	s_mov_b32 s1, 0
.LBB117_485:                            ; =>This Inner Loop Header: Depth=1
	scratch_load_b64 v[118:119], v116, off
	v_dual_mov_b32 v120, s5 :: v_dual_add_nc_u32 v117, -1, v117
	v_add_nc_u32_e32 v116, 8, v116
	s_add_i32 s5, s5, 8
	ds_load_b64 v[120:121], v120
	v_cmp_eq_u32_e32 vcc_lo, 0, v117
	s_or_b32 s1, vcc_lo, s1
	s_waitcnt vmcnt(0) lgkmcnt(0)
	v_fma_f64 v[109:110], v[118:119], v[120:121], v[109:110]
	s_and_not1_b32 exec_lo, exec_lo, s1
	s_cbranch_execnz .LBB117_485
; %bb.486:
	s_or_b32 exec_lo, exec_lo, s1
.LBB117_487:
	s_delay_alu instid0(SALU_CYCLE_1)
	s_or_b32 exec_lo, exec_lo, s4
	v_mov_b32_e32 v116, 0
	ds_load_b64 v[116:117], v116 offset:32
	s_waitcnt lgkmcnt(0)
	v_mul_f64 v[109:110], v[109:110], v[116:117]
	scratch_store_b64 off, v[109:110], off offset:32
.LBB117_488:
	s_or_b32 exec_lo, exec_lo, s3
	scratch_load_b64 v[109:110], off, off offset:24
	v_cmp_lt_u32_e64 s1, 3, v0
	s_waitcnt vmcnt(0)
	ds_store_b64 v112, v[109:110]
	s_waitcnt lgkmcnt(0)
	s_waitcnt_vscnt null, 0x0
	s_barrier
	buffer_gl0_inv
	s_and_saveexec_b32 s3, s1
	s_cbranch_execz .LBB117_498
; %bb.489:
	s_and_not1_b32 vcc_lo, exec_lo, s2
	s_cbranch_vccnz .LBB117_491
; %bb.490:
	scratch_load_b64 v[109:110], v113, off
	ds_load_b64 v[116:117], v112
	s_waitcnt vmcnt(0) lgkmcnt(0)
	v_mul_f64 v[109:110], v[109:110], v[116:117]
	s_cbranch_execz .LBB117_492
	s_branch .LBB117_493
.LBB117_491:
                                        ; implicit-def: $vgpr109_vgpr110
.LBB117_492:
	ds_load_b64 v[109:110], v112
.LBB117_493:
	s_and_saveexec_b32 s4, s0
	s_cbranch_execz .LBB117_497
; %bb.494:
	v_add_nc_u32_e32 v116, -4, v0
	s_movk_i32 s5, 0x1d0
	s_mov_b32 s0, 0
.LBB117_495:                            ; =>This Inner Loop Header: Depth=1
	scratch_load_b64 v[117:118], v115, off
	v_dual_mov_b32 v119, s5 :: v_dual_add_nc_u32 v116, -1, v116
	v_add_nc_u32_e32 v115, 8, v115
	s_add_i32 s5, s5, 8
	ds_load_b64 v[119:120], v119
	v_cmp_eq_u32_e32 vcc_lo, 0, v116
	s_or_b32 s0, vcc_lo, s0
	s_waitcnt vmcnt(0) lgkmcnt(0)
	v_fma_f64 v[109:110], v[117:118], v[119:120], v[109:110]
	s_and_not1_b32 exec_lo, exec_lo, s0
	s_cbranch_execnz .LBB117_495
; %bb.496:
	s_or_b32 exec_lo, exec_lo, s0
.LBB117_497:
	s_delay_alu instid0(SALU_CYCLE_1)
	s_or_b32 exec_lo, exec_lo, s4
	v_mov_b32_e32 v115, 0
	ds_load_b64 v[115:116], v115 offset:24
	s_waitcnt lgkmcnt(0)
	v_mul_f64 v[109:110], v[109:110], v[115:116]
	scratch_store_b64 off, v[109:110], off offset:24
.LBB117_498:
	s_or_b32 exec_lo, exec_lo, s3
	scratch_load_b64 v[109:110], off, off offset:16
	v_cmp_lt_u32_e64 s0, 2, v0
	s_waitcnt vmcnt(0)
	ds_store_b64 v112, v[109:110]
	s_waitcnt lgkmcnt(0)
	s_waitcnt_vscnt null, 0x0
	s_barrier
	buffer_gl0_inv
	s_and_saveexec_b32 s3, s0
	s_cbranch_execz .LBB117_508
; %bb.499:
	s_and_not1_b32 vcc_lo, exec_lo, s2
	s_cbranch_vccnz .LBB117_501
; %bb.500:
	scratch_load_b64 v[109:110], v113, off
	ds_load_b64 v[115:116], v112
	s_waitcnt vmcnt(0) lgkmcnt(0)
	v_mul_f64 v[109:110], v[109:110], v[115:116]
	s_cbranch_execz .LBB117_502
	s_branch .LBB117_503
.LBB117_501:
                                        ; implicit-def: $vgpr109_vgpr110
.LBB117_502:
	ds_load_b64 v[109:110], v112
.LBB117_503:
	s_and_saveexec_b32 s4, s1
	s_cbranch_execz .LBB117_507
; %bb.504:
	v_add_nc_u32_e64 v115, 0, 24
	v_add_nc_u32_e32 v116, -3, v0
	s_movk_i32 s5, 0x1c8
	s_mov_b32 s1, 0
.LBB117_505:                            ; =>This Inner Loop Header: Depth=1
	scratch_load_b64 v[117:118], v115, off
	v_dual_mov_b32 v119, s5 :: v_dual_add_nc_u32 v116, -1, v116
	v_add_nc_u32_e32 v115, 8, v115
	s_add_i32 s5, s5, 8
	ds_load_b64 v[119:120], v119
	v_cmp_eq_u32_e32 vcc_lo, 0, v116
	s_or_b32 s1, vcc_lo, s1
	s_waitcnt vmcnt(0) lgkmcnt(0)
	v_fma_f64 v[109:110], v[117:118], v[119:120], v[109:110]
	s_and_not1_b32 exec_lo, exec_lo, s1
	s_cbranch_execnz .LBB117_505
; %bb.506:
	s_or_b32 exec_lo, exec_lo, s1
.LBB117_507:
	s_delay_alu instid0(SALU_CYCLE_1)
	s_or_b32 exec_lo, exec_lo, s4
	v_mov_b32_e32 v115, 0
	ds_load_b64 v[115:116], v115 offset:16
	s_waitcnt lgkmcnt(0)
	v_mul_f64 v[109:110], v[109:110], v[115:116]
	scratch_store_b64 off, v[109:110], off offset:16
.LBB117_508:
	s_or_b32 exec_lo, exec_lo, s3
	scratch_load_b64 v[109:110], off, off offset:8
	v_cmp_lt_u32_e64 s1, 1, v0
	s_waitcnt vmcnt(0)
	ds_store_b64 v112, v[109:110]
	s_waitcnt lgkmcnt(0)
	s_waitcnt_vscnt null, 0x0
	s_barrier
	buffer_gl0_inv
	s_and_saveexec_b32 s3, s1
	s_cbranch_execz .LBB117_518
; %bb.509:
	s_and_not1_b32 vcc_lo, exec_lo, s2
	s_cbranch_vccnz .LBB117_511
; %bb.510:
	scratch_load_b64 v[109:110], v113, off
	ds_load_b64 v[115:116], v112
	s_waitcnt vmcnt(0) lgkmcnt(0)
	v_mul_f64 v[109:110], v[109:110], v[115:116]
	s_cbranch_execz .LBB117_512
	s_branch .LBB117_513
.LBB117_511:
                                        ; implicit-def: $vgpr109_vgpr110
.LBB117_512:
	ds_load_b64 v[109:110], v112
.LBB117_513:
	s_and_saveexec_b32 s4, s0
	s_cbranch_execz .LBB117_517
; %bb.514:
	v_add_nc_u32_e32 v115, -2, v0
	s_movk_i32 s5, 0x1c0
	s_mov_b32 s0, 0
.LBB117_515:                            ; =>This Inner Loop Header: Depth=1
	scratch_load_b64 v[116:117], v114, off
	v_dual_mov_b32 v118, s5 :: v_dual_add_nc_u32 v115, -1, v115
	v_add_nc_u32_e32 v114, 8, v114
	s_add_i32 s5, s5, 8
	ds_load_b64 v[118:119], v118
	v_cmp_eq_u32_e32 vcc_lo, 0, v115
	s_or_b32 s0, vcc_lo, s0
	s_waitcnt vmcnt(0) lgkmcnt(0)
	v_fma_f64 v[109:110], v[116:117], v[118:119], v[109:110]
	s_and_not1_b32 exec_lo, exec_lo, s0
	s_cbranch_execnz .LBB117_515
; %bb.516:
	s_or_b32 exec_lo, exec_lo, s0
.LBB117_517:
	s_delay_alu instid0(SALU_CYCLE_1)
	s_or_b32 exec_lo, exec_lo, s4
	v_mov_b32_e32 v114, 0
	ds_load_b64 v[114:115], v114 offset:8
	s_waitcnt lgkmcnt(0)
	v_mul_f64 v[109:110], v[109:110], v[114:115]
	scratch_store_b64 off, v[109:110], off offset:8
.LBB117_518:
	s_or_b32 exec_lo, exec_lo, s3
	scratch_load_b64 v[109:110], off, off
	s_mov_b32 s0, 0
	s_mov_b32 s3, exec_lo
	s_waitcnt vmcnt(0)
	ds_store_b64 v112, v[109:110]
	s_waitcnt lgkmcnt(0)
	s_waitcnt_vscnt null, 0x0
	s_barrier
	buffer_gl0_inv
	v_cmpx_ne_u32_e32 0, v0
	s_cbranch_execz .LBB117_528
; %bb.519:
	s_and_not1_b32 vcc_lo, exec_lo, s2
	s_cbranch_vccnz .LBB117_521
; %bb.520:
	scratch_load_b64 v[109:110], v113, off
	ds_load_b64 v[114:115], v112
	s_waitcnt vmcnt(0) lgkmcnt(0)
	v_mul_f64 v[109:110], v[109:110], v[114:115]
	s_cbranch_execz .LBB117_522
	s_branch .LBB117_523
.LBB117_521:
                                        ; implicit-def: $vgpr109_vgpr110
.LBB117_522:
	ds_load_b64 v[109:110], v112
.LBB117_523:
	s_and_saveexec_b32 s4, s1
	s_cbranch_execz .LBB117_527
; %bb.524:
	v_or_b32_e64 v114, 0, 8
	v_add_nc_u32_e32 v115, -1, v0
	s_movk_i32 s5, 0x1b8
	s_mov_b32 s1, 0
.LBB117_525:                            ; =>This Inner Loop Header: Depth=1
	scratch_load_b64 v[116:117], v114, off
	v_dual_mov_b32 v118, s5 :: v_dual_add_nc_u32 v115, -1, v115
	v_add_nc_u32_e32 v114, 8, v114
	s_add_i32 s5, s5, 8
	ds_load_b64 v[118:119], v118
	v_cmp_eq_u32_e32 vcc_lo, 0, v115
	s_or_b32 s1, vcc_lo, s1
	s_waitcnt vmcnt(0) lgkmcnt(0)
	v_fma_f64 v[109:110], v[116:117], v[118:119], v[109:110]
	s_and_not1_b32 exec_lo, exec_lo, s1
	s_cbranch_execnz .LBB117_525
; %bb.526:
	s_or_b32 exec_lo, exec_lo, s1
.LBB117_527:
	s_delay_alu instid0(SALU_CYCLE_1)
	s_or_b32 exec_lo, exec_lo, s4
	v_mov_b32_e32 v114, 0
	ds_load_b64 v[114:115], v114
	s_waitcnt lgkmcnt(0)
	v_mul_f64 v[109:110], v[109:110], v[114:115]
	scratch_store_b64 off, v[109:110], off
.LBB117_528:
	s_or_b32 exec_lo, exec_lo, s3
.LBB117_529:
	s_delay_alu instid0(SALU_CYCLE_1)
	s_and_b32 vcc_lo, exec_lo, s0
	s_cbranch_vccz .LBB117_1055
; %bb.530:
	scratch_load_b64 v[109:110], off, off offset:8
	v_cmp_eq_u32_e64 s0, 0, v0
	s_waitcnt vmcnt(0)
	ds_store_b64 v112, v[109:110]
	s_waitcnt lgkmcnt(0)
	s_waitcnt_vscnt null, 0x0
	s_barrier
	buffer_gl0_inv
	s_and_saveexec_b32 s1, s0
	s_cbranch_execz .LBB117_536
; %bb.531:
	s_and_b32 vcc_lo, exec_lo, s2
	s_cbranch_vccz .LBB117_533
; %bb.532:
	scratch_load_b64 v[109:110], v113, off
	ds_load_b64 v[114:115], v112
	s_waitcnt vmcnt(0) lgkmcnt(0)
	v_mul_f64 v[109:110], v[109:110], v[114:115]
	s_cbranch_execz .LBB117_534
	s_branch .LBB117_535
.LBB117_533:
                                        ; implicit-def: $vgpr109_vgpr110
.LBB117_534:
	ds_load_b64 v[109:110], v112
.LBB117_535:
	v_mov_b32_e32 v114, 0
	ds_load_b64 v[114:115], v114 offset:8
	s_waitcnt lgkmcnt(0)
	v_mul_f64 v[109:110], v[109:110], v[114:115]
	scratch_store_b64 off, v[109:110], off offset:8
.LBB117_536:
	s_or_b32 exec_lo, exec_lo, s1
	scratch_load_b64 v[109:110], off, off offset:16
	v_cndmask_b32_e64 v114, 0, 1, s2
	s_mov_b32 s1, exec_lo
	s_waitcnt vmcnt(0)
	ds_store_b64 v112, v[109:110]
	s_waitcnt lgkmcnt(0)
	s_waitcnt_vscnt null, 0x0
	s_barrier
	buffer_gl0_inv
	v_cmpx_gt_u32_e32 2, v0
	s_cbranch_execz .LBB117_544
; %bb.537:
	s_and_not1_b32 vcc_lo, exec_lo, s2
	s_cbranch_vccnz .LBB117_539
; %bb.538:
	scratch_load_b64 v[109:110], v113, off
	ds_load_b64 v[115:116], v112
	s_waitcnt vmcnt(0) lgkmcnt(0)
	v_mul_f64 v[109:110], v[109:110], v[115:116]
	s_cbranch_execz .LBB117_540
	s_branch .LBB117_541
.LBB117_539:
                                        ; implicit-def: $vgpr109_vgpr110
.LBB117_540:
	ds_load_b64 v[109:110], v112
.LBB117_541:
	s_and_saveexec_b32 s2, s0
	s_cbranch_execz .LBB117_543
; %bb.542:
	scratch_load_b64 v[115:116], v113, off offset:8
	ds_load_b64 v[117:118], v112 offset:8
	s_waitcnt vmcnt(0) lgkmcnt(0)
	v_fma_f64 v[109:110], v[115:116], v[117:118], v[109:110]
.LBB117_543:
	s_or_b32 exec_lo, exec_lo, s2
	v_mov_b32_e32 v115, 0
	ds_load_b64 v[115:116], v115 offset:16
	s_waitcnt lgkmcnt(0)
	v_mul_f64 v[109:110], v[109:110], v[115:116]
	scratch_store_b64 off, v[109:110], off offset:16
.LBB117_544:
	s_or_b32 exec_lo, exec_lo, s1
	scratch_load_b64 v[109:110], off, off offset:24
	s_mov_b32 s1, exec_lo
	s_waitcnt vmcnt(0)
	ds_store_b64 v112, v[109:110]
	s_waitcnt lgkmcnt(0)
	s_waitcnt_vscnt null, 0x0
	s_barrier
	buffer_gl0_inv
	v_cmpx_gt_u32_e32 3, v0
	s_cbranch_execz .LBB117_554
; %bb.545:
	v_cmp_ne_u32_e32 vcc_lo, 1, v114
	s_cbranch_vccnz .LBB117_547
; %bb.546:
	scratch_load_b64 v[109:110], v113, off
	ds_load_b64 v[115:116], v112
	s_waitcnt vmcnt(0) lgkmcnt(0)
	v_mul_f64 v[109:110], v[109:110], v[115:116]
	s_cbranch_execz .LBB117_548
	s_branch .LBB117_549
.LBB117_547:
                                        ; implicit-def: $vgpr109_vgpr110
.LBB117_548:
	ds_load_b64 v[109:110], v112
.LBB117_549:
	s_mov_b32 s2, exec_lo
	v_cmpx_ne_u32_e32 2, v0
	s_cbranch_execz .LBB117_553
; %bb.550:
	scratch_load_b64 v[115:116], v113, off offset:8
	ds_load_b64 v[117:118], v112 offset:8
	s_waitcnt vmcnt(0) lgkmcnt(0)
	v_fma_f64 v[109:110], v[115:116], v[117:118], v[109:110]
	s_and_saveexec_b32 s3, s0
	s_cbranch_execz .LBB117_552
; %bb.551:
	scratch_load_b64 v[115:116], off, off offset:16
	v_mov_b32_e32 v117, 0
	ds_load_b64 v[117:118], v117 offset:448
	s_waitcnt vmcnt(0) lgkmcnt(0)
	v_fma_f64 v[109:110], v[115:116], v[117:118], v[109:110]
.LBB117_552:
	s_or_b32 exec_lo, exec_lo, s3
.LBB117_553:
	s_delay_alu instid0(SALU_CYCLE_1)
	s_or_b32 exec_lo, exec_lo, s2
	v_mov_b32_e32 v115, 0
	ds_load_b64 v[115:116], v115 offset:24
	s_waitcnt lgkmcnt(0)
	v_mul_f64 v[109:110], v[109:110], v[115:116]
	scratch_store_b64 off, v[109:110], off offset:24
.LBB117_554:
	s_or_b32 exec_lo, exec_lo, s1
	scratch_load_b64 v[109:110], off, off offset:32
	s_mov_b32 s0, exec_lo
	s_waitcnt vmcnt(0)
	ds_store_b64 v112, v[109:110]
	s_waitcnt lgkmcnt(0)
	s_waitcnt_vscnt null, 0x0
	s_barrier
	buffer_gl0_inv
	v_cmpx_gt_u32_e32 4, v0
	s_cbranch_execz .LBB117_564
; %bb.555:
	v_cmp_ne_u32_e32 vcc_lo, 1, v114
	s_cbranch_vccnz .LBB117_557
; %bb.556:
	scratch_load_b64 v[109:110], v113, off
	ds_load_b64 v[115:116], v112
	s_waitcnt vmcnt(0) lgkmcnt(0)
	v_mul_f64 v[109:110], v[109:110], v[115:116]
	s_cbranch_execz .LBB117_558
	s_branch .LBB117_559
.LBB117_557:
                                        ; implicit-def: $vgpr109_vgpr110
.LBB117_558:
	ds_load_b64 v[109:110], v112
.LBB117_559:
	s_mov_b32 s1, exec_lo
	v_cmpx_ne_u32_e32 3, v0
	s_cbranch_execz .LBB117_563
; %bb.560:
	v_add_nc_u32_e32 v115, 0x1b8, v111
	v_add3_u32 v116, 0, v111, 8
	v_mov_b32_e32 v117, v0
	s_mov_b32 s2, 0
.LBB117_561:                            ; =>This Inner Loop Header: Depth=1
	scratch_load_b64 v[118:119], v116, off
	ds_load_b64 v[120:121], v115
	v_add_nc_u32_e32 v117, 1, v117
	v_add_nc_u32_e32 v115, 8, v115
	v_add_nc_u32_e32 v116, 8, v116
	s_delay_alu instid0(VALU_DEP_3)
	v_cmp_lt_u32_e32 vcc_lo, 2, v117
	s_or_b32 s2, vcc_lo, s2
	s_waitcnt vmcnt(0) lgkmcnt(0)
	v_fma_f64 v[109:110], v[118:119], v[120:121], v[109:110]
	s_and_not1_b32 exec_lo, exec_lo, s2
	s_cbranch_execnz .LBB117_561
; %bb.562:
	s_or_b32 exec_lo, exec_lo, s2
.LBB117_563:
	s_delay_alu instid0(SALU_CYCLE_1)
	s_or_b32 exec_lo, exec_lo, s1
	v_mov_b32_e32 v115, 0
	ds_load_b64 v[115:116], v115 offset:32
	s_waitcnt lgkmcnt(0)
	v_mul_f64 v[109:110], v[109:110], v[115:116]
	scratch_store_b64 off, v[109:110], off offset:32
.LBB117_564:
	s_or_b32 exec_lo, exec_lo, s0
	scratch_load_b64 v[109:110], off, off offset:40
	s_mov_b32 s0, exec_lo
	s_waitcnt vmcnt(0)
	ds_store_b64 v112, v[109:110]
	s_waitcnt lgkmcnt(0)
	s_waitcnt_vscnt null, 0x0
	s_barrier
	buffer_gl0_inv
	v_cmpx_gt_u32_e32 5, v0
	s_cbranch_execz .LBB117_574
; %bb.565:
	v_cmp_ne_u32_e32 vcc_lo, 1, v114
	s_cbranch_vccnz .LBB117_567
; %bb.566:
	scratch_load_b64 v[109:110], v113, off
	ds_load_b64 v[115:116], v112
	s_waitcnt vmcnt(0) lgkmcnt(0)
	v_mul_f64 v[109:110], v[109:110], v[115:116]
	s_cbranch_execz .LBB117_568
	s_branch .LBB117_569
.LBB117_567:
                                        ; implicit-def: $vgpr109_vgpr110
.LBB117_568:
	ds_load_b64 v[109:110], v112
.LBB117_569:
	s_mov_b32 s1, exec_lo
	v_cmpx_ne_u32_e32 4, v0
	s_cbranch_execz .LBB117_573
; %bb.570:
	v_add_nc_u32_e32 v115, 0x1b8, v111
	v_add3_u32 v116, 0, v111, 8
	v_mov_b32_e32 v117, v0
	s_mov_b32 s2, 0
.LBB117_571:                            ; =>This Inner Loop Header: Depth=1
	scratch_load_b64 v[118:119], v116, off
	ds_load_b64 v[120:121], v115
	v_add_nc_u32_e32 v117, 1, v117
	v_add_nc_u32_e32 v115, 8, v115
	v_add_nc_u32_e32 v116, 8, v116
	s_delay_alu instid0(VALU_DEP_3)
	v_cmp_lt_u32_e32 vcc_lo, 3, v117
	s_or_b32 s2, vcc_lo, s2
	s_waitcnt vmcnt(0) lgkmcnt(0)
	v_fma_f64 v[109:110], v[118:119], v[120:121], v[109:110]
	s_and_not1_b32 exec_lo, exec_lo, s2
	s_cbranch_execnz .LBB117_571
; %bb.572:
	s_or_b32 exec_lo, exec_lo, s2
.LBB117_573:
	s_delay_alu instid0(SALU_CYCLE_1)
	s_or_b32 exec_lo, exec_lo, s1
	v_mov_b32_e32 v115, 0
	ds_load_b64 v[115:116], v115 offset:40
	s_waitcnt lgkmcnt(0)
	v_mul_f64 v[109:110], v[109:110], v[115:116]
	scratch_store_b64 off, v[109:110], off offset:40
.LBB117_574:
	;; [unrolled: 58-line block ×44, first 2 shown]
	s_or_b32 exec_lo, exec_lo, s0
	scratch_load_b64 v[109:110], off, off offset:384
	s_mov_b32 s0, exec_lo
	s_waitcnt vmcnt(0)
	ds_store_b64 v112, v[109:110]
	s_waitcnt lgkmcnt(0)
	s_waitcnt_vscnt null, 0x0
	s_barrier
	buffer_gl0_inv
	v_cmpx_gt_u32_e32 48, v0
	s_cbranch_execz .LBB117_1004
; %bb.995:
	v_cmp_ne_u32_e32 vcc_lo, 1, v114
	s_cbranch_vccnz .LBB117_997
; %bb.996:
	scratch_load_b64 v[109:110], v113, off
	ds_load_b64 v[115:116], v112
	s_waitcnt vmcnt(0) lgkmcnt(0)
	v_mul_f64 v[109:110], v[109:110], v[115:116]
	s_cbranch_execz .LBB117_998
	s_branch .LBB117_999
.LBB117_997:
                                        ; implicit-def: $vgpr109_vgpr110
.LBB117_998:
	ds_load_b64 v[109:110], v112
.LBB117_999:
	s_mov_b32 s1, exec_lo
	v_cmpx_ne_u32_e32 47, v0
	s_cbranch_execz .LBB117_1003
; %bb.1000:
	v_add_nc_u32_e32 v115, 0x1b8, v111
	v_add3_u32 v116, 0, v111, 8
	v_mov_b32_e32 v117, v0
	s_mov_b32 s2, 0
.LBB117_1001:                           ; =>This Inner Loop Header: Depth=1
	scratch_load_b64 v[118:119], v116, off
	ds_load_b64 v[120:121], v115
	v_add_nc_u32_e32 v117, 1, v117
	v_add_nc_u32_e32 v115, 8, v115
	v_add_nc_u32_e32 v116, 8, v116
	s_delay_alu instid0(VALU_DEP_3)
	v_cmp_lt_u32_e32 vcc_lo, 46, v117
	s_or_b32 s2, vcc_lo, s2
	s_waitcnt vmcnt(0) lgkmcnt(0)
	v_fma_f64 v[109:110], v[118:119], v[120:121], v[109:110]
	s_and_not1_b32 exec_lo, exec_lo, s2
	s_cbranch_execnz .LBB117_1001
; %bb.1002:
	s_or_b32 exec_lo, exec_lo, s2
.LBB117_1003:
	s_delay_alu instid0(SALU_CYCLE_1)
	s_or_b32 exec_lo, exec_lo, s1
	v_mov_b32_e32 v115, 0
	ds_load_b64 v[115:116], v115 offset:384
	s_waitcnt lgkmcnt(0)
	v_mul_f64 v[109:110], v[109:110], v[115:116]
	scratch_store_b64 off, v[109:110], off offset:384
.LBB117_1004:
	s_or_b32 exec_lo, exec_lo, s0
	scratch_load_b64 v[109:110], off, off offset:392
	s_mov_b32 s0, exec_lo
	s_waitcnt vmcnt(0)
	ds_store_b64 v112, v[109:110]
	s_waitcnt lgkmcnt(0)
	s_waitcnt_vscnt null, 0x0
	s_barrier
	buffer_gl0_inv
	v_cmpx_gt_u32_e32 49, v0
	s_cbranch_execz .LBB117_1014
; %bb.1005:
	v_cmp_ne_u32_e32 vcc_lo, 1, v114
	s_cbranch_vccnz .LBB117_1007
; %bb.1006:
	scratch_load_b64 v[109:110], v113, off
	ds_load_b64 v[115:116], v112
	s_waitcnt vmcnt(0) lgkmcnt(0)
	v_mul_f64 v[109:110], v[109:110], v[115:116]
	s_cbranch_execz .LBB117_1008
	s_branch .LBB117_1009
.LBB117_1007:
                                        ; implicit-def: $vgpr109_vgpr110
.LBB117_1008:
	ds_load_b64 v[109:110], v112
.LBB117_1009:
	s_mov_b32 s1, exec_lo
	v_cmpx_ne_u32_e32 48, v0
	s_cbranch_execz .LBB117_1013
; %bb.1010:
	v_add_nc_u32_e32 v115, 0x1b8, v111
	v_add3_u32 v116, 0, v111, 8
	v_mov_b32_e32 v117, v0
	s_mov_b32 s2, 0
.LBB117_1011:                           ; =>This Inner Loop Header: Depth=1
	scratch_load_b64 v[118:119], v116, off
	ds_load_b64 v[120:121], v115
	v_add_nc_u32_e32 v117, 1, v117
	v_add_nc_u32_e32 v115, 8, v115
	v_add_nc_u32_e32 v116, 8, v116
	s_delay_alu instid0(VALU_DEP_3)
	v_cmp_lt_u32_e32 vcc_lo, 47, v117
	s_or_b32 s2, vcc_lo, s2
	s_waitcnt vmcnt(0) lgkmcnt(0)
	v_fma_f64 v[109:110], v[118:119], v[120:121], v[109:110]
	s_and_not1_b32 exec_lo, exec_lo, s2
	s_cbranch_execnz .LBB117_1011
; %bb.1012:
	s_or_b32 exec_lo, exec_lo, s2
.LBB117_1013:
	s_delay_alu instid0(SALU_CYCLE_1)
	s_or_b32 exec_lo, exec_lo, s1
	v_mov_b32_e32 v115, 0
	ds_load_b64 v[115:116], v115 offset:392
	s_waitcnt lgkmcnt(0)
	v_mul_f64 v[109:110], v[109:110], v[115:116]
	scratch_store_b64 off, v[109:110], off offset:392
.LBB117_1014:
	;; [unrolled: 58-line block ×4, first 2 shown]
	s_or_b32 exec_lo, exec_lo, s0
	scratch_load_b64 v[109:110], off, off offset:416
	v_cmp_gt_u32_e64 s0, 52, v0
	s_waitcnt vmcnt(0)
	ds_store_b64 v112, v[109:110]
	s_waitcnt lgkmcnt(0)
	s_waitcnt_vscnt null, 0x0
	s_barrier
	buffer_gl0_inv
	s_and_saveexec_b32 s1, s0
	s_cbranch_execz .LBB117_1044
; %bb.1035:
	v_cmp_ne_u32_e32 vcc_lo, 1, v114
	s_cbranch_vccnz .LBB117_1037
; %bb.1036:
	scratch_load_b64 v[109:110], v113, off
	ds_load_b64 v[115:116], v112
	s_waitcnt vmcnt(0) lgkmcnt(0)
	v_mul_f64 v[109:110], v[109:110], v[115:116]
	s_cbranch_execz .LBB117_1038
	s_branch .LBB117_1039
.LBB117_1037:
                                        ; implicit-def: $vgpr109_vgpr110
.LBB117_1038:
	ds_load_b64 v[109:110], v112
.LBB117_1039:
	s_mov_b32 s2, exec_lo
	v_cmpx_ne_u32_e32 51, v0
	s_cbranch_execz .LBB117_1043
; %bb.1040:
	v_add_nc_u32_e32 v115, 0x1b8, v111
	v_add3_u32 v116, 0, v111, 8
	v_mov_b32_e32 v117, v0
	s_mov_b32 s3, 0
.LBB117_1041:                           ; =>This Inner Loop Header: Depth=1
	scratch_load_b64 v[118:119], v116, off
	ds_load_b64 v[120:121], v115
	v_add_nc_u32_e32 v117, 1, v117
	v_add_nc_u32_e32 v115, 8, v115
	v_add_nc_u32_e32 v116, 8, v116
	s_delay_alu instid0(VALU_DEP_3)
	v_cmp_lt_u32_e32 vcc_lo, 50, v117
	s_or_b32 s3, vcc_lo, s3
	s_waitcnt vmcnt(0) lgkmcnt(0)
	v_fma_f64 v[109:110], v[118:119], v[120:121], v[109:110]
	s_and_not1_b32 exec_lo, exec_lo, s3
	s_cbranch_execnz .LBB117_1041
; %bb.1042:
	s_or_b32 exec_lo, exec_lo, s3
.LBB117_1043:
	s_delay_alu instid0(SALU_CYCLE_1)
	s_or_b32 exec_lo, exec_lo, s2
	v_mov_b32_e32 v115, 0
	ds_load_b64 v[115:116], v115 offset:416
	s_waitcnt lgkmcnt(0)
	v_mul_f64 v[109:110], v[109:110], v[115:116]
	scratch_store_b64 off, v[109:110], off offset:416
.LBB117_1044:
	s_or_b32 exec_lo, exec_lo, s1
	scratch_load_b64 v[109:110], off, off offset:424
	s_mov_b32 s1, exec_lo
	s_waitcnt vmcnt(0)
	ds_store_b64 v112, v[109:110]
	s_waitcnt lgkmcnt(0)
	s_waitcnt_vscnt null, 0x0
	s_barrier
	buffer_gl0_inv
	v_cmpx_ne_u32_e32 53, v0
	s_cbranch_execz .LBB117_1054
; %bb.1045:
	v_cmp_ne_u32_e32 vcc_lo, 1, v114
	s_cbranch_vccnz .LBB117_1047
; %bb.1046:
	scratch_load_b64 v[109:110], v113, off
	ds_load_b64 v[113:114], v112
	s_waitcnt vmcnt(0) lgkmcnt(0)
	v_mul_f64 v[109:110], v[109:110], v[113:114]
	s_cbranch_execz .LBB117_1048
	s_branch .LBB117_1049
.LBB117_1047:
                                        ; implicit-def: $vgpr109_vgpr110
.LBB117_1048:
	ds_load_b64 v[109:110], v112
.LBB117_1049:
	s_and_saveexec_b32 s2, s0
	s_cbranch_execz .LBB117_1053
; %bb.1050:
	v_add_nc_u32_e32 v112, 0x1b8, v111
	v_add3_u32 v111, 0, v111, 8
	s_mov_b32 s0, 0
.LBB117_1051:                           ; =>This Inner Loop Header: Depth=1
	scratch_load_b64 v[113:114], v111, off
	ds_load_b64 v[115:116], v112
	v_add_nc_u32_e32 v0, 1, v0
	v_add_nc_u32_e32 v112, 8, v112
	;; [unrolled: 1-line block ×3, first 2 shown]
	s_delay_alu instid0(VALU_DEP_3)
	v_cmp_lt_u32_e32 vcc_lo, 51, v0
	s_or_b32 s0, vcc_lo, s0
	s_waitcnt vmcnt(0) lgkmcnt(0)
	v_fma_f64 v[109:110], v[113:114], v[115:116], v[109:110]
	s_and_not1_b32 exec_lo, exec_lo, s0
	s_cbranch_execnz .LBB117_1051
; %bb.1052:
	s_or_b32 exec_lo, exec_lo, s0
.LBB117_1053:
	s_delay_alu instid0(SALU_CYCLE_1)
	s_or_b32 exec_lo, exec_lo, s2
	v_mov_b32_e32 v0, 0
	ds_load_b64 v[111:112], v0 offset:424
	s_waitcnt lgkmcnt(0)
	v_mul_f64 v[109:110], v[109:110], v[111:112]
	scratch_store_b64 off, v[109:110], off offset:424
.LBB117_1054:
	s_or_b32 exec_lo, exec_lo, s1
.LBB117_1055:
	s_clause 0xd
	scratch_load_b128 v[109:112], off, off
	scratch_load_b128 v[113:116], off, off offset:16
	scratch_load_b128 v[117:120], off, off offset:32
	;; [unrolled: 1-line block ×13, first 2 shown]
	s_waitcnt vmcnt(13)
	s_clause 0x1
	global_store_b64 v[11:12], v[109:110], off
	global_store_b64 v[19:20], v[111:112], off
	s_clause 0x1
	scratch_load_b128 v[109:112], off, off offset:224
	scratch_load_b128 v[165:168], off, off offset:240
	s_waitcnt vmcnt(14)
	s_clause 0x1
	global_store_b64 v[1:2], v[113:114], off
	global_store_b64 v[5:6], v[115:116], off
	s_clause 0x1
	scratch_load_b128 v[113:116], off, off offset:256
	scratch_load_b128 v[169:172], off, off offset:272
	;; [unrolled: 7-line block ×6, first 2 shown]
	s_waitcnt vmcnt(19)
	s_clause 0x1
	global_store_b64 v[3:4], v[133:134], off
	global_store_b64 v[17:18], v[135:136], off
	scratch_load_b128 v[0:3], off, off offset:416
	s_waitcnt vmcnt(19)
	s_clause 0x1
	global_store_b64 v[9:10], v[137:138], off
	global_store_b64 v[23:24], v[139:140], off
	s_waitcnt vmcnt(18)
	s_clause 0x1
	global_store_b64 v[29:30], v[141:142], off
	global_store_b64 v[35:36], v[143:144], off
	;; [unrolled: 4-line block ×20, first 2 shown]
.LBB117_1056:
	s_endpgm
	.section	.rodata,"a",@progbits
	.p2align	6, 0x0
	.amdhsa_kernel _ZN9rocsolver6v33100L18trti2_kernel_smallILi54EdPKPdEEv13rocblas_fill_17rocblas_diagonal_T1_iil
		.amdhsa_group_segment_fixed_size 864
		.amdhsa_private_segment_fixed_size 448
		.amdhsa_kernarg_size 32
		.amdhsa_user_sgpr_count 15
		.amdhsa_user_sgpr_dispatch_ptr 0
		.amdhsa_user_sgpr_queue_ptr 0
		.amdhsa_user_sgpr_kernarg_segment_ptr 1
		.amdhsa_user_sgpr_dispatch_id 0
		.amdhsa_user_sgpr_private_segment_size 0
		.amdhsa_wavefront_size32 1
		.amdhsa_uses_dynamic_stack 0
		.amdhsa_enable_private_segment 1
		.amdhsa_system_sgpr_workgroup_id_x 1
		.amdhsa_system_sgpr_workgroup_id_y 0
		.amdhsa_system_sgpr_workgroup_id_z 0
		.amdhsa_system_sgpr_workgroup_info 0
		.amdhsa_system_vgpr_workitem_id 0
		.amdhsa_next_free_vgpr 177
		.amdhsa_next_free_sgpr 24
		.amdhsa_reserve_vcc 1
		.amdhsa_float_round_mode_32 0
		.amdhsa_float_round_mode_16_64 0
		.amdhsa_float_denorm_mode_32 3
		.amdhsa_float_denorm_mode_16_64 3
		.amdhsa_dx10_clamp 1
		.amdhsa_ieee_mode 1
		.amdhsa_fp16_overflow 0
		.amdhsa_workgroup_processor_mode 1
		.amdhsa_memory_ordered 1
		.amdhsa_forward_progress 0
		.amdhsa_shared_vgpr_count 0
		.amdhsa_exception_fp_ieee_invalid_op 0
		.amdhsa_exception_fp_denorm_src 0
		.amdhsa_exception_fp_ieee_div_zero 0
		.amdhsa_exception_fp_ieee_overflow 0
		.amdhsa_exception_fp_ieee_underflow 0
		.amdhsa_exception_fp_ieee_inexact 0
		.amdhsa_exception_int_div_zero 0
	.end_amdhsa_kernel
	.section	.text._ZN9rocsolver6v33100L18trti2_kernel_smallILi54EdPKPdEEv13rocblas_fill_17rocblas_diagonal_T1_iil,"axG",@progbits,_ZN9rocsolver6v33100L18trti2_kernel_smallILi54EdPKPdEEv13rocblas_fill_17rocblas_diagonal_T1_iil,comdat
.Lfunc_end117:
	.size	_ZN9rocsolver6v33100L18trti2_kernel_smallILi54EdPKPdEEv13rocblas_fill_17rocblas_diagonal_T1_iil, .Lfunc_end117-_ZN9rocsolver6v33100L18trti2_kernel_smallILi54EdPKPdEEv13rocblas_fill_17rocblas_diagonal_T1_iil
                                        ; -- End function
	.section	.AMDGPU.csdata,"",@progbits
; Kernel info:
; codeLenInByte = 29632
; NumSgprs: 26
; NumVgprs: 177
; ScratchSize: 448
; MemoryBound: 0
; FloatMode: 240
; IeeeMode: 1
; LDSByteSize: 864 bytes/workgroup (compile time only)
; SGPRBlocks: 3
; VGPRBlocks: 22
; NumSGPRsForWavesPerEU: 26
; NumVGPRsForWavesPerEU: 177
; Occupancy: 8
; WaveLimiterHint : 1
; COMPUTE_PGM_RSRC2:SCRATCH_EN: 1
; COMPUTE_PGM_RSRC2:USER_SGPR: 15
; COMPUTE_PGM_RSRC2:TRAP_HANDLER: 0
; COMPUTE_PGM_RSRC2:TGID_X_EN: 1
; COMPUTE_PGM_RSRC2:TGID_Y_EN: 0
; COMPUTE_PGM_RSRC2:TGID_Z_EN: 0
; COMPUTE_PGM_RSRC2:TIDIG_COMP_CNT: 0
	.section	.text._ZN9rocsolver6v33100L18trti2_kernel_smallILi55EdPKPdEEv13rocblas_fill_17rocblas_diagonal_T1_iil,"axG",@progbits,_ZN9rocsolver6v33100L18trti2_kernel_smallILi55EdPKPdEEv13rocblas_fill_17rocblas_diagonal_T1_iil,comdat
	.globl	_ZN9rocsolver6v33100L18trti2_kernel_smallILi55EdPKPdEEv13rocblas_fill_17rocblas_diagonal_T1_iil ; -- Begin function _ZN9rocsolver6v33100L18trti2_kernel_smallILi55EdPKPdEEv13rocblas_fill_17rocblas_diagonal_T1_iil
	.p2align	8
	.type	_ZN9rocsolver6v33100L18trti2_kernel_smallILi55EdPKPdEEv13rocblas_fill_17rocblas_diagonal_T1_iil,@function
_ZN9rocsolver6v33100L18trti2_kernel_smallILi55EdPKPdEEv13rocblas_fill_17rocblas_diagonal_T1_iil: ; @_ZN9rocsolver6v33100L18trti2_kernel_smallILi55EdPKPdEEv13rocblas_fill_17rocblas_diagonal_T1_iil
; %bb.0:
	s_mov_b32 s2, exec_lo
	v_cmpx_gt_u32_e32 55, v0
	s_cbranch_execz .LBB118_1076
; %bb.1:
	s_clause 0x1
	s_load_b64 s[4:5], s[0:1], 0x10
	s_load_b128 s[0:3], s[0:1], 0x0
	s_mov_b32 s6, s15
	s_ashr_i32 s7, s15, 31
	v_lshlrev_b32_e32 v113, 3, v0
	s_lshl_b64 s[8:9], s[6:7], 3
	s_waitcnt lgkmcnt(0)
	s_ashr_i32 s7, s4, 31
	s_add_u32 s2, s2, s8
	s_addc_u32 s3, s3, s9
	v_add3_u32 v1, s5, s5, v0
	s_load_b64 s[2:3], s[2:3], 0x0
	s_mov_b32 s6, s4
	s_mov_b32 s8, s5
	s_lshl_b64 s[6:7], s[6:7], 3
	v_add_nc_u32_e32 v3, s5, v1
	v_ashrrev_i32_e32 v2, 31, v1
	s_delay_alu instid0(VALU_DEP_2) | instskip(SKIP_1) | instid1(VALU_DEP_3)
	v_add_nc_u32_e32 v5, s5, v3
	v_ashrrev_i32_e32 v4, 31, v3
	v_lshlrev_b64 v[1:2], 3, v[1:2]
	s_delay_alu instid0(VALU_DEP_3) | instskip(NEXT) | instid1(VALU_DEP_3)
	v_add_nc_u32_e32 v7, s5, v5
	v_lshlrev_b64 v[3:4], 3, v[3:4]
	v_ashrrev_i32_e32 v6, 31, v5
	s_delay_alu instid0(VALU_DEP_3)
	v_ashrrev_i32_e32 v8, 31, v7
	s_waitcnt lgkmcnt(0)
	s_add_u32 s2, s2, s6
	s_addc_u32 s3, s3, s7
	v_add_co_u32 v23, s4, s2, v113
	s_ashr_i32 s9, s5, 31
	v_add_co_ci_u32_e64 v24, null, s3, 0, s4
	s_lshl_b64 s[6:7], s[8:9], 3
	v_add_nc_u32_e32 v13, s5, v7
	v_add_co_u32 v9, vcc_lo, v23, s6
	s_delay_alu instid0(VALU_DEP_3)
	v_add_co_ci_u32_e32 v10, vcc_lo, s7, v24, vcc_lo
	s_clause 0x1
	global_load_b64 v[55:56], v113, s[2:3]
	global_load_b64 v[57:58], v[9:10], off
	v_lshlrev_b64 v[7:8], 3, v[7:8]
	v_add_co_u32 v25, vcc_lo, s2, v1
	v_add_co_ci_u32_e32 v26, vcc_lo, s3, v2, vcc_lo
	v_lshlrev_b64 v[5:6], 3, v[5:6]
	v_add_co_u32 v11, vcc_lo, s2, v3
	v_add_co_ci_u32_e32 v12, vcc_lo, s3, v4, vcc_lo
	v_add_co_u32 v1, vcc_lo, s2, v7
	v_add_co_ci_u32_e32 v2, vcc_lo, s3, v8, vcc_lo
	;; [unrolled: 2-line block ×3, first 2 shown]
	s_clause 0x3
	global_load_b64 v[65:66], v[1:2], off
	global_load_b64 v[67:68], v[25:26], off
	;; [unrolled: 1-line block ×4, first 2 shown]
	v_add_nc_u32_e32 v15, s5, v13
	v_ashrrev_i32_e32 v14, 31, v13
	s_cmpk_lg_i32 s1, 0x84
	s_delay_alu instid0(VALU_DEP_2) | instskip(SKIP_1) | instid1(VALU_DEP_3)
	v_add_nc_u32_e32 v3, s5, v15
	v_ashrrev_i32_e32 v16, 31, v15
	v_lshlrev_b64 v[13:14], 3, v[13:14]
	s_delay_alu instid0(VALU_DEP_3) | instskip(SKIP_1) | instid1(VALU_DEP_4)
	v_add_nc_u32_e32 v7, s5, v3
	v_ashrrev_i32_e32 v4, 31, v3
	v_lshlrev_b64 v[15:16], 3, v[15:16]
	s_delay_alu instid0(VALU_DEP_4) | instskip(NEXT) | instid1(VALU_DEP_4)
	v_add_co_u32 v35, vcc_lo, s2, v13
	v_add_nc_u32_e32 v17, s5, v7
	v_ashrrev_i32_e32 v8, 31, v7
	v_lshlrev_b64 v[3:4], 3, v[3:4]
	v_add_co_ci_u32_e32 v36, vcc_lo, s3, v14, vcc_lo
	s_delay_alu instid0(VALU_DEP_4) | instskip(SKIP_3) | instid1(VALU_DEP_4)
	v_add_nc_u32_e32 v19, s5, v17
	v_add_co_u32 v33, vcc_lo, s2, v15
	v_lshlrev_b64 v[7:8], 3, v[7:8]
	v_ashrrev_i32_e32 v18, 31, v17
	v_add_nc_u32_e32 v21, s5, v19
	v_add_co_ci_u32_e32 v34, vcc_lo, s3, v16, vcc_lo
	v_add_co_u32 v29, vcc_lo, s2, v3
	s_delay_alu instid0(VALU_DEP_3) | instskip(SKIP_3) | instid1(VALU_DEP_4)
	v_add_nc_u32_e32 v31, s5, v21
	v_ashrrev_i32_e32 v20, 31, v19
	v_add_co_ci_u32_e32 v30, vcc_lo, s3, v4, vcc_lo
	v_lshlrev_b64 v[3:4], 3, v[17:18]
	v_add_nc_u32_e32 v37, s5, v31
	v_add_co_u32 v27, vcc_lo, s2, v7
	v_add_co_ci_u32_e32 v28, vcc_lo, s3, v8, vcc_lo
	s_delay_alu instid0(VALU_DEP_3) | instskip(SKIP_3) | instid1(VALU_DEP_4)
	v_add_nc_u32_e32 v39, s5, v37
	v_lshlrev_b64 v[7:8], 3, v[19:20]
	v_ashrrev_i32_e32 v22, 31, v21
	v_add_co_u32 v19, vcc_lo, s2, v3
	v_add_nc_u32_e32 v41, s5, v39
	v_ashrrev_i32_e32 v32, 31, v31
	v_add_co_ci_u32_e32 v20, vcc_lo, s3, v4, vcc_lo
	v_lshlrev_b64 v[3:4], 3, v[21:22]
	s_delay_alu instid0(VALU_DEP_4) | instskip(SKIP_2) | instid1(VALU_DEP_3)
	v_add_nc_u32_e32 v43, s5, v41
	v_add_co_u32 v21, vcc_lo, s2, v7
	v_add_co_ci_u32_e32 v22, vcc_lo, s3, v8, vcc_lo
	v_add_nc_u32_e32 v45, s5, v43
	v_lshlrev_b64 v[7:8], 3, v[31:32]
	v_ashrrev_i32_e32 v38, 31, v37
	v_add_co_u32 v15, vcc_lo, s2, v3
	s_delay_alu instid0(VALU_DEP_4)
	v_add_nc_u32_e32 v47, s5, v45
	v_ashrrev_i32_e32 v40, 31, v39
	s_clause 0x2
	global_load_b64 v[71:72], v[35:36], off
	global_load_b64 v[73:74], v[33:34], off
	;; [unrolled: 1-line block ×3, first 2 shown]
	v_add_co_ci_u32_e32 v16, vcc_lo, s3, v4, vcc_lo
	v_add_nc_u32_e32 v49, s5, v47
	v_lshlrev_b64 v[3:4], 3, v[37:38]
	global_load_b64 v[77:78], v[27:28], off
	v_add_co_u32 v13, vcc_lo, s2, v7
	v_add_nc_u32_e32 v51, s5, v49
	v_ashrrev_i32_e32 v42, 31, v41
	v_add_co_ci_u32_e32 v14, vcc_lo, s3, v8, vcc_lo
	v_lshlrev_b64 v[7:8], 3, v[39:40]
	s_delay_alu instid0(VALU_DEP_4) | instskip(SKIP_3) | instid1(VALU_DEP_4)
	v_add_nc_u32_e32 v53, s5, v51
	v_ashrrev_i32_e32 v44, 31, v43
	v_add_co_u32 v3, vcc_lo, s2, v3
	v_lshlrev_b64 v[17:18], 3, v[41:42]
	v_add_nc_u32_e32 v59, s5, v53
	v_ashrrev_i32_e32 v46, 31, v45
	v_add_co_ci_u32_e32 v4, vcc_lo, s3, v4, vcc_lo
	v_add_co_u32 v7, vcc_lo, s2, v7
	s_delay_alu instid0(VALU_DEP_4) | instskip(SKIP_3) | instid1(VALU_DEP_4)
	v_add_nc_u32_e32 v61, s5, v59
	v_lshlrev_b64 v[31:32], 3, v[43:44]
	v_ashrrev_i32_e32 v48, 31, v47
	v_add_co_ci_u32_e32 v8, vcc_lo, s3, v8, vcc_lo
	v_add_nc_u32_e32 v103, s5, v61
	s_clause 0x2
	global_load_b64 v[79:80], v[19:20], off
	global_load_b64 v[81:82], v[21:22], off
	;; [unrolled: 1-line block ×3, first 2 shown]
	v_add_co_u32 v17, vcc_lo, s2, v17
	v_lshlrev_b64 v[37:38], 3, v[45:46]
	v_add_nc_u32_e32 v111, s5, v103
	global_load_b64 v[85:86], v[13:14], off
	v_ashrrev_i32_e32 v50, 31, v49
	v_add_co_ci_u32_e32 v18, vcc_lo, s3, v18, vcc_lo
	v_add_nc_u32_e32 v114, s5, v111
	v_add_co_u32 v31, vcc_lo, s2, v31
	v_lshlrev_b64 v[39:40], 3, v[47:48]
	v_ashrrev_i32_e32 v52, 31, v51
	s_delay_alu instid0(VALU_DEP_4) | instskip(SKIP_2) | instid1(VALU_DEP_3)
	v_add_nc_u32_e32 v116, s5, v114
	v_add_co_ci_u32_e32 v32, vcc_lo, s3, v32, vcc_lo
	v_add_co_u32 v37, vcc_lo, s2, v37
	v_add_nc_u32_e32 v118, s5, v116
	v_lshlrev_b64 v[41:42], 3, v[49:50]
	v_ashrrev_i32_e32 v54, 31, v53
	v_add_co_ci_u32_e32 v38, vcc_lo, s3, v38, vcc_lo
	s_delay_alu instid0(VALU_DEP_4) | instskip(SKIP_3) | instid1(VALU_DEP_4)
	v_add_nc_u32_e32 v122, s5, v118
	v_add_co_u32 v39, vcc_lo, s2, v39
	v_lshlrev_b64 v[43:44], 3, v[51:52]
	v_add_co_ci_u32_e32 v40, vcc_lo, s3, v40, vcc_lo
	v_add_nc_u32_e32 v124, s5, v122
	s_clause 0x2
	global_load_b64 v[87:88], v[3:4], off
	global_load_b64 v[89:90], v[7:8], off
	;; [unrolled: 1-line block ×3, first 2 shown]
	v_add_co_u32 v41, vcc_lo, s2, v41
	v_lshlrev_b64 v[45:46], 3, v[53:54]
	v_add_nc_u32_e32 v126, s5, v124
	v_ashrrev_i32_e32 v60, 31, v59
	global_load_b64 v[93:94], v[31:32], off
	v_add_co_ci_u32_e32 v42, vcc_lo, s3, v42, vcc_lo
	v_add_nc_u32_e32 v128, s5, v126
	v_add_co_u32 v43, vcc_lo, s2, v43
	v_ashrrev_i32_e32 v62, 31, v61
	v_add_co_ci_u32_e32 v44, vcc_lo, s3, v44, vcc_lo
	s_delay_alu instid0(VALU_DEP_4) | instskip(SKIP_3) | instid1(VALU_DEP_4)
	v_add_nc_u32_e32 v130, s5, v128
	v_lshlrev_b64 v[49:50], 3, v[59:60]
	v_add_co_u32 v47, vcc_lo, s2, v45
	v_add_co_ci_u32_e32 v48, vcc_lo, s3, v46, vcc_lo
	v_add_nc_u32_e32 v132, s5, v130
	v_lshlrev_b64 v[45:46], 3, v[61:62]
	v_ashrrev_i32_e32 v104, 31, v103
	v_add_co_u32 v49, vcc_lo, s2, v49
	s_delay_alu instid0(VALU_DEP_4)
	v_add_nc_u32_e32 v134, s5, v132
	s_clause 0x3
	global_load_b64 v[95:96], v[37:38], off
	global_load_b64 v[97:98], v[39:40], off
	global_load_b64 v[99:100], v[41:42], off
	global_load_b64 v[101:102], v[43:44], off
	v_add_co_ci_u32_e32 v50, vcc_lo, s3, v50, vcc_lo
	v_add_nc_u32_e32 v136, s5, v134
	v_lshlrev_b64 v[53:54], 3, v[103:104]
	v_ashrrev_i32_e32 v112, 31, v111
	v_ashrrev_i32_e32 v115, 31, v114
	;; [unrolled: 1-line block ×3, first 2 shown]
	v_add_nc_u32_e32 v138, s5, v136
	v_ashrrev_i32_e32 v119, 31, v118
	v_ashrrev_i32_e32 v123, 31, v122
	;; [unrolled: 1-line block ×4, first 2 shown]
	v_add_nc_u32_e32 v140, s5, v138
	v_lshlrev_b64 v[61:62], 3, v[118:119]
	v_ashrrev_i32_e32 v129, 31, v128
	v_ashrrev_i32_e32 v131, 31, v130
	;; [unrolled: 1-line block ×3, first 2 shown]
	v_add_nc_u32_e32 v142, s5, v140
	v_ashrrev_i32_e32 v135, 31, v134
	v_ashrrev_i32_e32 v137, 31, v136
	;; [unrolled: 1-line block ×4, first 2 shown]
	v_add_nc_u32_e32 v144, s5, v142
	v_ashrrev_i32_e32 v143, 31, v142
	s_delay_alu instid0(VALU_DEP_2) | instskip(SKIP_1) | instid1(VALU_DEP_2)
	v_add_nc_u32_e32 v146, s5, v144
	v_ashrrev_i32_e32 v145, 31, v144
	v_add_nc_u32_e32 v148, s5, v146
	v_ashrrev_i32_e32 v147, 31, v146
	s_delay_alu instid0(VALU_DEP_2) | instskip(SKIP_1) | instid1(VALU_DEP_2)
	v_add_nc_u32_e32 v150, s5, v148
	v_ashrrev_i32_e32 v149, 31, v148
	;; [unrolled: 5-line block ×7, first 2 shown]
	v_ashrrev_i32_e32 v52, 31, v51
	s_delay_alu instid0(VALU_DEP_1) | instskip(SKIP_2) | instid1(VALU_DEP_3)
	v_lshlrev_b64 v[59:60], 3, v[51:52]
	v_add_co_u32 v51, vcc_lo, s2, v45
	v_add_co_ci_u32_e32 v52, vcc_lo, s3, v46, vcc_lo
	v_add_co_u32 v45, vcc_lo, s2, v59
	s_delay_alu instid0(VALU_DEP_4)
	v_add_co_ci_u32_e32 v46, vcc_lo, s3, v60, vcc_lo
	v_add_co_u32 v53, vcc_lo, s2, v53
	v_add_co_ci_u32_e32 v54, vcc_lo, s3, v54, vcc_lo
	global_load_b64 v[170:171], v[45:46], off
	v_lshlrev_b64 v[59:60], 3, v[116:117]
	s_waitcnt vmcnt(21)
	scratch_store_b128 off, v[55:58], off
	v_lshlrev_b64 v[55:56], 3, v[111:112]
	v_lshlrev_b64 v[57:58], 3, v[114:115]
	s_clause 0x3
	global_load_b64 v[103:104], v[47:48], off
	global_load_b64 v[105:106], v[49:50], off
	;; [unrolled: 1-line block ×4, first 2 shown]
	v_lshlrev_b64 v[111:112], 3, v[130:131]
	s_waitcnt vmcnt(22)
	scratch_store_b128 off, v[67:70], off offset:16
	s_waitcnt vmcnt(21)
	scratch_store_b128 off, v[63:66], off offset:32
	v_add_co_u32 v55, vcc_lo, s2, v55
	v_add_co_ci_u32_e32 v56, vcc_lo, s3, v56, vcc_lo
	v_add_co_u32 v57, vcc_lo, s2, v57
	v_add_co_ci_u32_e32 v58, vcc_lo, s3, v58, vcc_lo
	;; [unrolled: 2-line block ×4, first 2 shown]
	s_clause 0x3
	global_load_b64 v[114:115], v[55:56], off
	global_load_b64 v[116:117], v[57:58], off
	;; [unrolled: 1-line block ×4, first 2 shown]
	v_lshlrev_b64 v[63:64], 3, v[122:123]
	v_lshlrev_b64 v[65:66], 3, v[124:125]
	;; [unrolled: 1-line block ×4, first 2 shown]
	s_waitcnt vmcnt(23)
	scratch_store_b128 off, v[71:74], off offset:48
	s_waitcnt vmcnt(21)
	scratch_store_b128 off, v[75:78], off offset:64
	v_add_co_u32 v63, vcc_lo, s2, v63
	v_add_co_ci_u32_e32 v64, vcc_lo, s3, v64, vcc_lo
	v_add_co_u32 v65, vcc_lo, s2, v65
	v_add_co_ci_u32_e32 v66, vcc_lo, s3, v66, vcc_lo
	;; [unrolled: 2-line block ×3, first 2 shown]
	v_add_co_u32 v69, vcc_lo, s2, v69
	v_lshlrev_b64 v[73:74], 3, v[132:133]
	v_add_co_ci_u32_e32 v70, vcc_lo, s3, v70, vcc_lo
	v_add_co_u32 v71, vcc_lo, s2, v111
	v_lshlrev_b64 v[75:76], 3, v[134:135]
	v_add_co_ci_u32_e32 v72, vcc_lo, s3, v112, vcc_lo
	;; [unrolled: 3-line block ×4, first 2 shown]
	s_clause 0x2
	global_load_b64 v[122:123], v[63:64], off
	global_load_b64 v[124:125], v[65:66], off
	global_load_b64 v[126:127], v[67:68], off
	s_waitcnt vmcnt(22)
	scratch_store_b128 off, v[79:82], off offset:80
	s_waitcnt vmcnt(20)
	scratch_store_b128 off, v[83:86], off offset:96
	v_add_co_u32 v77, vcc_lo, s2, v77
	v_lshlrev_b64 v[81:82], 3, v[140:141]
	v_add_co_ci_u32_e32 v78, vcc_lo, s3, v78, vcc_lo
	v_add_co_u32 v79, vcc_lo, s2, v111
	v_lshlrev_b64 v[83:84], 3, v[142:143]
	v_add_co_ci_u32_e32 v80, vcc_lo, s3, v112, vcc_lo
	v_add_co_u32 v81, vcc_lo, s2, v81
	v_lshlrev_b64 v[85:86], 3, v[144:145]
	v_add_co_ci_u32_e32 v82, vcc_lo, s3, v82, vcc_lo
	v_add_co_u32 v83, vcc_lo, s2, v83
	v_lshlrev_b64 v[111:112], 3, v[146:147]
	v_add_co_ci_u32_e32 v84, vcc_lo, s3, v84, vcc_lo
	s_clause 0x3
	global_load_b64 v[128:129], v[69:70], off
	global_load_b64 v[130:131], v[71:72], off
	global_load_b64 v[132:133], v[73:74], off
	global_load_b64 v[134:135], v[75:76], off
	s_waitcnt vmcnt(22)
	scratch_store_b128 off, v[87:90], off offset:112
	s_waitcnt vmcnt(20)
	scratch_store_b128 off, v[91:94], off offset:128
	v_add_co_u32 v85, vcc_lo, s2, v85
	v_lshlrev_b64 v[89:90], 3, v[148:149]
	v_add_co_ci_u32_e32 v86, vcc_lo, s3, v86, vcc_lo
	v_add_co_u32 v87, vcc_lo, s2, v111
	v_lshlrev_b64 v[91:92], 3, v[150:151]
	v_add_co_ci_u32_e32 v88, vcc_lo, s3, v112, vcc_lo
	v_add_co_u32 v89, vcc_lo, s2, v89
	v_lshlrev_b64 v[93:94], 3, v[152:153]
	v_add_co_ci_u32_e32 v90, vcc_lo, s3, v90, vcc_lo
	v_add_co_u32 v91, vcc_lo, s2, v91
	v_lshlrev_b64 v[111:112], 3, v[154:155]
	v_add_co_ci_u32_e32 v92, vcc_lo, s3, v92, vcc_lo
	s_clause 0x3
	global_load_b64 v[136:137], v[77:78], off
	;; [unrolled: 21-line block ×3, first 2 shown]
	global_load_b64 v[146:147], v[87:88], off
	global_load_b64 v[148:149], v[89:90], off
	;; [unrolled: 1-line block ×3, first 2 shown]
	v_add_co_u32 v101, vcc_lo, s2, v101
	v_add_co_ci_u32_e32 v102, vcc_lo, s3, v102, vcc_lo
	s_waitcnt vmcnt(21)
	scratch_store_b128 off, v[103:106], off offset:176
	s_waitcnt vmcnt(19)
	scratch_store_b128 off, v[107:110], off offset:192
	v_lshlrev_b64 v[105:106], 3, v[164:165]
	v_add_co_u32 v103, vcc_lo, s2, v111
	v_lshlrev_b64 v[107:108], 3, v[166:167]
	v_add_co_ci_u32_e32 v104, vcc_lo, s3, v112, vcc_lo
	s_delay_alu instid0(VALU_DEP_4) | instskip(SKIP_4) | instid1(VALU_DEP_4)
	v_add_co_u32 v105, vcc_lo, s2, v105
	v_lshlrev_b64 v[109:110], 3, v[168:169]
	v_add_co_ci_u32_e32 v106, vcc_lo, s3, v106, vcc_lo
	v_add_co_u32 v107, vcc_lo, s2, v107
	v_add_co_ci_u32_e32 v108, vcc_lo, s3, v108, vcc_lo
	v_add_co_u32 v109, vcc_lo, s2, v109
	s_clause 0x3
	global_load_b64 v[152:153], v[93:94], off
	global_load_b64 v[154:155], v[95:96], off
	;; [unrolled: 1-line block ×4, first 2 shown]
	v_add_co_ci_u32_e32 v110, vcc_lo, s3, v110, vcc_lo
	s_waitcnt vmcnt(21)
	scratch_store_b128 off, v[114:117], off offset:208
	s_waitcnt vmcnt(19)
	scratch_store_b128 off, v[118:121], off offset:224
	s_clause 0x4
	global_load_b64 v[160:161], v[101:102], off
	global_load_b64 v[114:115], v[103:104], off
	;; [unrolled: 1-line block ×5, first 2 shown]
	v_mov_b32_e32 v111, 0
	v_mov_b32_e32 v112, 0xbff00000
	s_cselect_b32 s3, -1, 0
	s_cmpk_eq_i32 s1, 0x84
	s_waitcnt vmcnt(22)
	scratch_store_b128 off, v[122:125], off offset:240
	s_waitcnt vmcnt(20)
	scratch_store_b128 off, v[126:129], off offset:256
	;; [unrolled: 2-line block ×11, first 2 shown]
	s_waitcnt vmcnt(0)
	s_clause 0x1
	scratch_store_b128 off, v[118:121], off offset:416
	scratch_store_b64 off, v[170:171], off offset:432
	s_cbranch_scc1 .LBB118_3
; %bb.2:
	scratch_load_b64 v[111:112], v113, off
	s_waitcnt vmcnt(0)
	v_div_scale_f64 v[114:115], null, v[111:112], v[111:112], 1.0
	v_div_scale_f64 v[120:121], vcc_lo, 1.0, v[111:112], 1.0
	s_delay_alu instid0(VALU_DEP_2) | instskip(SKIP_2) | instid1(VALU_DEP_1)
	v_rcp_f64_e32 v[116:117], v[114:115]
	s_waitcnt_depctr 0xfff
	v_fma_f64 v[118:119], -v[114:115], v[116:117], 1.0
	v_fma_f64 v[116:117], v[116:117], v[118:119], v[116:117]
	s_delay_alu instid0(VALU_DEP_1) | instskip(NEXT) | instid1(VALU_DEP_1)
	v_fma_f64 v[118:119], -v[114:115], v[116:117], 1.0
	v_fma_f64 v[116:117], v[116:117], v[118:119], v[116:117]
	s_delay_alu instid0(VALU_DEP_1) | instskip(NEXT) | instid1(VALU_DEP_1)
	v_mul_f64 v[118:119], v[120:121], v[116:117]
	v_fma_f64 v[114:115], -v[114:115], v[118:119], v[120:121]
	s_delay_alu instid0(VALU_DEP_1) | instskip(NEXT) | instid1(VALU_DEP_1)
	v_div_fmas_f64 v[114:115], v[114:115], v[116:117], v[118:119]
	v_div_fixup_f64 v[111:112], v[114:115], v[111:112], 1.0
	scratch_store_b64 v113, v[111:112], off
	v_xor_b32_e32 v112, 0x80000000, v112
.LBB118_3:
	v_add_nc_u32_e32 v114, 0x1c0, v113
	v_add_nc_u32_e32 v115, 0, v113
	s_cmpk_eq_i32 s0, 0x79
	s_mov_b32 s0, -1
	ds_store_b64 v113, v[111:112]
	s_cbranch_scc1 .LBB118_539
; %bb.4:
	scratch_load_b64 v[111:112], off, off offset:424
	v_cmp_eq_u32_e64 s0, 54, v0
	s_movk_i32 s1, 0x50
	s_movk_i32 s2, 0x60
	;; [unrolled: 1-line block ×22, first 2 shown]
	s_waitcnt vmcnt(0)
	ds_store_b64 v114, v[111:112]
	s_waitcnt lgkmcnt(0)
	s_waitcnt_vscnt null, 0x0
	s_barrier
	buffer_gl0_inv
	s_and_saveexec_b32 s24, s0
	s_cbranch_execz .LBB118_10
; %bb.5:
	s_and_b32 vcc_lo, exec_lo, s3
	s_cbranch_vccz .LBB118_7
; %bb.6:
	scratch_load_b64 v[111:112], v115, off
	ds_load_b64 v[116:117], v114
	s_waitcnt vmcnt(0) lgkmcnt(0)
	v_mul_f64 v[111:112], v[111:112], v[116:117]
	s_cbranch_execz .LBB118_8
	s_branch .LBB118_9
.LBB118_7:
                                        ; implicit-def: $vgpr111_vgpr112
.LBB118_8:
	ds_load_b64 v[111:112], v114
.LBB118_9:
	v_mov_b32_e32 v116, 0
	ds_load_b64 v[116:117], v116 offset:424
	s_waitcnt lgkmcnt(0)
	v_mul_f64 v[111:112], v[111:112], v[116:117]
	scratch_store_b64 off, v[111:112], off offset:424
.LBB118_10:
	s_or_b32 exec_lo, exec_lo, s24
	scratch_load_b64 v[111:112], off, off offset:416
	v_add_nc_u32_e64 v116, 0, 16
	v_add_nc_u32_e64 v117, 0, 32
	;; [unrolled: 1-line block ×26, first 2 shown]
	v_cmp_lt_u32_e64 s2, 52, v0
	s_waitcnt vmcnt(0)
	ds_store_b64 v114, v[111:112]
	s_waitcnt lgkmcnt(0)
	s_waitcnt_vscnt null, 0x0
	s_barrier
	buffer_gl0_inv
	s_and_saveexec_b32 s1, s2
	s_cbranch_execz .LBB118_18
; %bb.11:
	s_and_not1_b32 vcc_lo, exec_lo, s3
	s_cbranch_vccnz .LBB118_13
; %bb.12:
	scratch_load_b64 v[111:112], v115, off
	ds_load_b64 v[142:143], v114
	s_waitcnt vmcnt(0) lgkmcnt(0)
	v_mul_f64 v[111:112], v[111:112], v[142:143]
	s_cbranch_execz .LBB118_14
	s_branch .LBB118_15
.LBB118_13:
                                        ; implicit-def: $vgpr111_vgpr112
.LBB118_14:
	ds_load_b64 v[111:112], v114
.LBB118_15:
	s_and_saveexec_b32 s4, s0
	s_cbranch_execz .LBB118_17
; %bb.16:
	scratch_load_b64 v[142:143], off, off offset:424
	v_mov_b32_e32 v144, 0
	ds_load_b64 v[144:145], v144 offset:872
	s_waitcnt vmcnt(0) lgkmcnt(0)
	v_fma_f64 v[111:112], v[142:143], v[144:145], v[111:112]
.LBB118_17:
	s_or_b32 exec_lo, exec_lo, s4
	v_mov_b32_e32 v142, 0
	ds_load_b64 v[142:143], v142 offset:416
	s_waitcnt lgkmcnt(0)
	v_mul_f64 v[111:112], v[111:112], v[142:143]
	scratch_store_b64 off, v[111:112], off offset:416
.LBB118_18:
	s_or_b32 exec_lo, exec_lo, s1
	scratch_load_b64 v[111:112], off, off offset:408
	v_cmp_lt_u32_e64 s1, 51, v0
	s_waitcnt vmcnt(0)
	ds_store_b64 v114, v[111:112]
	s_waitcnt lgkmcnt(0)
	s_waitcnt_vscnt null, 0x0
	s_barrier
	buffer_gl0_inv
	s_and_saveexec_b32 s0, s1
	s_cbranch_execz .LBB118_28
; %bb.19:
	s_and_not1_b32 vcc_lo, exec_lo, s3
	s_cbranch_vccnz .LBB118_21
; %bb.20:
	scratch_load_b64 v[111:112], v115, off
	ds_load_b64 v[142:143], v114
	s_waitcnt vmcnt(0) lgkmcnt(0)
	v_mul_f64 v[111:112], v[111:112], v[142:143]
	s_cbranch_execz .LBB118_22
	s_branch .LBB118_23
.LBB118_21:
                                        ; implicit-def: $vgpr111_vgpr112
.LBB118_22:
	ds_load_b64 v[111:112], v114
.LBB118_23:
	s_and_saveexec_b32 s4, s2
	s_cbranch_execz .LBB118_27
; %bb.24:
	v_subrev_nc_u32_e32 v142, 52, v0
	s_movk_i32 s5, 0x360
	s_mov_b32 s2, 0
.LBB118_25:                             ; =>This Inner Loop Header: Depth=1
	scratch_load_b64 v[143:144], v141, off
	v_dual_mov_b32 v145, s5 :: v_dual_add_nc_u32 v142, -1, v142
	v_add_nc_u32_e32 v141, 8, v141
	s_add_i32 s5, s5, 8
	ds_load_b64 v[145:146], v145
	v_cmp_eq_u32_e32 vcc_lo, 0, v142
	s_or_b32 s2, vcc_lo, s2
	s_waitcnt vmcnt(0) lgkmcnt(0)
	v_fma_f64 v[111:112], v[143:144], v[145:146], v[111:112]
	s_and_not1_b32 exec_lo, exec_lo, s2
	s_cbranch_execnz .LBB118_25
; %bb.26:
	s_or_b32 exec_lo, exec_lo, s2
.LBB118_27:
	s_delay_alu instid0(SALU_CYCLE_1)
	s_or_b32 exec_lo, exec_lo, s4
	v_mov_b32_e32 v141, 0
	ds_load_b64 v[141:142], v141 offset:408
	s_waitcnt lgkmcnt(0)
	v_mul_f64 v[111:112], v[111:112], v[141:142]
	scratch_store_b64 off, v[111:112], off offset:408
.LBB118_28:
	s_or_b32 exec_lo, exec_lo, s0
	scratch_load_b64 v[111:112], off, off offset:400
	v_cmp_lt_u32_e64 s0, 50, v0
	s_waitcnt vmcnt(0)
	ds_store_b64 v114, v[111:112]
	s_waitcnt lgkmcnt(0)
	s_waitcnt_vscnt null, 0x0
	s_barrier
	buffer_gl0_inv
	s_and_saveexec_b32 s2, s0
	s_cbranch_execz .LBB118_38
; %bb.29:
	s_and_not1_b32 vcc_lo, exec_lo, s3
	s_cbranch_vccnz .LBB118_31
; %bb.30:
	scratch_load_b64 v[111:112], v115, off
	ds_load_b64 v[141:142], v114
	s_waitcnt vmcnt(0) lgkmcnt(0)
	v_mul_f64 v[111:112], v[111:112], v[141:142]
	s_cbranch_execz .LBB118_32
	s_branch .LBB118_33
.LBB118_31:
                                        ; implicit-def: $vgpr111_vgpr112
.LBB118_32:
	ds_load_b64 v[111:112], v114
.LBB118_33:
	s_and_saveexec_b32 s4, s1
	s_cbranch_execz .LBB118_37
; %bb.34:
	v_mov_b32_e32 v141, 0
	v_subrev_nc_u32_e32 v142, 51, v0
	s_movk_i32 s5, 0x358
	s_mov_b32 s1, 0
	s_delay_alu instid0(VALU_DEP_2)
	v_add_nc_u32_e32 v141, 0x198, v141
.LBB118_35:                             ; =>This Inner Loop Header: Depth=1
	scratch_load_b64 v[143:144], v141, off
	v_dual_mov_b32 v145, s5 :: v_dual_add_nc_u32 v142, -1, v142
	v_add_nc_u32_e32 v141, 8, v141
	s_add_i32 s5, s5, 8
	ds_load_b64 v[145:146], v145
	v_cmp_eq_u32_e32 vcc_lo, 0, v142
	s_or_b32 s1, vcc_lo, s1
	s_waitcnt vmcnt(0) lgkmcnt(0)
	v_fma_f64 v[111:112], v[143:144], v[145:146], v[111:112]
	s_and_not1_b32 exec_lo, exec_lo, s1
	s_cbranch_execnz .LBB118_35
; %bb.36:
	s_or_b32 exec_lo, exec_lo, s1
.LBB118_37:
	s_delay_alu instid0(SALU_CYCLE_1)
	s_or_b32 exec_lo, exec_lo, s4
	v_mov_b32_e32 v141, 0
	ds_load_b64 v[141:142], v141 offset:400
	s_waitcnt lgkmcnt(0)
	v_mul_f64 v[111:112], v[111:112], v[141:142]
	scratch_store_b64 off, v[111:112], off offset:400
.LBB118_38:
	s_or_b32 exec_lo, exec_lo, s2
	scratch_load_b64 v[111:112], off, off offset:392
	v_cmp_lt_u32_e64 s1, 49, v0
	s_waitcnt vmcnt(0)
	ds_store_b64 v114, v[111:112]
	s_waitcnt lgkmcnt(0)
	s_waitcnt_vscnt null, 0x0
	s_barrier
	buffer_gl0_inv
	s_and_saveexec_b32 s2, s1
	s_cbranch_execz .LBB118_48
; %bb.39:
	s_and_not1_b32 vcc_lo, exec_lo, s3
	s_cbranch_vccnz .LBB118_41
; %bb.40:
	scratch_load_b64 v[111:112], v115, off
	ds_load_b64 v[141:142], v114
	s_waitcnt vmcnt(0) lgkmcnt(0)
	v_mul_f64 v[111:112], v[111:112], v[141:142]
	s_cbranch_execz .LBB118_42
	s_branch .LBB118_43
.LBB118_41:
                                        ; implicit-def: $vgpr111_vgpr112
.LBB118_42:
	ds_load_b64 v[111:112], v114
.LBB118_43:
	s_and_saveexec_b32 s4, s0
	s_cbranch_execz .LBB118_47
; %bb.44:
	v_subrev_nc_u32_e32 v141, 50, v0
	s_movk_i32 s5, 0x350
	s_mov_b32 s0, 0
.LBB118_45:                             ; =>This Inner Loop Header: Depth=1
	scratch_load_b64 v[142:143], v140, off
	v_dual_mov_b32 v144, s5 :: v_dual_add_nc_u32 v141, -1, v141
	v_add_nc_u32_e32 v140, 8, v140
	s_add_i32 s5, s5, 8
	ds_load_b64 v[144:145], v144
	v_cmp_eq_u32_e32 vcc_lo, 0, v141
	s_or_b32 s0, vcc_lo, s0
	s_waitcnt vmcnt(0) lgkmcnt(0)
	v_fma_f64 v[111:112], v[142:143], v[144:145], v[111:112]
	s_and_not1_b32 exec_lo, exec_lo, s0
	s_cbranch_execnz .LBB118_45
; %bb.46:
	s_or_b32 exec_lo, exec_lo, s0
.LBB118_47:
	s_delay_alu instid0(SALU_CYCLE_1)
	s_or_b32 exec_lo, exec_lo, s4
	v_mov_b32_e32 v140, 0
	ds_load_b64 v[140:141], v140 offset:392
	s_waitcnt lgkmcnt(0)
	v_mul_f64 v[111:112], v[111:112], v[140:141]
	scratch_store_b64 off, v[111:112], off offset:392
.LBB118_48:
	s_or_b32 exec_lo, exec_lo, s2
	scratch_load_b64 v[111:112], off, off offset:384
	v_cmp_lt_u32_e64 s0, 48, v0
	s_waitcnt vmcnt(0)
	ds_store_b64 v114, v[111:112]
	s_waitcnt lgkmcnt(0)
	s_waitcnt_vscnt null, 0x0
	s_barrier
	buffer_gl0_inv
	s_and_saveexec_b32 s2, s0
	s_cbranch_execz .LBB118_58
; %bb.49:
	s_and_not1_b32 vcc_lo, exec_lo, s3
	s_cbranch_vccnz .LBB118_51
; %bb.50:
	scratch_load_b64 v[111:112], v115, off
	ds_load_b64 v[140:141], v114
	s_waitcnt vmcnt(0) lgkmcnt(0)
	v_mul_f64 v[111:112], v[111:112], v[140:141]
	s_cbranch_execz .LBB118_52
	s_branch .LBB118_53
.LBB118_51:
                                        ; implicit-def: $vgpr111_vgpr112
.LBB118_52:
	ds_load_b64 v[111:112], v114
.LBB118_53:
	s_and_saveexec_b32 s4, s1
	s_cbranch_execz .LBB118_57
; %bb.54:
	v_mov_b32_e32 v140, 0
	v_subrev_nc_u32_e32 v141, 49, v0
	s_movk_i32 s5, 0x348
	s_mov_b32 s1, 0
	s_delay_alu instid0(VALU_DEP_2)
	v_add_nc_u32_e32 v140, 0x188, v140
.LBB118_55:                             ; =>This Inner Loop Header: Depth=1
	scratch_load_b64 v[142:143], v140, off
	v_dual_mov_b32 v144, s5 :: v_dual_add_nc_u32 v141, -1, v141
	v_add_nc_u32_e32 v140, 8, v140
	s_add_i32 s5, s5, 8
	ds_load_b64 v[144:145], v144
	v_cmp_eq_u32_e32 vcc_lo, 0, v141
	s_or_b32 s1, vcc_lo, s1
	s_waitcnt vmcnt(0) lgkmcnt(0)
	v_fma_f64 v[111:112], v[142:143], v[144:145], v[111:112]
	s_and_not1_b32 exec_lo, exec_lo, s1
	s_cbranch_execnz .LBB118_55
; %bb.56:
	s_or_b32 exec_lo, exec_lo, s1
.LBB118_57:
	s_delay_alu instid0(SALU_CYCLE_1)
	s_or_b32 exec_lo, exec_lo, s4
	v_mov_b32_e32 v140, 0
	ds_load_b64 v[140:141], v140 offset:384
	s_waitcnt lgkmcnt(0)
	v_mul_f64 v[111:112], v[111:112], v[140:141]
	scratch_store_b64 off, v[111:112], off offset:384
.LBB118_58:
	s_or_b32 exec_lo, exec_lo, s2
	scratch_load_b64 v[111:112], off, off offset:376
	v_cmp_lt_u32_e64 s1, 47, v0
	s_waitcnt vmcnt(0)
	ds_store_b64 v114, v[111:112]
	s_waitcnt lgkmcnt(0)
	s_waitcnt_vscnt null, 0x0
	s_barrier
	buffer_gl0_inv
	s_and_saveexec_b32 s2, s1
	s_cbranch_execz .LBB118_68
; %bb.59:
	s_and_not1_b32 vcc_lo, exec_lo, s3
	s_cbranch_vccnz .LBB118_61
; %bb.60:
	scratch_load_b64 v[111:112], v115, off
	ds_load_b64 v[140:141], v114
	s_waitcnt vmcnt(0) lgkmcnt(0)
	v_mul_f64 v[111:112], v[111:112], v[140:141]
	s_cbranch_execz .LBB118_62
	s_branch .LBB118_63
.LBB118_61:
                                        ; implicit-def: $vgpr111_vgpr112
.LBB118_62:
	ds_load_b64 v[111:112], v114
.LBB118_63:
	s_and_saveexec_b32 s4, s0
	s_cbranch_execz .LBB118_67
; %bb.64:
	v_subrev_nc_u32_e32 v140, 48, v0
	s_movk_i32 s5, 0x340
	s_mov_b32 s0, 0
.LBB118_65:                             ; =>This Inner Loop Header: Depth=1
	scratch_load_b64 v[141:142], v139, off
	v_dual_mov_b32 v143, s5 :: v_dual_add_nc_u32 v140, -1, v140
	v_add_nc_u32_e32 v139, 8, v139
	s_add_i32 s5, s5, 8
	ds_load_b64 v[143:144], v143
	v_cmp_eq_u32_e32 vcc_lo, 0, v140
	s_or_b32 s0, vcc_lo, s0
	s_waitcnt vmcnt(0) lgkmcnt(0)
	v_fma_f64 v[111:112], v[141:142], v[143:144], v[111:112]
	s_and_not1_b32 exec_lo, exec_lo, s0
	s_cbranch_execnz .LBB118_65
; %bb.66:
	s_or_b32 exec_lo, exec_lo, s0
.LBB118_67:
	s_delay_alu instid0(SALU_CYCLE_1)
	s_or_b32 exec_lo, exec_lo, s4
	v_mov_b32_e32 v139, 0
	ds_load_b64 v[139:140], v139 offset:376
	s_waitcnt lgkmcnt(0)
	v_mul_f64 v[111:112], v[111:112], v[139:140]
	scratch_store_b64 off, v[111:112], off offset:376
.LBB118_68:
	s_or_b32 exec_lo, exec_lo, s2
	scratch_load_b64 v[111:112], off, off offset:368
	v_cmp_lt_u32_e64 s0, 46, v0
	s_waitcnt vmcnt(0)
	ds_store_b64 v114, v[111:112]
	s_waitcnt lgkmcnt(0)
	s_waitcnt_vscnt null, 0x0
	s_barrier
	buffer_gl0_inv
	s_and_saveexec_b32 s2, s0
	s_cbranch_execz .LBB118_78
; %bb.69:
	s_and_not1_b32 vcc_lo, exec_lo, s3
	s_cbranch_vccnz .LBB118_71
; %bb.70:
	scratch_load_b64 v[111:112], v115, off
	ds_load_b64 v[139:140], v114
	s_waitcnt vmcnt(0) lgkmcnt(0)
	v_mul_f64 v[111:112], v[111:112], v[139:140]
	s_cbranch_execz .LBB118_72
	s_branch .LBB118_73
.LBB118_71:
                                        ; implicit-def: $vgpr111_vgpr112
.LBB118_72:
	ds_load_b64 v[111:112], v114
.LBB118_73:
	s_and_saveexec_b32 s4, s1
	s_cbranch_execz .LBB118_77
; %bb.74:
	v_mov_b32_e32 v139, 0
	v_subrev_nc_u32_e32 v140, 47, v0
	s_movk_i32 s5, 0x338
	s_mov_b32 s1, 0
	s_delay_alu instid0(VALU_DEP_2)
	v_add_nc_u32_e32 v139, 0x178, v139
.LBB118_75:                             ; =>This Inner Loop Header: Depth=1
	scratch_load_b64 v[141:142], v139, off
	v_dual_mov_b32 v143, s5 :: v_dual_add_nc_u32 v140, -1, v140
	v_add_nc_u32_e32 v139, 8, v139
	s_add_i32 s5, s5, 8
	ds_load_b64 v[143:144], v143
	v_cmp_eq_u32_e32 vcc_lo, 0, v140
	s_or_b32 s1, vcc_lo, s1
	s_waitcnt vmcnt(0) lgkmcnt(0)
	v_fma_f64 v[111:112], v[141:142], v[143:144], v[111:112]
	s_and_not1_b32 exec_lo, exec_lo, s1
	s_cbranch_execnz .LBB118_75
; %bb.76:
	s_or_b32 exec_lo, exec_lo, s1
.LBB118_77:
	s_delay_alu instid0(SALU_CYCLE_1)
	s_or_b32 exec_lo, exec_lo, s4
	v_mov_b32_e32 v139, 0
	ds_load_b64 v[139:140], v139 offset:368
	s_waitcnt lgkmcnt(0)
	v_mul_f64 v[111:112], v[111:112], v[139:140]
	scratch_store_b64 off, v[111:112], off offset:368
.LBB118_78:
	s_or_b32 exec_lo, exec_lo, s2
	scratch_load_b64 v[111:112], off, off offset:360
	v_cmp_lt_u32_e64 s1, 45, v0
	s_waitcnt vmcnt(0)
	ds_store_b64 v114, v[111:112]
	s_waitcnt lgkmcnt(0)
	s_waitcnt_vscnt null, 0x0
	s_barrier
	buffer_gl0_inv
	s_and_saveexec_b32 s2, s1
	s_cbranch_execz .LBB118_88
; %bb.79:
	s_and_not1_b32 vcc_lo, exec_lo, s3
	s_cbranch_vccnz .LBB118_81
; %bb.80:
	scratch_load_b64 v[111:112], v115, off
	ds_load_b64 v[139:140], v114
	s_waitcnt vmcnt(0) lgkmcnt(0)
	v_mul_f64 v[111:112], v[111:112], v[139:140]
	s_cbranch_execz .LBB118_82
	s_branch .LBB118_83
.LBB118_81:
                                        ; implicit-def: $vgpr111_vgpr112
.LBB118_82:
	ds_load_b64 v[111:112], v114
.LBB118_83:
	s_and_saveexec_b32 s4, s0
	s_cbranch_execz .LBB118_87
; %bb.84:
	v_subrev_nc_u32_e32 v139, 46, v0
	s_movk_i32 s5, 0x330
	s_mov_b32 s0, 0
.LBB118_85:                             ; =>This Inner Loop Header: Depth=1
	scratch_load_b64 v[140:141], v138, off
	v_dual_mov_b32 v142, s5 :: v_dual_add_nc_u32 v139, -1, v139
	v_add_nc_u32_e32 v138, 8, v138
	s_add_i32 s5, s5, 8
	ds_load_b64 v[142:143], v142
	v_cmp_eq_u32_e32 vcc_lo, 0, v139
	s_or_b32 s0, vcc_lo, s0
	s_waitcnt vmcnt(0) lgkmcnt(0)
	v_fma_f64 v[111:112], v[140:141], v[142:143], v[111:112]
	s_and_not1_b32 exec_lo, exec_lo, s0
	s_cbranch_execnz .LBB118_85
; %bb.86:
	s_or_b32 exec_lo, exec_lo, s0
.LBB118_87:
	s_delay_alu instid0(SALU_CYCLE_1)
	s_or_b32 exec_lo, exec_lo, s4
	v_mov_b32_e32 v138, 0
	ds_load_b64 v[138:139], v138 offset:360
	s_waitcnt lgkmcnt(0)
	v_mul_f64 v[111:112], v[111:112], v[138:139]
	scratch_store_b64 off, v[111:112], off offset:360
.LBB118_88:
	s_or_b32 exec_lo, exec_lo, s2
	scratch_load_b64 v[111:112], off, off offset:352
	v_cmp_lt_u32_e64 s0, 44, v0
	s_waitcnt vmcnt(0)
	ds_store_b64 v114, v[111:112]
	s_waitcnt lgkmcnt(0)
	s_waitcnt_vscnt null, 0x0
	s_barrier
	buffer_gl0_inv
	s_and_saveexec_b32 s2, s0
	s_cbranch_execz .LBB118_98
; %bb.89:
	s_and_not1_b32 vcc_lo, exec_lo, s3
	s_cbranch_vccnz .LBB118_91
; %bb.90:
	scratch_load_b64 v[111:112], v115, off
	ds_load_b64 v[138:139], v114
	s_waitcnt vmcnt(0) lgkmcnt(0)
	v_mul_f64 v[111:112], v[111:112], v[138:139]
	s_cbranch_execz .LBB118_92
	s_branch .LBB118_93
.LBB118_91:
                                        ; implicit-def: $vgpr111_vgpr112
.LBB118_92:
	ds_load_b64 v[111:112], v114
.LBB118_93:
	s_and_saveexec_b32 s4, s1
	s_cbranch_execz .LBB118_97
; %bb.94:
	v_mov_b32_e32 v138, 0
	v_subrev_nc_u32_e32 v139, 45, v0
	s_movk_i32 s5, 0x328
	s_mov_b32 s1, 0
	s_delay_alu instid0(VALU_DEP_2)
	v_add_nc_u32_e32 v138, 0x168, v138
.LBB118_95:                             ; =>This Inner Loop Header: Depth=1
	scratch_load_b64 v[140:141], v138, off
	v_dual_mov_b32 v142, s5 :: v_dual_add_nc_u32 v139, -1, v139
	v_add_nc_u32_e32 v138, 8, v138
	s_add_i32 s5, s5, 8
	ds_load_b64 v[142:143], v142
	v_cmp_eq_u32_e32 vcc_lo, 0, v139
	s_or_b32 s1, vcc_lo, s1
	s_waitcnt vmcnt(0) lgkmcnt(0)
	v_fma_f64 v[111:112], v[140:141], v[142:143], v[111:112]
	s_and_not1_b32 exec_lo, exec_lo, s1
	s_cbranch_execnz .LBB118_95
; %bb.96:
	s_or_b32 exec_lo, exec_lo, s1
.LBB118_97:
	s_delay_alu instid0(SALU_CYCLE_1)
	s_or_b32 exec_lo, exec_lo, s4
	v_mov_b32_e32 v138, 0
	ds_load_b64 v[138:139], v138 offset:352
	s_waitcnt lgkmcnt(0)
	v_mul_f64 v[111:112], v[111:112], v[138:139]
	scratch_store_b64 off, v[111:112], off offset:352
.LBB118_98:
	s_or_b32 exec_lo, exec_lo, s2
	scratch_load_b64 v[111:112], off, off offset:344
	v_cmp_lt_u32_e64 s1, 43, v0
	s_waitcnt vmcnt(0)
	ds_store_b64 v114, v[111:112]
	s_waitcnt lgkmcnt(0)
	s_waitcnt_vscnt null, 0x0
	s_barrier
	buffer_gl0_inv
	s_and_saveexec_b32 s2, s1
	s_cbranch_execz .LBB118_108
; %bb.99:
	s_and_not1_b32 vcc_lo, exec_lo, s3
	s_cbranch_vccnz .LBB118_101
; %bb.100:
	scratch_load_b64 v[111:112], v115, off
	ds_load_b64 v[138:139], v114
	s_waitcnt vmcnt(0) lgkmcnt(0)
	v_mul_f64 v[111:112], v[111:112], v[138:139]
	s_cbranch_execz .LBB118_102
	s_branch .LBB118_103
.LBB118_101:
                                        ; implicit-def: $vgpr111_vgpr112
.LBB118_102:
	ds_load_b64 v[111:112], v114
.LBB118_103:
	s_and_saveexec_b32 s4, s0
	s_cbranch_execz .LBB118_107
; %bb.104:
	v_subrev_nc_u32_e32 v138, 44, v0
	s_movk_i32 s5, 0x320
	s_mov_b32 s0, 0
.LBB118_105:                            ; =>This Inner Loop Header: Depth=1
	scratch_load_b64 v[139:140], v137, off
	v_dual_mov_b32 v141, s5 :: v_dual_add_nc_u32 v138, -1, v138
	v_add_nc_u32_e32 v137, 8, v137
	s_add_i32 s5, s5, 8
	ds_load_b64 v[141:142], v141
	v_cmp_eq_u32_e32 vcc_lo, 0, v138
	s_or_b32 s0, vcc_lo, s0
	s_waitcnt vmcnt(0) lgkmcnt(0)
	v_fma_f64 v[111:112], v[139:140], v[141:142], v[111:112]
	s_and_not1_b32 exec_lo, exec_lo, s0
	s_cbranch_execnz .LBB118_105
; %bb.106:
	s_or_b32 exec_lo, exec_lo, s0
.LBB118_107:
	s_delay_alu instid0(SALU_CYCLE_1)
	s_or_b32 exec_lo, exec_lo, s4
	v_mov_b32_e32 v137, 0
	ds_load_b64 v[137:138], v137 offset:344
	s_waitcnt lgkmcnt(0)
	v_mul_f64 v[111:112], v[111:112], v[137:138]
	scratch_store_b64 off, v[111:112], off offset:344
.LBB118_108:
	s_or_b32 exec_lo, exec_lo, s2
	scratch_load_b64 v[111:112], off, off offset:336
	v_cmp_lt_u32_e64 s0, 42, v0
	s_waitcnt vmcnt(0)
	ds_store_b64 v114, v[111:112]
	s_waitcnt lgkmcnt(0)
	s_waitcnt_vscnt null, 0x0
	s_barrier
	buffer_gl0_inv
	s_and_saveexec_b32 s2, s0
	s_cbranch_execz .LBB118_118
; %bb.109:
	s_and_not1_b32 vcc_lo, exec_lo, s3
	s_cbranch_vccnz .LBB118_111
; %bb.110:
	scratch_load_b64 v[111:112], v115, off
	ds_load_b64 v[137:138], v114
	s_waitcnt vmcnt(0) lgkmcnt(0)
	v_mul_f64 v[111:112], v[111:112], v[137:138]
	s_cbranch_execz .LBB118_112
	s_branch .LBB118_113
.LBB118_111:
                                        ; implicit-def: $vgpr111_vgpr112
.LBB118_112:
	ds_load_b64 v[111:112], v114
.LBB118_113:
	s_and_saveexec_b32 s4, s1
	s_cbranch_execz .LBB118_117
; %bb.114:
	v_mov_b32_e32 v137, 0
	v_subrev_nc_u32_e32 v138, 43, v0
	s_movk_i32 s5, 0x318
	s_mov_b32 s1, 0
	s_delay_alu instid0(VALU_DEP_2)
	v_add_nc_u32_e32 v137, 0x158, v137
.LBB118_115:                            ; =>This Inner Loop Header: Depth=1
	scratch_load_b64 v[139:140], v137, off
	v_dual_mov_b32 v141, s5 :: v_dual_add_nc_u32 v138, -1, v138
	v_add_nc_u32_e32 v137, 8, v137
	s_add_i32 s5, s5, 8
	ds_load_b64 v[141:142], v141
	v_cmp_eq_u32_e32 vcc_lo, 0, v138
	s_or_b32 s1, vcc_lo, s1
	s_waitcnt vmcnt(0) lgkmcnt(0)
	v_fma_f64 v[111:112], v[139:140], v[141:142], v[111:112]
	s_and_not1_b32 exec_lo, exec_lo, s1
	s_cbranch_execnz .LBB118_115
; %bb.116:
	s_or_b32 exec_lo, exec_lo, s1
.LBB118_117:
	s_delay_alu instid0(SALU_CYCLE_1)
	s_or_b32 exec_lo, exec_lo, s4
	v_mov_b32_e32 v137, 0
	ds_load_b64 v[137:138], v137 offset:336
	s_waitcnt lgkmcnt(0)
	v_mul_f64 v[111:112], v[111:112], v[137:138]
	scratch_store_b64 off, v[111:112], off offset:336
.LBB118_118:
	s_or_b32 exec_lo, exec_lo, s2
	scratch_load_b64 v[111:112], off, off offset:328
	v_cmp_lt_u32_e64 s1, 41, v0
	s_waitcnt vmcnt(0)
	ds_store_b64 v114, v[111:112]
	s_waitcnt lgkmcnt(0)
	s_waitcnt_vscnt null, 0x0
	s_barrier
	buffer_gl0_inv
	s_and_saveexec_b32 s2, s1
	s_cbranch_execz .LBB118_128
; %bb.119:
	s_and_not1_b32 vcc_lo, exec_lo, s3
	s_cbranch_vccnz .LBB118_121
; %bb.120:
	scratch_load_b64 v[111:112], v115, off
	ds_load_b64 v[137:138], v114
	s_waitcnt vmcnt(0) lgkmcnt(0)
	v_mul_f64 v[111:112], v[111:112], v[137:138]
	s_cbranch_execz .LBB118_122
	s_branch .LBB118_123
.LBB118_121:
                                        ; implicit-def: $vgpr111_vgpr112
.LBB118_122:
	ds_load_b64 v[111:112], v114
.LBB118_123:
	s_and_saveexec_b32 s4, s0
	s_cbranch_execz .LBB118_127
; %bb.124:
	v_subrev_nc_u32_e32 v137, 42, v0
	s_movk_i32 s5, 0x310
	s_mov_b32 s0, 0
.LBB118_125:                            ; =>This Inner Loop Header: Depth=1
	scratch_load_b64 v[138:139], v136, off
	v_dual_mov_b32 v140, s5 :: v_dual_add_nc_u32 v137, -1, v137
	v_add_nc_u32_e32 v136, 8, v136
	s_add_i32 s5, s5, 8
	ds_load_b64 v[140:141], v140
	v_cmp_eq_u32_e32 vcc_lo, 0, v137
	s_or_b32 s0, vcc_lo, s0
	s_waitcnt vmcnt(0) lgkmcnt(0)
	v_fma_f64 v[111:112], v[138:139], v[140:141], v[111:112]
	s_and_not1_b32 exec_lo, exec_lo, s0
	s_cbranch_execnz .LBB118_125
; %bb.126:
	s_or_b32 exec_lo, exec_lo, s0
.LBB118_127:
	s_delay_alu instid0(SALU_CYCLE_1)
	s_or_b32 exec_lo, exec_lo, s4
	v_mov_b32_e32 v136, 0
	ds_load_b64 v[136:137], v136 offset:328
	s_waitcnt lgkmcnt(0)
	v_mul_f64 v[111:112], v[111:112], v[136:137]
	scratch_store_b64 off, v[111:112], off offset:328
.LBB118_128:
	s_or_b32 exec_lo, exec_lo, s2
	scratch_load_b64 v[111:112], off, off offset:320
	v_cmp_lt_u32_e64 s0, 40, v0
	s_waitcnt vmcnt(0)
	ds_store_b64 v114, v[111:112]
	s_waitcnt lgkmcnt(0)
	s_waitcnt_vscnt null, 0x0
	s_barrier
	buffer_gl0_inv
	s_and_saveexec_b32 s2, s0
	s_cbranch_execz .LBB118_138
; %bb.129:
	s_and_not1_b32 vcc_lo, exec_lo, s3
	s_cbranch_vccnz .LBB118_131
; %bb.130:
	scratch_load_b64 v[111:112], v115, off
	ds_load_b64 v[136:137], v114
	s_waitcnt vmcnt(0) lgkmcnt(0)
	v_mul_f64 v[111:112], v[111:112], v[136:137]
	s_cbranch_execz .LBB118_132
	s_branch .LBB118_133
.LBB118_131:
                                        ; implicit-def: $vgpr111_vgpr112
.LBB118_132:
	ds_load_b64 v[111:112], v114
.LBB118_133:
	s_and_saveexec_b32 s4, s1
	s_cbranch_execz .LBB118_137
; %bb.134:
	v_mov_b32_e32 v136, 0
	v_subrev_nc_u32_e32 v137, 41, v0
	s_movk_i32 s5, 0x308
	s_mov_b32 s1, 0
	s_delay_alu instid0(VALU_DEP_2)
	v_add_nc_u32_e32 v136, 0x148, v136
.LBB118_135:                            ; =>This Inner Loop Header: Depth=1
	scratch_load_b64 v[138:139], v136, off
	v_dual_mov_b32 v140, s5 :: v_dual_add_nc_u32 v137, -1, v137
	v_add_nc_u32_e32 v136, 8, v136
	s_add_i32 s5, s5, 8
	ds_load_b64 v[140:141], v140
	v_cmp_eq_u32_e32 vcc_lo, 0, v137
	s_or_b32 s1, vcc_lo, s1
	s_waitcnt vmcnt(0) lgkmcnt(0)
	v_fma_f64 v[111:112], v[138:139], v[140:141], v[111:112]
	s_and_not1_b32 exec_lo, exec_lo, s1
	s_cbranch_execnz .LBB118_135
; %bb.136:
	s_or_b32 exec_lo, exec_lo, s1
.LBB118_137:
	s_delay_alu instid0(SALU_CYCLE_1)
	s_or_b32 exec_lo, exec_lo, s4
	v_mov_b32_e32 v136, 0
	ds_load_b64 v[136:137], v136 offset:320
	s_waitcnt lgkmcnt(0)
	v_mul_f64 v[111:112], v[111:112], v[136:137]
	scratch_store_b64 off, v[111:112], off offset:320
.LBB118_138:
	s_or_b32 exec_lo, exec_lo, s2
	scratch_load_b64 v[111:112], off, off offset:312
	v_cmp_lt_u32_e64 s1, 39, v0
	s_waitcnt vmcnt(0)
	ds_store_b64 v114, v[111:112]
	s_waitcnt lgkmcnt(0)
	s_waitcnt_vscnt null, 0x0
	s_barrier
	buffer_gl0_inv
	s_and_saveexec_b32 s2, s1
	s_cbranch_execz .LBB118_148
; %bb.139:
	s_and_not1_b32 vcc_lo, exec_lo, s3
	s_cbranch_vccnz .LBB118_141
; %bb.140:
	scratch_load_b64 v[111:112], v115, off
	ds_load_b64 v[136:137], v114
	s_waitcnt vmcnt(0) lgkmcnt(0)
	v_mul_f64 v[111:112], v[111:112], v[136:137]
	s_cbranch_execz .LBB118_142
	s_branch .LBB118_143
.LBB118_141:
                                        ; implicit-def: $vgpr111_vgpr112
.LBB118_142:
	ds_load_b64 v[111:112], v114
.LBB118_143:
	s_and_saveexec_b32 s4, s0
	s_cbranch_execz .LBB118_147
; %bb.144:
	v_subrev_nc_u32_e32 v136, 40, v0
	s_movk_i32 s5, 0x300
	s_mov_b32 s0, 0
.LBB118_145:                            ; =>This Inner Loop Header: Depth=1
	scratch_load_b64 v[137:138], v135, off
	v_dual_mov_b32 v139, s5 :: v_dual_add_nc_u32 v136, -1, v136
	v_add_nc_u32_e32 v135, 8, v135
	s_add_i32 s5, s5, 8
	ds_load_b64 v[139:140], v139
	v_cmp_eq_u32_e32 vcc_lo, 0, v136
	s_or_b32 s0, vcc_lo, s0
	s_waitcnt vmcnt(0) lgkmcnt(0)
	v_fma_f64 v[111:112], v[137:138], v[139:140], v[111:112]
	s_and_not1_b32 exec_lo, exec_lo, s0
	s_cbranch_execnz .LBB118_145
; %bb.146:
	s_or_b32 exec_lo, exec_lo, s0
.LBB118_147:
	s_delay_alu instid0(SALU_CYCLE_1)
	s_or_b32 exec_lo, exec_lo, s4
	v_mov_b32_e32 v135, 0
	ds_load_b64 v[135:136], v135 offset:312
	s_waitcnt lgkmcnt(0)
	v_mul_f64 v[111:112], v[111:112], v[135:136]
	scratch_store_b64 off, v[111:112], off offset:312
.LBB118_148:
	s_or_b32 exec_lo, exec_lo, s2
	scratch_load_b64 v[111:112], off, off offset:304
	v_cmp_lt_u32_e64 s0, 38, v0
	s_waitcnt vmcnt(0)
	ds_store_b64 v114, v[111:112]
	s_waitcnt lgkmcnt(0)
	s_waitcnt_vscnt null, 0x0
	s_barrier
	buffer_gl0_inv
	s_and_saveexec_b32 s2, s0
	s_cbranch_execz .LBB118_158
; %bb.149:
	s_and_not1_b32 vcc_lo, exec_lo, s3
	s_cbranch_vccnz .LBB118_151
; %bb.150:
	scratch_load_b64 v[111:112], v115, off
	ds_load_b64 v[135:136], v114
	s_waitcnt vmcnt(0) lgkmcnt(0)
	v_mul_f64 v[111:112], v[111:112], v[135:136]
	s_cbranch_execz .LBB118_152
	s_branch .LBB118_153
.LBB118_151:
                                        ; implicit-def: $vgpr111_vgpr112
.LBB118_152:
	ds_load_b64 v[111:112], v114
.LBB118_153:
	s_and_saveexec_b32 s4, s1
	s_cbranch_execz .LBB118_157
; %bb.154:
	v_mov_b32_e32 v135, 0
	v_subrev_nc_u32_e32 v136, 39, v0
	s_movk_i32 s5, 0x2f8
	s_mov_b32 s1, 0
	s_delay_alu instid0(VALU_DEP_2)
	v_add_nc_u32_e32 v135, 0x138, v135
.LBB118_155:                            ; =>This Inner Loop Header: Depth=1
	scratch_load_b64 v[137:138], v135, off
	v_dual_mov_b32 v139, s5 :: v_dual_add_nc_u32 v136, -1, v136
	v_add_nc_u32_e32 v135, 8, v135
	s_add_i32 s5, s5, 8
	ds_load_b64 v[139:140], v139
	v_cmp_eq_u32_e32 vcc_lo, 0, v136
	s_or_b32 s1, vcc_lo, s1
	s_waitcnt vmcnt(0) lgkmcnt(0)
	v_fma_f64 v[111:112], v[137:138], v[139:140], v[111:112]
	s_and_not1_b32 exec_lo, exec_lo, s1
	s_cbranch_execnz .LBB118_155
; %bb.156:
	s_or_b32 exec_lo, exec_lo, s1
.LBB118_157:
	s_delay_alu instid0(SALU_CYCLE_1)
	s_or_b32 exec_lo, exec_lo, s4
	v_mov_b32_e32 v135, 0
	ds_load_b64 v[135:136], v135 offset:304
	s_waitcnt lgkmcnt(0)
	v_mul_f64 v[111:112], v[111:112], v[135:136]
	scratch_store_b64 off, v[111:112], off offset:304
.LBB118_158:
	s_or_b32 exec_lo, exec_lo, s2
	scratch_load_b64 v[111:112], off, off offset:296
	v_cmp_lt_u32_e64 s1, 37, v0
	s_waitcnt vmcnt(0)
	ds_store_b64 v114, v[111:112]
	s_waitcnt lgkmcnt(0)
	s_waitcnt_vscnt null, 0x0
	s_barrier
	buffer_gl0_inv
	s_and_saveexec_b32 s2, s1
	s_cbranch_execz .LBB118_168
; %bb.159:
	s_and_not1_b32 vcc_lo, exec_lo, s3
	s_cbranch_vccnz .LBB118_161
; %bb.160:
	scratch_load_b64 v[111:112], v115, off
	ds_load_b64 v[135:136], v114
	s_waitcnt vmcnt(0) lgkmcnt(0)
	v_mul_f64 v[111:112], v[111:112], v[135:136]
	s_cbranch_execz .LBB118_162
	s_branch .LBB118_163
.LBB118_161:
                                        ; implicit-def: $vgpr111_vgpr112
.LBB118_162:
	ds_load_b64 v[111:112], v114
.LBB118_163:
	s_and_saveexec_b32 s4, s0
	s_cbranch_execz .LBB118_167
; %bb.164:
	v_subrev_nc_u32_e32 v135, 38, v0
	s_movk_i32 s5, 0x2f0
	s_mov_b32 s0, 0
.LBB118_165:                            ; =>This Inner Loop Header: Depth=1
	scratch_load_b64 v[136:137], v134, off
	v_dual_mov_b32 v138, s5 :: v_dual_add_nc_u32 v135, -1, v135
	v_add_nc_u32_e32 v134, 8, v134
	s_add_i32 s5, s5, 8
	ds_load_b64 v[138:139], v138
	v_cmp_eq_u32_e32 vcc_lo, 0, v135
	s_or_b32 s0, vcc_lo, s0
	s_waitcnt vmcnt(0) lgkmcnt(0)
	v_fma_f64 v[111:112], v[136:137], v[138:139], v[111:112]
	s_and_not1_b32 exec_lo, exec_lo, s0
	s_cbranch_execnz .LBB118_165
; %bb.166:
	s_or_b32 exec_lo, exec_lo, s0
.LBB118_167:
	s_delay_alu instid0(SALU_CYCLE_1)
	s_or_b32 exec_lo, exec_lo, s4
	v_mov_b32_e32 v134, 0
	ds_load_b64 v[134:135], v134 offset:296
	s_waitcnt lgkmcnt(0)
	v_mul_f64 v[111:112], v[111:112], v[134:135]
	scratch_store_b64 off, v[111:112], off offset:296
.LBB118_168:
	s_or_b32 exec_lo, exec_lo, s2
	scratch_load_b64 v[111:112], off, off offset:288
	v_cmp_lt_u32_e64 s0, 36, v0
	s_waitcnt vmcnt(0)
	ds_store_b64 v114, v[111:112]
	s_waitcnt lgkmcnt(0)
	s_waitcnt_vscnt null, 0x0
	s_barrier
	buffer_gl0_inv
	s_and_saveexec_b32 s2, s0
	s_cbranch_execz .LBB118_178
; %bb.169:
	s_and_not1_b32 vcc_lo, exec_lo, s3
	s_cbranch_vccnz .LBB118_171
; %bb.170:
	scratch_load_b64 v[111:112], v115, off
	ds_load_b64 v[134:135], v114
	s_waitcnt vmcnt(0) lgkmcnt(0)
	v_mul_f64 v[111:112], v[111:112], v[134:135]
	s_cbranch_execz .LBB118_172
	s_branch .LBB118_173
.LBB118_171:
                                        ; implicit-def: $vgpr111_vgpr112
.LBB118_172:
	ds_load_b64 v[111:112], v114
.LBB118_173:
	s_and_saveexec_b32 s4, s1
	s_cbranch_execz .LBB118_177
; %bb.174:
	v_mov_b32_e32 v134, 0
	v_subrev_nc_u32_e32 v135, 37, v0
	s_movk_i32 s5, 0x2e8
	s_mov_b32 s1, 0
	s_delay_alu instid0(VALU_DEP_2)
	v_add_nc_u32_e32 v134, 0x128, v134
.LBB118_175:                            ; =>This Inner Loop Header: Depth=1
	scratch_load_b64 v[136:137], v134, off
	v_dual_mov_b32 v138, s5 :: v_dual_add_nc_u32 v135, -1, v135
	v_add_nc_u32_e32 v134, 8, v134
	s_add_i32 s5, s5, 8
	ds_load_b64 v[138:139], v138
	v_cmp_eq_u32_e32 vcc_lo, 0, v135
	s_or_b32 s1, vcc_lo, s1
	s_waitcnt vmcnt(0) lgkmcnt(0)
	v_fma_f64 v[111:112], v[136:137], v[138:139], v[111:112]
	s_and_not1_b32 exec_lo, exec_lo, s1
	s_cbranch_execnz .LBB118_175
; %bb.176:
	s_or_b32 exec_lo, exec_lo, s1
.LBB118_177:
	s_delay_alu instid0(SALU_CYCLE_1)
	s_or_b32 exec_lo, exec_lo, s4
	v_mov_b32_e32 v134, 0
	ds_load_b64 v[134:135], v134 offset:288
	s_waitcnt lgkmcnt(0)
	v_mul_f64 v[111:112], v[111:112], v[134:135]
	scratch_store_b64 off, v[111:112], off offset:288
.LBB118_178:
	s_or_b32 exec_lo, exec_lo, s2
	scratch_load_b64 v[111:112], off, off offset:280
	v_cmp_lt_u32_e64 s1, 35, v0
	s_waitcnt vmcnt(0)
	ds_store_b64 v114, v[111:112]
	s_waitcnt lgkmcnt(0)
	s_waitcnt_vscnt null, 0x0
	s_barrier
	buffer_gl0_inv
	s_and_saveexec_b32 s2, s1
	s_cbranch_execz .LBB118_188
; %bb.179:
	s_and_not1_b32 vcc_lo, exec_lo, s3
	s_cbranch_vccnz .LBB118_181
; %bb.180:
	scratch_load_b64 v[111:112], v115, off
	ds_load_b64 v[134:135], v114
	s_waitcnt vmcnt(0) lgkmcnt(0)
	v_mul_f64 v[111:112], v[111:112], v[134:135]
	s_cbranch_execz .LBB118_182
	s_branch .LBB118_183
.LBB118_181:
                                        ; implicit-def: $vgpr111_vgpr112
.LBB118_182:
	ds_load_b64 v[111:112], v114
.LBB118_183:
	s_and_saveexec_b32 s4, s0
	s_cbranch_execz .LBB118_187
; %bb.184:
	v_subrev_nc_u32_e32 v134, 36, v0
	s_movk_i32 s5, 0x2e0
	s_mov_b32 s0, 0
.LBB118_185:                            ; =>This Inner Loop Header: Depth=1
	scratch_load_b64 v[135:136], v133, off
	v_dual_mov_b32 v137, s5 :: v_dual_add_nc_u32 v134, -1, v134
	v_add_nc_u32_e32 v133, 8, v133
	s_add_i32 s5, s5, 8
	ds_load_b64 v[137:138], v137
	v_cmp_eq_u32_e32 vcc_lo, 0, v134
	s_or_b32 s0, vcc_lo, s0
	s_waitcnt vmcnt(0) lgkmcnt(0)
	v_fma_f64 v[111:112], v[135:136], v[137:138], v[111:112]
	s_and_not1_b32 exec_lo, exec_lo, s0
	s_cbranch_execnz .LBB118_185
; %bb.186:
	s_or_b32 exec_lo, exec_lo, s0
.LBB118_187:
	s_delay_alu instid0(SALU_CYCLE_1)
	s_or_b32 exec_lo, exec_lo, s4
	v_mov_b32_e32 v133, 0
	ds_load_b64 v[133:134], v133 offset:280
	s_waitcnt lgkmcnt(0)
	v_mul_f64 v[111:112], v[111:112], v[133:134]
	scratch_store_b64 off, v[111:112], off offset:280
.LBB118_188:
	s_or_b32 exec_lo, exec_lo, s2
	scratch_load_b64 v[111:112], off, off offset:272
	v_cmp_lt_u32_e64 s0, 34, v0
	s_waitcnt vmcnt(0)
	ds_store_b64 v114, v[111:112]
	s_waitcnt lgkmcnt(0)
	s_waitcnt_vscnt null, 0x0
	s_barrier
	buffer_gl0_inv
	s_and_saveexec_b32 s2, s0
	s_cbranch_execz .LBB118_198
; %bb.189:
	s_and_not1_b32 vcc_lo, exec_lo, s3
	s_cbranch_vccnz .LBB118_191
; %bb.190:
	scratch_load_b64 v[111:112], v115, off
	ds_load_b64 v[133:134], v114
	s_waitcnt vmcnt(0) lgkmcnt(0)
	v_mul_f64 v[111:112], v[111:112], v[133:134]
	s_cbranch_execz .LBB118_192
	s_branch .LBB118_193
.LBB118_191:
                                        ; implicit-def: $vgpr111_vgpr112
.LBB118_192:
	ds_load_b64 v[111:112], v114
.LBB118_193:
	s_and_saveexec_b32 s4, s1
	s_cbranch_execz .LBB118_197
; %bb.194:
	v_mov_b32_e32 v133, 0
	v_subrev_nc_u32_e32 v134, 35, v0
	s_movk_i32 s5, 0x2d8
	s_mov_b32 s1, 0
	s_delay_alu instid0(VALU_DEP_2)
	v_add_nc_u32_e32 v133, 0x118, v133
.LBB118_195:                            ; =>This Inner Loop Header: Depth=1
	scratch_load_b64 v[135:136], v133, off
	v_dual_mov_b32 v137, s5 :: v_dual_add_nc_u32 v134, -1, v134
	v_add_nc_u32_e32 v133, 8, v133
	s_add_i32 s5, s5, 8
	ds_load_b64 v[137:138], v137
	v_cmp_eq_u32_e32 vcc_lo, 0, v134
	s_or_b32 s1, vcc_lo, s1
	s_waitcnt vmcnt(0) lgkmcnt(0)
	v_fma_f64 v[111:112], v[135:136], v[137:138], v[111:112]
	s_and_not1_b32 exec_lo, exec_lo, s1
	s_cbranch_execnz .LBB118_195
; %bb.196:
	s_or_b32 exec_lo, exec_lo, s1
.LBB118_197:
	s_delay_alu instid0(SALU_CYCLE_1)
	s_or_b32 exec_lo, exec_lo, s4
	v_mov_b32_e32 v133, 0
	ds_load_b64 v[133:134], v133 offset:272
	s_waitcnt lgkmcnt(0)
	v_mul_f64 v[111:112], v[111:112], v[133:134]
	scratch_store_b64 off, v[111:112], off offset:272
.LBB118_198:
	s_or_b32 exec_lo, exec_lo, s2
	scratch_load_b64 v[111:112], off, off offset:264
	v_cmp_lt_u32_e64 s1, 33, v0
	s_waitcnt vmcnt(0)
	ds_store_b64 v114, v[111:112]
	s_waitcnt lgkmcnt(0)
	s_waitcnt_vscnt null, 0x0
	s_barrier
	buffer_gl0_inv
	s_and_saveexec_b32 s2, s1
	s_cbranch_execz .LBB118_208
; %bb.199:
	s_and_not1_b32 vcc_lo, exec_lo, s3
	s_cbranch_vccnz .LBB118_201
; %bb.200:
	scratch_load_b64 v[111:112], v115, off
	ds_load_b64 v[133:134], v114
	s_waitcnt vmcnt(0) lgkmcnt(0)
	v_mul_f64 v[111:112], v[111:112], v[133:134]
	s_cbranch_execz .LBB118_202
	s_branch .LBB118_203
.LBB118_201:
                                        ; implicit-def: $vgpr111_vgpr112
.LBB118_202:
	ds_load_b64 v[111:112], v114
.LBB118_203:
	s_and_saveexec_b32 s4, s0
	s_cbranch_execz .LBB118_207
; %bb.204:
	v_subrev_nc_u32_e32 v133, 34, v0
	s_movk_i32 s5, 0x2d0
	s_mov_b32 s0, 0
.LBB118_205:                            ; =>This Inner Loop Header: Depth=1
	scratch_load_b64 v[134:135], v132, off
	v_dual_mov_b32 v136, s5 :: v_dual_add_nc_u32 v133, -1, v133
	v_add_nc_u32_e32 v132, 8, v132
	s_add_i32 s5, s5, 8
	ds_load_b64 v[136:137], v136
	v_cmp_eq_u32_e32 vcc_lo, 0, v133
	s_or_b32 s0, vcc_lo, s0
	s_waitcnt vmcnt(0) lgkmcnt(0)
	v_fma_f64 v[111:112], v[134:135], v[136:137], v[111:112]
	s_and_not1_b32 exec_lo, exec_lo, s0
	s_cbranch_execnz .LBB118_205
; %bb.206:
	s_or_b32 exec_lo, exec_lo, s0
.LBB118_207:
	s_delay_alu instid0(SALU_CYCLE_1)
	s_or_b32 exec_lo, exec_lo, s4
	v_mov_b32_e32 v132, 0
	ds_load_b64 v[132:133], v132 offset:264
	s_waitcnt lgkmcnt(0)
	v_mul_f64 v[111:112], v[111:112], v[132:133]
	scratch_store_b64 off, v[111:112], off offset:264
.LBB118_208:
	s_or_b32 exec_lo, exec_lo, s2
	scratch_load_b64 v[111:112], off, off offset:256
	v_cmp_lt_u32_e64 s0, 32, v0
	s_waitcnt vmcnt(0)
	ds_store_b64 v114, v[111:112]
	s_waitcnt lgkmcnt(0)
	s_waitcnt_vscnt null, 0x0
	s_barrier
	buffer_gl0_inv
	s_and_saveexec_b32 s2, s0
	s_cbranch_execz .LBB118_218
; %bb.209:
	s_and_not1_b32 vcc_lo, exec_lo, s3
	s_cbranch_vccnz .LBB118_211
; %bb.210:
	scratch_load_b64 v[111:112], v115, off
	ds_load_b64 v[132:133], v114
	s_waitcnt vmcnt(0) lgkmcnt(0)
	v_mul_f64 v[111:112], v[111:112], v[132:133]
	s_cbranch_execz .LBB118_212
	s_branch .LBB118_213
.LBB118_211:
                                        ; implicit-def: $vgpr111_vgpr112
.LBB118_212:
	ds_load_b64 v[111:112], v114
.LBB118_213:
	s_and_saveexec_b32 s4, s1
	s_cbranch_execz .LBB118_217
; %bb.214:
	v_mov_b32_e32 v132, 0
	v_subrev_nc_u32_e32 v133, 33, v0
	s_movk_i32 s5, 0x2c8
	s_mov_b32 s1, 0
	s_delay_alu instid0(VALU_DEP_2)
	v_add_nc_u32_e32 v132, 0x108, v132
.LBB118_215:                            ; =>This Inner Loop Header: Depth=1
	scratch_load_b64 v[134:135], v132, off
	v_dual_mov_b32 v136, s5 :: v_dual_add_nc_u32 v133, -1, v133
	v_add_nc_u32_e32 v132, 8, v132
	s_add_i32 s5, s5, 8
	ds_load_b64 v[136:137], v136
	v_cmp_eq_u32_e32 vcc_lo, 0, v133
	s_or_b32 s1, vcc_lo, s1
	s_waitcnt vmcnt(0) lgkmcnt(0)
	v_fma_f64 v[111:112], v[134:135], v[136:137], v[111:112]
	s_and_not1_b32 exec_lo, exec_lo, s1
	s_cbranch_execnz .LBB118_215
; %bb.216:
	s_or_b32 exec_lo, exec_lo, s1
.LBB118_217:
	s_delay_alu instid0(SALU_CYCLE_1)
	s_or_b32 exec_lo, exec_lo, s4
	v_mov_b32_e32 v132, 0
	ds_load_b64 v[132:133], v132 offset:256
	s_waitcnt lgkmcnt(0)
	v_mul_f64 v[111:112], v[111:112], v[132:133]
	scratch_store_b64 off, v[111:112], off offset:256
.LBB118_218:
	s_or_b32 exec_lo, exec_lo, s2
	scratch_load_b64 v[111:112], off, off offset:248
	v_cmp_lt_u32_e64 s1, 31, v0
	s_waitcnt vmcnt(0)
	ds_store_b64 v114, v[111:112]
	s_waitcnt lgkmcnt(0)
	s_waitcnt_vscnt null, 0x0
	s_barrier
	buffer_gl0_inv
	s_and_saveexec_b32 s2, s1
	s_cbranch_execz .LBB118_228
; %bb.219:
	s_and_not1_b32 vcc_lo, exec_lo, s3
	s_cbranch_vccnz .LBB118_221
; %bb.220:
	scratch_load_b64 v[111:112], v115, off
	ds_load_b64 v[132:133], v114
	s_waitcnt vmcnt(0) lgkmcnt(0)
	v_mul_f64 v[111:112], v[111:112], v[132:133]
	s_cbranch_execz .LBB118_222
	s_branch .LBB118_223
.LBB118_221:
                                        ; implicit-def: $vgpr111_vgpr112
.LBB118_222:
	ds_load_b64 v[111:112], v114
.LBB118_223:
	s_and_saveexec_b32 s4, s0
	s_cbranch_execz .LBB118_227
; %bb.224:
	v_subrev_nc_u32_e32 v132, 32, v0
	s_movk_i32 s5, 0x2c0
	s_mov_b32 s0, 0
.LBB118_225:                            ; =>This Inner Loop Header: Depth=1
	scratch_load_b64 v[133:134], v131, off
	v_dual_mov_b32 v135, s5 :: v_dual_add_nc_u32 v132, -1, v132
	v_add_nc_u32_e32 v131, 8, v131
	s_add_i32 s5, s5, 8
	ds_load_b64 v[135:136], v135
	v_cmp_eq_u32_e32 vcc_lo, 0, v132
	s_or_b32 s0, vcc_lo, s0
	s_waitcnt vmcnt(0) lgkmcnt(0)
	v_fma_f64 v[111:112], v[133:134], v[135:136], v[111:112]
	s_and_not1_b32 exec_lo, exec_lo, s0
	s_cbranch_execnz .LBB118_225
; %bb.226:
	s_or_b32 exec_lo, exec_lo, s0
.LBB118_227:
	s_delay_alu instid0(SALU_CYCLE_1)
	s_or_b32 exec_lo, exec_lo, s4
	v_mov_b32_e32 v131, 0
	ds_load_b64 v[131:132], v131 offset:248
	s_waitcnt lgkmcnt(0)
	v_mul_f64 v[111:112], v[111:112], v[131:132]
	scratch_store_b64 off, v[111:112], off offset:248
.LBB118_228:
	s_or_b32 exec_lo, exec_lo, s2
	scratch_load_b64 v[111:112], off, off offset:240
	v_cmp_lt_u32_e64 s0, 30, v0
	s_waitcnt vmcnt(0)
	ds_store_b64 v114, v[111:112]
	s_waitcnt lgkmcnt(0)
	s_waitcnt_vscnt null, 0x0
	s_barrier
	buffer_gl0_inv
	s_and_saveexec_b32 s2, s0
	s_cbranch_execz .LBB118_238
; %bb.229:
	s_and_not1_b32 vcc_lo, exec_lo, s3
	s_cbranch_vccnz .LBB118_231
; %bb.230:
	scratch_load_b64 v[111:112], v115, off
	ds_load_b64 v[131:132], v114
	s_waitcnt vmcnt(0) lgkmcnt(0)
	v_mul_f64 v[111:112], v[111:112], v[131:132]
	s_cbranch_execz .LBB118_232
	s_branch .LBB118_233
.LBB118_231:
                                        ; implicit-def: $vgpr111_vgpr112
.LBB118_232:
	ds_load_b64 v[111:112], v114
.LBB118_233:
	s_and_saveexec_b32 s4, s1
	s_cbranch_execz .LBB118_237
; %bb.234:
	v_mov_b32_e32 v131, 0
	v_subrev_nc_u32_e32 v132, 31, v0
	s_movk_i32 s5, 0x2b8
	s_mov_b32 s1, 0
	s_delay_alu instid0(VALU_DEP_2)
	v_add_nc_u32_e32 v131, 0xf8, v131
.LBB118_235:                            ; =>This Inner Loop Header: Depth=1
	scratch_load_b64 v[133:134], v131, off
	v_dual_mov_b32 v135, s5 :: v_dual_add_nc_u32 v132, -1, v132
	v_add_nc_u32_e32 v131, 8, v131
	s_add_i32 s5, s5, 8
	ds_load_b64 v[135:136], v135
	v_cmp_eq_u32_e32 vcc_lo, 0, v132
	s_or_b32 s1, vcc_lo, s1
	s_waitcnt vmcnt(0) lgkmcnt(0)
	v_fma_f64 v[111:112], v[133:134], v[135:136], v[111:112]
	s_and_not1_b32 exec_lo, exec_lo, s1
	s_cbranch_execnz .LBB118_235
; %bb.236:
	s_or_b32 exec_lo, exec_lo, s1
.LBB118_237:
	s_delay_alu instid0(SALU_CYCLE_1)
	s_or_b32 exec_lo, exec_lo, s4
	v_mov_b32_e32 v131, 0
	ds_load_b64 v[131:132], v131 offset:240
	s_waitcnt lgkmcnt(0)
	v_mul_f64 v[111:112], v[111:112], v[131:132]
	scratch_store_b64 off, v[111:112], off offset:240
.LBB118_238:
	s_or_b32 exec_lo, exec_lo, s2
	scratch_load_b64 v[111:112], off, off offset:232
	v_cmp_lt_u32_e64 s1, 29, v0
	s_waitcnt vmcnt(0)
	ds_store_b64 v114, v[111:112]
	s_waitcnt lgkmcnt(0)
	s_waitcnt_vscnt null, 0x0
	s_barrier
	buffer_gl0_inv
	s_and_saveexec_b32 s2, s1
	s_cbranch_execz .LBB118_248
; %bb.239:
	s_and_not1_b32 vcc_lo, exec_lo, s3
	s_cbranch_vccnz .LBB118_241
; %bb.240:
	scratch_load_b64 v[111:112], v115, off
	ds_load_b64 v[131:132], v114
	s_waitcnt vmcnt(0) lgkmcnt(0)
	v_mul_f64 v[111:112], v[111:112], v[131:132]
	s_cbranch_execz .LBB118_242
	s_branch .LBB118_243
.LBB118_241:
                                        ; implicit-def: $vgpr111_vgpr112
.LBB118_242:
	ds_load_b64 v[111:112], v114
.LBB118_243:
	s_and_saveexec_b32 s4, s0
	s_cbranch_execz .LBB118_247
; %bb.244:
	v_subrev_nc_u32_e32 v131, 30, v0
	s_movk_i32 s5, 0x2b0
	s_mov_b32 s0, 0
.LBB118_245:                            ; =>This Inner Loop Header: Depth=1
	scratch_load_b64 v[132:133], v130, off
	v_dual_mov_b32 v134, s5 :: v_dual_add_nc_u32 v131, -1, v131
	v_add_nc_u32_e32 v130, 8, v130
	s_add_i32 s5, s5, 8
	ds_load_b64 v[134:135], v134
	v_cmp_eq_u32_e32 vcc_lo, 0, v131
	s_or_b32 s0, vcc_lo, s0
	s_waitcnt vmcnt(0) lgkmcnt(0)
	v_fma_f64 v[111:112], v[132:133], v[134:135], v[111:112]
	s_and_not1_b32 exec_lo, exec_lo, s0
	s_cbranch_execnz .LBB118_245
; %bb.246:
	s_or_b32 exec_lo, exec_lo, s0
.LBB118_247:
	s_delay_alu instid0(SALU_CYCLE_1)
	s_or_b32 exec_lo, exec_lo, s4
	v_mov_b32_e32 v130, 0
	ds_load_b64 v[130:131], v130 offset:232
	s_waitcnt lgkmcnt(0)
	v_mul_f64 v[111:112], v[111:112], v[130:131]
	scratch_store_b64 off, v[111:112], off offset:232
.LBB118_248:
	s_or_b32 exec_lo, exec_lo, s2
	scratch_load_b64 v[111:112], off, off offset:224
	v_cmp_lt_u32_e64 s0, 28, v0
	s_waitcnt vmcnt(0)
	ds_store_b64 v114, v[111:112]
	s_waitcnt lgkmcnt(0)
	s_waitcnt_vscnt null, 0x0
	s_barrier
	buffer_gl0_inv
	s_and_saveexec_b32 s2, s0
	s_cbranch_execz .LBB118_258
; %bb.249:
	s_and_not1_b32 vcc_lo, exec_lo, s3
	s_cbranch_vccnz .LBB118_251
; %bb.250:
	scratch_load_b64 v[111:112], v115, off
	ds_load_b64 v[130:131], v114
	s_waitcnt vmcnt(0) lgkmcnt(0)
	v_mul_f64 v[111:112], v[111:112], v[130:131]
	s_cbranch_execz .LBB118_252
	s_branch .LBB118_253
.LBB118_251:
                                        ; implicit-def: $vgpr111_vgpr112
.LBB118_252:
	ds_load_b64 v[111:112], v114
.LBB118_253:
	s_and_saveexec_b32 s4, s1
	s_cbranch_execz .LBB118_257
; %bb.254:
	v_mov_b32_e32 v130, 0
	v_subrev_nc_u32_e32 v131, 29, v0
	s_movk_i32 s5, 0x2a8
	s_mov_b32 s1, 0
	s_delay_alu instid0(VALU_DEP_2)
	v_add_nc_u32_e32 v130, 0xe8, v130
.LBB118_255:                            ; =>This Inner Loop Header: Depth=1
	scratch_load_b64 v[132:133], v130, off
	v_dual_mov_b32 v134, s5 :: v_dual_add_nc_u32 v131, -1, v131
	v_add_nc_u32_e32 v130, 8, v130
	s_add_i32 s5, s5, 8
	ds_load_b64 v[134:135], v134
	v_cmp_eq_u32_e32 vcc_lo, 0, v131
	s_or_b32 s1, vcc_lo, s1
	s_waitcnt vmcnt(0) lgkmcnt(0)
	v_fma_f64 v[111:112], v[132:133], v[134:135], v[111:112]
	s_and_not1_b32 exec_lo, exec_lo, s1
	s_cbranch_execnz .LBB118_255
; %bb.256:
	s_or_b32 exec_lo, exec_lo, s1
.LBB118_257:
	s_delay_alu instid0(SALU_CYCLE_1)
	s_or_b32 exec_lo, exec_lo, s4
	v_mov_b32_e32 v130, 0
	ds_load_b64 v[130:131], v130 offset:224
	s_waitcnt lgkmcnt(0)
	v_mul_f64 v[111:112], v[111:112], v[130:131]
	scratch_store_b64 off, v[111:112], off offset:224
.LBB118_258:
	s_or_b32 exec_lo, exec_lo, s2
	scratch_load_b64 v[111:112], off, off offset:216
	v_cmp_lt_u32_e64 s1, 27, v0
	s_waitcnt vmcnt(0)
	ds_store_b64 v114, v[111:112]
	s_waitcnt lgkmcnt(0)
	s_waitcnt_vscnt null, 0x0
	s_barrier
	buffer_gl0_inv
	s_and_saveexec_b32 s2, s1
	s_cbranch_execz .LBB118_268
; %bb.259:
	s_and_not1_b32 vcc_lo, exec_lo, s3
	s_cbranch_vccnz .LBB118_261
; %bb.260:
	scratch_load_b64 v[111:112], v115, off
	ds_load_b64 v[130:131], v114
	s_waitcnt vmcnt(0) lgkmcnt(0)
	v_mul_f64 v[111:112], v[111:112], v[130:131]
	s_cbranch_execz .LBB118_262
	s_branch .LBB118_263
.LBB118_261:
                                        ; implicit-def: $vgpr111_vgpr112
.LBB118_262:
	ds_load_b64 v[111:112], v114
.LBB118_263:
	s_and_saveexec_b32 s4, s0
	s_cbranch_execz .LBB118_267
; %bb.264:
	v_subrev_nc_u32_e32 v130, 28, v0
	s_movk_i32 s5, 0x2a0
	s_mov_b32 s0, 0
.LBB118_265:                            ; =>This Inner Loop Header: Depth=1
	scratch_load_b64 v[131:132], v129, off
	v_dual_mov_b32 v133, s5 :: v_dual_add_nc_u32 v130, -1, v130
	v_add_nc_u32_e32 v129, 8, v129
	s_add_i32 s5, s5, 8
	ds_load_b64 v[133:134], v133
	v_cmp_eq_u32_e32 vcc_lo, 0, v130
	s_or_b32 s0, vcc_lo, s0
	s_waitcnt vmcnt(0) lgkmcnt(0)
	v_fma_f64 v[111:112], v[131:132], v[133:134], v[111:112]
	s_and_not1_b32 exec_lo, exec_lo, s0
	s_cbranch_execnz .LBB118_265
; %bb.266:
	s_or_b32 exec_lo, exec_lo, s0
.LBB118_267:
	s_delay_alu instid0(SALU_CYCLE_1)
	s_or_b32 exec_lo, exec_lo, s4
	v_mov_b32_e32 v129, 0
	ds_load_b64 v[129:130], v129 offset:216
	s_waitcnt lgkmcnt(0)
	v_mul_f64 v[111:112], v[111:112], v[129:130]
	scratch_store_b64 off, v[111:112], off offset:216
.LBB118_268:
	s_or_b32 exec_lo, exec_lo, s2
	scratch_load_b64 v[111:112], off, off offset:208
	v_cmp_lt_u32_e64 s0, 26, v0
	s_waitcnt vmcnt(0)
	ds_store_b64 v114, v[111:112]
	s_waitcnt lgkmcnt(0)
	s_waitcnt_vscnt null, 0x0
	s_barrier
	buffer_gl0_inv
	s_and_saveexec_b32 s2, s0
	s_cbranch_execz .LBB118_278
; %bb.269:
	s_and_not1_b32 vcc_lo, exec_lo, s3
	s_cbranch_vccnz .LBB118_271
; %bb.270:
	scratch_load_b64 v[111:112], v115, off
	ds_load_b64 v[129:130], v114
	s_waitcnt vmcnt(0) lgkmcnt(0)
	v_mul_f64 v[111:112], v[111:112], v[129:130]
	s_cbranch_execz .LBB118_272
	s_branch .LBB118_273
.LBB118_271:
                                        ; implicit-def: $vgpr111_vgpr112
.LBB118_272:
	ds_load_b64 v[111:112], v114
.LBB118_273:
	s_and_saveexec_b32 s4, s1
	s_cbranch_execz .LBB118_277
; %bb.274:
	v_mov_b32_e32 v129, 0
	v_subrev_nc_u32_e32 v130, 27, v0
	s_movk_i32 s5, 0x298
	s_mov_b32 s1, 0
	s_delay_alu instid0(VALU_DEP_2)
	v_add_nc_u32_e32 v129, 0xd8, v129
.LBB118_275:                            ; =>This Inner Loop Header: Depth=1
	scratch_load_b64 v[131:132], v129, off
	v_dual_mov_b32 v133, s5 :: v_dual_add_nc_u32 v130, -1, v130
	v_add_nc_u32_e32 v129, 8, v129
	s_add_i32 s5, s5, 8
	ds_load_b64 v[133:134], v133
	v_cmp_eq_u32_e32 vcc_lo, 0, v130
	s_or_b32 s1, vcc_lo, s1
	s_waitcnt vmcnt(0) lgkmcnt(0)
	v_fma_f64 v[111:112], v[131:132], v[133:134], v[111:112]
	s_and_not1_b32 exec_lo, exec_lo, s1
	s_cbranch_execnz .LBB118_275
; %bb.276:
	s_or_b32 exec_lo, exec_lo, s1
.LBB118_277:
	s_delay_alu instid0(SALU_CYCLE_1)
	s_or_b32 exec_lo, exec_lo, s4
	v_mov_b32_e32 v129, 0
	ds_load_b64 v[129:130], v129 offset:208
	s_waitcnt lgkmcnt(0)
	v_mul_f64 v[111:112], v[111:112], v[129:130]
	scratch_store_b64 off, v[111:112], off offset:208
.LBB118_278:
	s_or_b32 exec_lo, exec_lo, s2
	scratch_load_b64 v[111:112], off, off offset:200
	v_cmp_lt_u32_e64 s1, 25, v0
	s_waitcnt vmcnt(0)
	ds_store_b64 v114, v[111:112]
	s_waitcnt lgkmcnt(0)
	s_waitcnt_vscnt null, 0x0
	s_barrier
	buffer_gl0_inv
	s_and_saveexec_b32 s2, s1
	s_cbranch_execz .LBB118_288
; %bb.279:
	s_and_not1_b32 vcc_lo, exec_lo, s3
	s_cbranch_vccnz .LBB118_281
; %bb.280:
	scratch_load_b64 v[111:112], v115, off
	ds_load_b64 v[129:130], v114
	s_waitcnt vmcnt(0) lgkmcnt(0)
	v_mul_f64 v[111:112], v[111:112], v[129:130]
	s_cbranch_execz .LBB118_282
	s_branch .LBB118_283
.LBB118_281:
                                        ; implicit-def: $vgpr111_vgpr112
.LBB118_282:
	ds_load_b64 v[111:112], v114
.LBB118_283:
	s_and_saveexec_b32 s4, s0
	s_cbranch_execz .LBB118_287
; %bb.284:
	v_subrev_nc_u32_e32 v129, 26, v0
	s_movk_i32 s5, 0x290
	s_mov_b32 s0, 0
.LBB118_285:                            ; =>This Inner Loop Header: Depth=1
	scratch_load_b64 v[130:131], v128, off
	v_dual_mov_b32 v132, s5 :: v_dual_add_nc_u32 v129, -1, v129
	v_add_nc_u32_e32 v128, 8, v128
	s_add_i32 s5, s5, 8
	ds_load_b64 v[132:133], v132
	v_cmp_eq_u32_e32 vcc_lo, 0, v129
	s_or_b32 s0, vcc_lo, s0
	s_waitcnt vmcnt(0) lgkmcnt(0)
	v_fma_f64 v[111:112], v[130:131], v[132:133], v[111:112]
	s_and_not1_b32 exec_lo, exec_lo, s0
	s_cbranch_execnz .LBB118_285
; %bb.286:
	s_or_b32 exec_lo, exec_lo, s0
.LBB118_287:
	s_delay_alu instid0(SALU_CYCLE_1)
	s_or_b32 exec_lo, exec_lo, s4
	v_mov_b32_e32 v128, 0
	ds_load_b64 v[128:129], v128 offset:200
	s_waitcnt lgkmcnt(0)
	v_mul_f64 v[111:112], v[111:112], v[128:129]
	scratch_store_b64 off, v[111:112], off offset:200
.LBB118_288:
	s_or_b32 exec_lo, exec_lo, s2
	scratch_load_b64 v[111:112], off, off offset:192
	v_cmp_lt_u32_e64 s0, 24, v0
	s_waitcnt vmcnt(0)
	ds_store_b64 v114, v[111:112]
	s_waitcnt lgkmcnt(0)
	s_waitcnt_vscnt null, 0x0
	s_barrier
	buffer_gl0_inv
	s_and_saveexec_b32 s2, s0
	s_cbranch_execz .LBB118_298
; %bb.289:
	s_and_not1_b32 vcc_lo, exec_lo, s3
	s_cbranch_vccnz .LBB118_291
; %bb.290:
	scratch_load_b64 v[111:112], v115, off
	ds_load_b64 v[128:129], v114
	s_waitcnt vmcnt(0) lgkmcnt(0)
	v_mul_f64 v[111:112], v[111:112], v[128:129]
	s_cbranch_execz .LBB118_292
	s_branch .LBB118_293
.LBB118_291:
                                        ; implicit-def: $vgpr111_vgpr112
.LBB118_292:
	ds_load_b64 v[111:112], v114
.LBB118_293:
	s_and_saveexec_b32 s4, s1
	s_cbranch_execz .LBB118_297
; %bb.294:
	v_mov_b32_e32 v128, 0
	v_subrev_nc_u32_e32 v129, 25, v0
	s_movk_i32 s5, 0x288
	s_mov_b32 s1, 0
	s_delay_alu instid0(VALU_DEP_2)
	v_add_nc_u32_e32 v128, 0xc8, v128
.LBB118_295:                            ; =>This Inner Loop Header: Depth=1
	scratch_load_b64 v[130:131], v128, off
	v_dual_mov_b32 v132, s5 :: v_dual_add_nc_u32 v129, -1, v129
	v_add_nc_u32_e32 v128, 8, v128
	s_add_i32 s5, s5, 8
	ds_load_b64 v[132:133], v132
	v_cmp_eq_u32_e32 vcc_lo, 0, v129
	s_or_b32 s1, vcc_lo, s1
	s_waitcnt vmcnt(0) lgkmcnt(0)
	v_fma_f64 v[111:112], v[130:131], v[132:133], v[111:112]
	s_and_not1_b32 exec_lo, exec_lo, s1
	s_cbranch_execnz .LBB118_295
; %bb.296:
	s_or_b32 exec_lo, exec_lo, s1
.LBB118_297:
	s_delay_alu instid0(SALU_CYCLE_1)
	s_or_b32 exec_lo, exec_lo, s4
	v_mov_b32_e32 v128, 0
	ds_load_b64 v[128:129], v128 offset:192
	s_waitcnt lgkmcnt(0)
	v_mul_f64 v[111:112], v[111:112], v[128:129]
	scratch_store_b64 off, v[111:112], off offset:192
.LBB118_298:
	s_or_b32 exec_lo, exec_lo, s2
	scratch_load_b64 v[111:112], off, off offset:184
	v_cmp_lt_u32_e64 s1, 23, v0
	s_waitcnt vmcnt(0)
	ds_store_b64 v114, v[111:112]
	s_waitcnt lgkmcnt(0)
	s_waitcnt_vscnt null, 0x0
	s_barrier
	buffer_gl0_inv
	s_and_saveexec_b32 s2, s1
	s_cbranch_execz .LBB118_308
; %bb.299:
	s_and_not1_b32 vcc_lo, exec_lo, s3
	s_cbranch_vccnz .LBB118_301
; %bb.300:
	scratch_load_b64 v[111:112], v115, off
	ds_load_b64 v[128:129], v114
	s_waitcnt vmcnt(0) lgkmcnt(0)
	v_mul_f64 v[111:112], v[111:112], v[128:129]
	s_cbranch_execz .LBB118_302
	s_branch .LBB118_303
.LBB118_301:
                                        ; implicit-def: $vgpr111_vgpr112
.LBB118_302:
	ds_load_b64 v[111:112], v114
.LBB118_303:
	s_and_saveexec_b32 s4, s0
	s_cbranch_execz .LBB118_307
; %bb.304:
	v_subrev_nc_u32_e32 v128, 24, v0
	s_movk_i32 s5, 0x280
	s_mov_b32 s0, 0
.LBB118_305:                            ; =>This Inner Loop Header: Depth=1
	scratch_load_b64 v[129:130], v127, off
	v_dual_mov_b32 v131, s5 :: v_dual_add_nc_u32 v128, -1, v128
	v_add_nc_u32_e32 v127, 8, v127
	s_add_i32 s5, s5, 8
	ds_load_b64 v[131:132], v131
	v_cmp_eq_u32_e32 vcc_lo, 0, v128
	s_or_b32 s0, vcc_lo, s0
	s_waitcnt vmcnt(0) lgkmcnt(0)
	v_fma_f64 v[111:112], v[129:130], v[131:132], v[111:112]
	s_and_not1_b32 exec_lo, exec_lo, s0
	s_cbranch_execnz .LBB118_305
; %bb.306:
	s_or_b32 exec_lo, exec_lo, s0
.LBB118_307:
	s_delay_alu instid0(SALU_CYCLE_1)
	s_or_b32 exec_lo, exec_lo, s4
	v_mov_b32_e32 v127, 0
	ds_load_b64 v[127:128], v127 offset:184
	s_waitcnt lgkmcnt(0)
	v_mul_f64 v[111:112], v[111:112], v[127:128]
	scratch_store_b64 off, v[111:112], off offset:184
.LBB118_308:
	s_or_b32 exec_lo, exec_lo, s2
	scratch_load_b64 v[111:112], off, off offset:176
	v_cmp_lt_u32_e64 s0, 22, v0
	s_waitcnt vmcnt(0)
	ds_store_b64 v114, v[111:112]
	s_waitcnt lgkmcnt(0)
	s_waitcnt_vscnt null, 0x0
	s_barrier
	buffer_gl0_inv
	s_and_saveexec_b32 s2, s0
	s_cbranch_execz .LBB118_318
; %bb.309:
	s_and_not1_b32 vcc_lo, exec_lo, s3
	s_cbranch_vccnz .LBB118_311
; %bb.310:
	scratch_load_b64 v[111:112], v115, off
	ds_load_b64 v[127:128], v114
	s_waitcnt vmcnt(0) lgkmcnt(0)
	v_mul_f64 v[111:112], v[111:112], v[127:128]
	s_cbranch_execz .LBB118_312
	s_branch .LBB118_313
.LBB118_311:
                                        ; implicit-def: $vgpr111_vgpr112
.LBB118_312:
	ds_load_b64 v[111:112], v114
.LBB118_313:
	s_and_saveexec_b32 s4, s1
	s_cbranch_execz .LBB118_317
; %bb.314:
	v_mov_b32_e32 v127, 0
	v_subrev_nc_u32_e32 v128, 23, v0
	s_movk_i32 s5, 0x278
	s_mov_b32 s1, 0
	s_delay_alu instid0(VALU_DEP_2)
	v_add_nc_u32_e32 v127, 0xb8, v127
.LBB118_315:                            ; =>This Inner Loop Header: Depth=1
	scratch_load_b64 v[129:130], v127, off
	v_dual_mov_b32 v131, s5 :: v_dual_add_nc_u32 v128, -1, v128
	v_add_nc_u32_e32 v127, 8, v127
	s_add_i32 s5, s5, 8
	ds_load_b64 v[131:132], v131
	v_cmp_eq_u32_e32 vcc_lo, 0, v128
	s_or_b32 s1, vcc_lo, s1
	s_waitcnt vmcnt(0) lgkmcnt(0)
	v_fma_f64 v[111:112], v[129:130], v[131:132], v[111:112]
	s_and_not1_b32 exec_lo, exec_lo, s1
	s_cbranch_execnz .LBB118_315
; %bb.316:
	s_or_b32 exec_lo, exec_lo, s1
.LBB118_317:
	s_delay_alu instid0(SALU_CYCLE_1)
	s_or_b32 exec_lo, exec_lo, s4
	v_mov_b32_e32 v127, 0
	ds_load_b64 v[127:128], v127 offset:176
	s_waitcnt lgkmcnt(0)
	v_mul_f64 v[111:112], v[111:112], v[127:128]
	scratch_store_b64 off, v[111:112], off offset:176
.LBB118_318:
	s_or_b32 exec_lo, exec_lo, s2
	scratch_load_b64 v[111:112], off, off offset:168
	v_cmp_lt_u32_e64 s1, 21, v0
	s_waitcnt vmcnt(0)
	ds_store_b64 v114, v[111:112]
	s_waitcnt lgkmcnt(0)
	s_waitcnt_vscnt null, 0x0
	s_barrier
	buffer_gl0_inv
	s_and_saveexec_b32 s2, s1
	s_cbranch_execz .LBB118_328
; %bb.319:
	s_and_not1_b32 vcc_lo, exec_lo, s3
	s_cbranch_vccnz .LBB118_321
; %bb.320:
	scratch_load_b64 v[111:112], v115, off
	ds_load_b64 v[127:128], v114
	s_waitcnt vmcnt(0) lgkmcnt(0)
	v_mul_f64 v[111:112], v[111:112], v[127:128]
	s_cbranch_execz .LBB118_322
	s_branch .LBB118_323
.LBB118_321:
                                        ; implicit-def: $vgpr111_vgpr112
.LBB118_322:
	ds_load_b64 v[111:112], v114
.LBB118_323:
	s_and_saveexec_b32 s4, s0
	s_cbranch_execz .LBB118_327
; %bb.324:
	v_subrev_nc_u32_e32 v127, 22, v0
	s_movk_i32 s5, 0x270
	s_mov_b32 s0, 0
.LBB118_325:                            ; =>This Inner Loop Header: Depth=1
	scratch_load_b64 v[128:129], v126, off
	v_dual_mov_b32 v130, s5 :: v_dual_add_nc_u32 v127, -1, v127
	v_add_nc_u32_e32 v126, 8, v126
	s_add_i32 s5, s5, 8
	ds_load_b64 v[130:131], v130
	v_cmp_eq_u32_e32 vcc_lo, 0, v127
	s_or_b32 s0, vcc_lo, s0
	s_waitcnt vmcnt(0) lgkmcnt(0)
	v_fma_f64 v[111:112], v[128:129], v[130:131], v[111:112]
	s_and_not1_b32 exec_lo, exec_lo, s0
	s_cbranch_execnz .LBB118_325
; %bb.326:
	s_or_b32 exec_lo, exec_lo, s0
.LBB118_327:
	s_delay_alu instid0(SALU_CYCLE_1)
	s_or_b32 exec_lo, exec_lo, s4
	v_mov_b32_e32 v126, 0
	ds_load_b64 v[126:127], v126 offset:168
	s_waitcnt lgkmcnt(0)
	v_mul_f64 v[111:112], v[111:112], v[126:127]
	scratch_store_b64 off, v[111:112], off offset:168
.LBB118_328:
	s_or_b32 exec_lo, exec_lo, s2
	scratch_load_b64 v[111:112], off, off offset:160
	v_cmp_lt_u32_e64 s0, 20, v0
	s_waitcnt vmcnt(0)
	ds_store_b64 v114, v[111:112]
	s_waitcnt lgkmcnt(0)
	s_waitcnt_vscnt null, 0x0
	s_barrier
	buffer_gl0_inv
	s_and_saveexec_b32 s2, s0
	s_cbranch_execz .LBB118_338
; %bb.329:
	s_and_not1_b32 vcc_lo, exec_lo, s3
	s_cbranch_vccnz .LBB118_331
; %bb.330:
	scratch_load_b64 v[111:112], v115, off
	ds_load_b64 v[126:127], v114
	s_waitcnt vmcnt(0) lgkmcnt(0)
	v_mul_f64 v[111:112], v[111:112], v[126:127]
	s_cbranch_execz .LBB118_332
	s_branch .LBB118_333
.LBB118_331:
                                        ; implicit-def: $vgpr111_vgpr112
.LBB118_332:
	ds_load_b64 v[111:112], v114
.LBB118_333:
	s_and_saveexec_b32 s4, s1
	s_cbranch_execz .LBB118_337
; %bb.334:
	v_mov_b32_e32 v126, 0
	v_subrev_nc_u32_e32 v127, 21, v0
	s_movk_i32 s5, 0x268
	s_mov_b32 s1, 0
	s_delay_alu instid0(VALU_DEP_2)
	v_add_nc_u32_e32 v126, 0xa8, v126
.LBB118_335:                            ; =>This Inner Loop Header: Depth=1
	scratch_load_b64 v[128:129], v126, off
	v_dual_mov_b32 v130, s5 :: v_dual_add_nc_u32 v127, -1, v127
	v_add_nc_u32_e32 v126, 8, v126
	s_add_i32 s5, s5, 8
	ds_load_b64 v[130:131], v130
	v_cmp_eq_u32_e32 vcc_lo, 0, v127
	s_or_b32 s1, vcc_lo, s1
	s_waitcnt vmcnt(0) lgkmcnt(0)
	v_fma_f64 v[111:112], v[128:129], v[130:131], v[111:112]
	s_and_not1_b32 exec_lo, exec_lo, s1
	s_cbranch_execnz .LBB118_335
; %bb.336:
	s_or_b32 exec_lo, exec_lo, s1
.LBB118_337:
	s_delay_alu instid0(SALU_CYCLE_1)
	s_or_b32 exec_lo, exec_lo, s4
	v_mov_b32_e32 v126, 0
	ds_load_b64 v[126:127], v126 offset:160
	s_waitcnt lgkmcnt(0)
	v_mul_f64 v[111:112], v[111:112], v[126:127]
	scratch_store_b64 off, v[111:112], off offset:160
.LBB118_338:
	s_or_b32 exec_lo, exec_lo, s2
	scratch_load_b64 v[111:112], off, off offset:152
	v_cmp_lt_u32_e64 s1, 19, v0
	s_waitcnt vmcnt(0)
	ds_store_b64 v114, v[111:112]
	s_waitcnt lgkmcnt(0)
	s_waitcnt_vscnt null, 0x0
	s_barrier
	buffer_gl0_inv
	s_and_saveexec_b32 s2, s1
	s_cbranch_execz .LBB118_348
; %bb.339:
	s_and_not1_b32 vcc_lo, exec_lo, s3
	s_cbranch_vccnz .LBB118_341
; %bb.340:
	scratch_load_b64 v[111:112], v115, off
	ds_load_b64 v[126:127], v114
	s_waitcnt vmcnt(0) lgkmcnt(0)
	v_mul_f64 v[111:112], v[111:112], v[126:127]
	s_cbranch_execz .LBB118_342
	s_branch .LBB118_343
.LBB118_341:
                                        ; implicit-def: $vgpr111_vgpr112
.LBB118_342:
	ds_load_b64 v[111:112], v114
.LBB118_343:
	s_and_saveexec_b32 s4, s0
	s_cbranch_execz .LBB118_347
; %bb.344:
	v_subrev_nc_u32_e32 v126, 20, v0
	s_movk_i32 s5, 0x260
	s_mov_b32 s0, 0
.LBB118_345:                            ; =>This Inner Loop Header: Depth=1
	scratch_load_b64 v[127:128], v125, off
	v_dual_mov_b32 v129, s5 :: v_dual_add_nc_u32 v126, -1, v126
	v_add_nc_u32_e32 v125, 8, v125
	s_add_i32 s5, s5, 8
	ds_load_b64 v[129:130], v129
	v_cmp_eq_u32_e32 vcc_lo, 0, v126
	s_or_b32 s0, vcc_lo, s0
	s_waitcnt vmcnt(0) lgkmcnt(0)
	v_fma_f64 v[111:112], v[127:128], v[129:130], v[111:112]
	s_and_not1_b32 exec_lo, exec_lo, s0
	s_cbranch_execnz .LBB118_345
; %bb.346:
	s_or_b32 exec_lo, exec_lo, s0
.LBB118_347:
	s_delay_alu instid0(SALU_CYCLE_1)
	s_or_b32 exec_lo, exec_lo, s4
	v_mov_b32_e32 v125, 0
	ds_load_b64 v[125:126], v125 offset:152
	s_waitcnt lgkmcnt(0)
	v_mul_f64 v[111:112], v[111:112], v[125:126]
	scratch_store_b64 off, v[111:112], off offset:152
.LBB118_348:
	s_or_b32 exec_lo, exec_lo, s2
	scratch_load_b64 v[111:112], off, off offset:144
	v_cmp_lt_u32_e64 s0, 18, v0
	s_waitcnt vmcnt(0)
	ds_store_b64 v114, v[111:112]
	s_waitcnt lgkmcnt(0)
	s_waitcnt_vscnt null, 0x0
	s_barrier
	buffer_gl0_inv
	s_and_saveexec_b32 s2, s0
	s_cbranch_execz .LBB118_358
; %bb.349:
	s_and_not1_b32 vcc_lo, exec_lo, s3
	s_cbranch_vccnz .LBB118_351
; %bb.350:
	scratch_load_b64 v[111:112], v115, off
	ds_load_b64 v[125:126], v114
	s_waitcnt vmcnt(0) lgkmcnt(0)
	v_mul_f64 v[111:112], v[111:112], v[125:126]
	s_cbranch_execz .LBB118_352
	s_branch .LBB118_353
.LBB118_351:
                                        ; implicit-def: $vgpr111_vgpr112
.LBB118_352:
	ds_load_b64 v[111:112], v114
.LBB118_353:
	s_and_saveexec_b32 s4, s1
	s_cbranch_execz .LBB118_357
; %bb.354:
	v_mov_b32_e32 v125, 0
	v_subrev_nc_u32_e32 v126, 19, v0
	s_movk_i32 s5, 0x258
	s_mov_b32 s1, 0
	s_delay_alu instid0(VALU_DEP_2)
	v_add_nc_u32_e32 v125, 0x98, v125
.LBB118_355:                            ; =>This Inner Loop Header: Depth=1
	scratch_load_b64 v[127:128], v125, off
	v_dual_mov_b32 v129, s5 :: v_dual_add_nc_u32 v126, -1, v126
	v_add_nc_u32_e32 v125, 8, v125
	s_add_i32 s5, s5, 8
	ds_load_b64 v[129:130], v129
	v_cmp_eq_u32_e32 vcc_lo, 0, v126
	s_or_b32 s1, vcc_lo, s1
	s_waitcnt vmcnt(0) lgkmcnt(0)
	v_fma_f64 v[111:112], v[127:128], v[129:130], v[111:112]
	s_and_not1_b32 exec_lo, exec_lo, s1
	s_cbranch_execnz .LBB118_355
; %bb.356:
	s_or_b32 exec_lo, exec_lo, s1
.LBB118_357:
	s_delay_alu instid0(SALU_CYCLE_1)
	s_or_b32 exec_lo, exec_lo, s4
	v_mov_b32_e32 v125, 0
	ds_load_b64 v[125:126], v125 offset:144
	s_waitcnt lgkmcnt(0)
	v_mul_f64 v[111:112], v[111:112], v[125:126]
	scratch_store_b64 off, v[111:112], off offset:144
.LBB118_358:
	s_or_b32 exec_lo, exec_lo, s2
	scratch_load_b64 v[111:112], off, off offset:136
	v_cmp_lt_u32_e64 s1, 17, v0
	s_waitcnt vmcnt(0)
	ds_store_b64 v114, v[111:112]
	s_waitcnt lgkmcnt(0)
	s_waitcnt_vscnt null, 0x0
	s_barrier
	buffer_gl0_inv
	s_and_saveexec_b32 s2, s1
	s_cbranch_execz .LBB118_368
; %bb.359:
	s_and_not1_b32 vcc_lo, exec_lo, s3
	s_cbranch_vccnz .LBB118_361
; %bb.360:
	scratch_load_b64 v[111:112], v115, off
	ds_load_b64 v[125:126], v114
	s_waitcnt vmcnt(0) lgkmcnt(0)
	v_mul_f64 v[111:112], v[111:112], v[125:126]
	s_cbranch_execz .LBB118_362
	s_branch .LBB118_363
.LBB118_361:
                                        ; implicit-def: $vgpr111_vgpr112
.LBB118_362:
	ds_load_b64 v[111:112], v114
.LBB118_363:
	s_and_saveexec_b32 s4, s0
	s_cbranch_execz .LBB118_367
; %bb.364:
	v_subrev_nc_u32_e32 v125, 18, v0
	s_movk_i32 s5, 0x250
	s_mov_b32 s0, 0
.LBB118_365:                            ; =>This Inner Loop Header: Depth=1
	scratch_load_b64 v[126:127], v124, off
	v_dual_mov_b32 v128, s5 :: v_dual_add_nc_u32 v125, -1, v125
	v_add_nc_u32_e32 v124, 8, v124
	s_add_i32 s5, s5, 8
	ds_load_b64 v[128:129], v128
	v_cmp_eq_u32_e32 vcc_lo, 0, v125
	s_or_b32 s0, vcc_lo, s0
	s_waitcnt vmcnt(0) lgkmcnt(0)
	v_fma_f64 v[111:112], v[126:127], v[128:129], v[111:112]
	s_and_not1_b32 exec_lo, exec_lo, s0
	s_cbranch_execnz .LBB118_365
; %bb.366:
	s_or_b32 exec_lo, exec_lo, s0
.LBB118_367:
	s_delay_alu instid0(SALU_CYCLE_1)
	s_or_b32 exec_lo, exec_lo, s4
	v_mov_b32_e32 v124, 0
	ds_load_b64 v[124:125], v124 offset:136
	s_waitcnt lgkmcnt(0)
	v_mul_f64 v[111:112], v[111:112], v[124:125]
	scratch_store_b64 off, v[111:112], off offset:136
.LBB118_368:
	s_or_b32 exec_lo, exec_lo, s2
	scratch_load_b64 v[111:112], off, off offset:128
	v_cmp_lt_u32_e64 s0, 16, v0
	s_waitcnt vmcnt(0)
	ds_store_b64 v114, v[111:112]
	s_waitcnt lgkmcnt(0)
	s_waitcnt_vscnt null, 0x0
	s_barrier
	buffer_gl0_inv
	s_and_saveexec_b32 s2, s0
	s_cbranch_execz .LBB118_378
; %bb.369:
	s_and_not1_b32 vcc_lo, exec_lo, s3
	s_cbranch_vccnz .LBB118_371
; %bb.370:
	scratch_load_b64 v[111:112], v115, off
	ds_load_b64 v[124:125], v114
	s_waitcnt vmcnt(0) lgkmcnt(0)
	v_mul_f64 v[111:112], v[111:112], v[124:125]
	s_cbranch_execz .LBB118_372
	s_branch .LBB118_373
.LBB118_371:
                                        ; implicit-def: $vgpr111_vgpr112
.LBB118_372:
	ds_load_b64 v[111:112], v114
.LBB118_373:
	s_and_saveexec_b32 s4, s1
	s_cbranch_execz .LBB118_377
; %bb.374:
	v_mov_b32_e32 v124, 0
	v_subrev_nc_u32_e32 v125, 17, v0
	s_movk_i32 s5, 0x248
	s_mov_b32 s1, 0
	s_delay_alu instid0(VALU_DEP_2)
	v_add_nc_u32_e32 v124, 0x88, v124
.LBB118_375:                            ; =>This Inner Loop Header: Depth=1
	scratch_load_b64 v[126:127], v124, off
	v_dual_mov_b32 v128, s5 :: v_dual_add_nc_u32 v125, -1, v125
	v_add_nc_u32_e32 v124, 8, v124
	s_add_i32 s5, s5, 8
	ds_load_b64 v[128:129], v128
	v_cmp_eq_u32_e32 vcc_lo, 0, v125
	s_or_b32 s1, vcc_lo, s1
	s_waitcnt vmcnt(0) lgkmcnt(0)
	v_fma_f64 v[111:112], v[126:127], v[128:129], v[111:112]
	s_and_not1_b32 exec_lo, exec_lo, s1
	s_cbranch_execnz .LBB118_375
; %bb.376:
	s_or_b32 exec_lo, exec_lo, s1
.LBB118_377:
	s_delay_alu instid0(SALU_CYCLE_1)
	s_or_b32 exec_lo, exec_lo, s4
	v_mov_b32_e32 v124, 0
	ds_load_b64 v[124:125], v124 offset:128
	s_waitcnt lgkmcnt(0)
	v_mul_f64 v[111:112], v[111:112], v[124:125]
	scratch_store_b64 off, v[111:112], off offset:128
.LBB118_378:
	s_or_b32 exec_lo, exec_lo, s2
	scratch_load_b64 v[111:112], off, off offset:120
	v_cmp_lt_u32_e64 s1, 15, v0
	s_waitcnt vmcnt(0)
	ds_store_b64 v114, v[111:112]
	s_waitcnt lgkmcnt(0)
	s_waitcnt_vscnt null, 0x0
	s_barrier
	buffer_gl0_inv
	s_and_saveexec_b32 s2, s1
	s_cbranch_execz .LBB118_388
; %bb.379:
	s_and_not1_b32 vcc_lo, exec_lo, s3
	s_cbranch_vccnz .LBB118_381
; %bb.380:
	scratch_load_b64 v[111:112], v115, off
	ds_load_b64 v[124:125], v114
	s_waitcnt vmcnt(0) lgkmcnt(0)
	v_mul_f64 v[111:112], v[111:112], v[124:125]
	s_cbranch_execz .LBB118_382
	s_branch .LBB118_383
.LBB118_381:
                                        ; implicit-def: $vgpr111_vgpr112
.LBB118_382:
	ds_load_b64 v[111:112], v114
.LBB118_383:
	s_and_saveexec_b32 s4, s0
	s_cbranch_execz .LBB118_387
; %bb.384:
	v_add_nc_u32_e32 v124, -16, v0
	s_movk_i32 s5, 0x240
	s_mov_b32 s0, 0
.LBB118_385:                            ; =>This Inner Loop Header: Depth=1
	scratch_load_b64 v[125:126], v123, off
	v_dual_mov_b32 v127, s5 :: v_dual_add_nc_u32 v124, -1, v124
	v_add_nc_u32_e32 v123, 8, v123
	s_add_i32 s5, s5, 8
	ds_load_b64 v[127:128], v127
	v_cmp_eq_u32_e32 vcc_lo, 0, v124
	s_or_b32 s0, vcc_lo, s0
	s_waitcnt vmcnt(0) lgkmcnt(0)
	v_fma_f64 v[111:112], v[125:126], v[127:128], v[111:112]
	s_and_not1_b32 exec_lo, exec_lo, s0
	s_cbranch_execnz .LBB118_385
; %bb.386:
	s_or_b32 exec_lo, exec_lo, s0
.LBB118_387:
	s_delay_alu instid0(SALU_CYCLE_1)
	s_or_b32 exec_lo, exec_lo, s4
	v_mov_b32_e32 v123, 0
	ds_load_b64 v[123:124], v123 offset:120
	s_waitcnt lgkmcnt(0)
	v_mul_f64 v[111:112], v[111:112], v[123:124]
	scratch_store_b64 off, v[111:112], off offset:120
.LBB118_388:
	s_or_b32 exec_lo, exec_lo, s2
	scratch_load_b64 v[111:112], off, off offset:112
	v_cmp_lt_u32_e64 s0, 14, v0
	s_waitcnt vmcnt(0)
	ds_store_b64 v114, v[111:112]
	s_waitcnt lgkmcnt(0)
	s_waitcnt_vscnt null, 0x0
	s_barrier
	buffer_gl0_inv
	s_and_saveexec_b32 s2, s0
	s_cbranch_execz .LBB118_398
; %bb.389:
	s_and_not1_b32 vcc_lo, exec_lo, s3
	s_cbranch_vccnz .LBB118_391
; %bb.390:
	scratch_load_b64 v[111:112], v115, off
	ds_load_b64 v[123:124], v114
	s_waitcnt vmcnt(0) lgkmcnt(0)
	v_mul_f64 v[111:112], v[111:112], v[123:124]
	s_cbranch_execz .LBB118_392
	s_branch .LBB118_393
.LBB118_391:
                                        ; implicit-def: $vgpr111_vgpr112
.LBB118_392:
	ds_load_b64 v[111:112], v114
.LBB118_393:
	s_and_saveexec_b32 s4, s1
	s_cbranch_execz .LBB118_397
; %bb.394:
	v_dual_mov_b32 v123, 0 :: v_dual_add_nc_u32 v124, -15, v0
	s_movk_i32 s5, 0x238
	s_mov_b32 s1, 0
	s_delay_alu instid0(VALU_DEP_1)
	v_add_nc_u32_e32 v123, 0x78, v123
.LBB118_395:                            ; =>This Inner Loop Header: Depth=1
	scratch_load_b64 v[125:126], v123, off
	v_dual_mov_b32 v127, s5 :: v_dual_add_nc_u32 v124, -1, v124
	v_add_nc_u32_e32 v123, 8, v123
	s_add_i32 s5, s5, 8
	ds_load_b64 v[127:128], v127
	v_cmp_eq_u32_e32 vcc_lo, 0, v124
	s_or_b32 s1, vcc_lo, s1
	s_waitcnt vmcnt(0) lgkmcnt(0)
	v_fma_f64 v[111:112], v[125:126], v[127:128], v[111:112]
	s_and_not1_b32 exec_lo, exec_lo, s1
	s_cbranch_execnz .LBB118_395
; %bb.396:
	s_or_b32 exec_lo, exec_lo, s1
.LBB118_397:
	s_delay_alu instid0(SALU_CYCLE_1)
	s_or_b32 exec_lo, exec_lo, s4
	v_mov_b32_e32 v123, 0
	ds_load_b64 v[123:124], v123 offset:112
	s_waitcnt lgkmcnt(0)
	v_mul_f64 v[111:112], v[111:112], v[123:124]
	scratch_store_b64 off, v[111:112], off offset:112
.LBB118_398:
	s_or_b32 exec_lo, exec_lo, s2
	scratch_load_b64 v[111:112], off, off offset:104
	v_cmp_lt_u32_e64 s1, 13, v0
	s_waitcnt vmcnt(0)
	ds_store_b64 v114, v[111:112]
	s_waitcnt lgkmcnt(0)
	s_waitcnt_vscnt null, 0x0
	s_barrier
	buffer_gl0_inv
	s_and_saveexec_b32 s2, s1
	s_cbranch_execz .LBB118_408
; %bb.399:
	s_and_not1_b32 vcc_lo, exec_lo, s3
	s_cbranch_vccnz .LBB118_401
; %bb.400:
	scratch_load_b64 v[111:112], v115, off
	ds_load_b64 v[123:124], v114
	s_waitcnt vmcnt(0) lgkmcnt(0)
	v_mul_f64 v[111:112], v[111:112], v[123:124]
	s_cbranch_execz .LBB118_402
	s_branch .LBB118_403
.LBB118_401:
                                        ; implicit-def: $vgpr111_vgpr112
.LBB118_402:
	ds_load_b64 v[111:112], v114
.LBB118_403:
	s_and_saveexec_b32 s4, s0
	s_cbranch_execz .LBB118_407
; %bb.404:
	v_add_nc_u32_e32 v123, -14, v0
	s_movk_i32 s5, 0x230
	s_mov_b32 s0, 0
.LBB118_405:                            ; =>This Inner Loop Header: Depth=1
	scratch_load_b64 v[124:125], v122, off
	v_dual_mov_b32 v126, s5 :: v_dual_add_nc_u32 v123, -1, v123
	v_add_nc_u32_e32 v122, 8, v122
	s_add_i32 s5, s5, 8
	ds_load_b64 v[126:127], v126
	v_cmp_eq_u32_e32 vcc_lo, 0, v123
	s_or_b32 s0, vcc_lo, s0
	s_waitcnt vmcnt(0) lgkmcnt(0)
	v_fma_f64 v[111:112], v[124:125], v[126:127], v[111:112]
	s_and_not1_b32 exec_lo, exec_lo, s0
	s_cbranch_execnz .LBB118_405
; %bb.406:
	s_or_b32 exec_lo, exec_lo, s0
.LBB118_407:
	s_delay_alu instid0(SALU_CYCLE_1)
	s_or_b32 exec_lo, exec_lo, s4
	v_mov_b32_e32 v122, 0
	ds_load_b64 v[122:123], v122 offset:104
	s_waitcnt lgkmcnt(0)
	v_mul_f64 v[111:112], v[111:112], v[122:123]
	scratch_store_b64 off, v[111:112], off offset:104
.LBB118_408:
	s_or_b32 exec_lo, exec_lo, s2
	scratch_load_b64 v[111:112], off, off offset:96
	v_cmp_lt_u32_e64 s0, 12, v0
	s_waitcnt vmcnt(0)
	ds_store_b64 v114, v[111:112]
	s_waitcnt lgkmcnt(0)
	s_waitcnt_vscnt null, 0x0
	s_barrier
	buffer_gl0_inv
	s_and_saveexec_b32 s2, s0
	s_cbranch_execz .LBB118_418
; %bb.409:
	s_and_not1_b32 vcc_lo, exec_lo, s3
	s_cbranch_vccnz .LBB118_411
; %bb.410:
	scratch_load_b64 v[111:112], v115, off
	ds_load_b64 v[122:123], v114
	s_waitcnt vmcnt(0) lgkmcnt(0)
	v_mul_f64 v[111:112], v[111:112], v[122:123]
	s_cbranch_execz .LBB118_412
	s_branch .LBB118_413
.LBB118_411:
                                        ; implicit-def: $vgpr111_vgpr112
.LBB118_412:
	ds_load_b64 v[111:112], v114
.LBB118_413:
	s_and_saveexec_b32 s4, s1
	s_cbranch_execz .LBB118_417
; %bb.414:
	v_dual_mov_b32 v122, 0 :: v_dual_add_nc_u32 v123, -13, v0
	s_movk_i32 s5, 0x228
	s_mov_b32 s1, 0
	s_delay_alu instid0(VALU_DEP_1)
	v_add_nc_u32_e32 v122, 0x68, v122
.LBB118_415:                            ; =>This Inner Loop Header: Depth=1
	scratch_load_b64 v[124:125], v122, off
	v_dual_mov_b32 v126, s5 :: v_dual_add_nc_u32 v123, -1, v123
	v_add_nc_u32_e32 v122, 8, v122
	s_add_i32 s5, s5, 8
	ds_load_b64 v[126:127], v126
	v_cmp_eq_u32_e32 vcc_lo, 0, v123
	s_or_b32 s1, vcc_lo, s1
	s_waitcnt vmcnt(0) lgkmcnt(0)
	v_fma_f64 v[111:112], v[124:125], v[126:127], v[111:112]
	s_and_not1_b32 exec_lo, exec_lo, s1
	s_cbranch_execnz .LBB118_415
; %bb.416:
	s_or_b32 exec_lo, exec_lo, s1
.LBB118_417:
	s_delay_alu instid0(SALU_CYCLE_1)
	s_or_b32 exec_lo, exec_lo, s4
	v_mov_b32_e32 v122, 0
	ds_load_b64 v[122:123], v122 offset:96
	s_waitcnt lgkmcnt(0)
	v_mul_f64 v[111:112], v[111:112], v[122:123]
	scratch_store_b64 off, v[111:112], off offset:96
.LBB118_418:
	s_or_b32 exec_lo, exec_lo, s2
	scratch_load_b64 v[111:112], off, off offset:88
	v_cmp_lt_u32_e64 s1, 11, v0
	s_waitcnt vmcnt(0)
	ds_store_b64 v114, v[111:112]
	s_waitcnt lgkmcnt(0)
	s_waitcnt_vscnt null, 0x0
	s_barrier
	buffer_gl0_inv
	s_and_saveexec_b32 s2, s1
	s_cbranch_execz .LBB118_428
; %bb.419:
	s_and_not1_b32 vcc_lo, exec_lo, s3
	s_cbranch_vccnz .LBB118_421
; %bb.420:
	scratch_load_b64 v[111:112], v115, off
	ds_load_b64 v[122:123], v114
	s_waitcnt vmcnt(0) lgkmcnt(0)
	v_mul_f64 v[111:112], v[111:112], v[122:123]
	s_cbranch_execz .LBB118_422
	s_branch .LBB118_423
.LBB118_421:
                                        ; implicit-def: $vgpr111_vgpr112
.LBB118_422:
	ds_load_b64 v[111:112], v114
.LBB118_423:
	s_and_saveexec_b32 s4, s0
	s_cbranch_execz .LBB118_427
; %bb.424:
	v_add_nc_u32_e32 v122, -12, v0
	s_movk_i32 s5, 0x220
	s_mov_b32 s0, 0
.LBB118_425:                            ; =>This Inner Loop Header: Depth=1
	scratch_load_b64 v[123:124], v121, off
	v_dual_mov_b32 v125, s5 :: v_dual_add_nc_u32 v122, -1, v122
	v_add_nc_u32_e32 v121, 8, v121
	s_add_i32 s5, s5, 8
	ds_load_b64 v[125:126], v125
	v_cmp_eq_u32_e32 vcc_lo, 0, v122
	s_or_b32 s0, vcc_lo, s0
	s_waitcnt vmcnt(0) lgkmcnt(0)
	v_fma_f64 v[111:112], v[123:124], v[125:126], v[111:112]
	s_and_not1_b32 exec_lo, exec_lo, s0
	s_cbranch_execnz .LBB118_425
; %bb.426:
	s_or_b32 exec_lo, exec_lo, s0
.LBB118_427:
	s_delay_alu instid0(SALU_CYCLE_1)
	s_or_b32 exec_lo, exec_lo, s4
	v_mov_b32_e32 v121, 0
	ds_load_b64 v[121:122], v121 offset:88
	s_waitcnt lgkmcnt(0)
	v_mul_f64 v[111:112], v[111:112], v[121:122]
	scratch_store_b64 off, v[111:112], off offset:88
.LBB118_428:
	s_or_b32 exec_lo, exec_lo, s2
	scratch_load_b64 v[111:112], off, off offset:80
	v_cmp_lt_u32_e64 s0, 10, v0
	s_waitcnt vmcnt(0)
	ds_store_b64 v114, v[111:112]
	s_waitcnt lgkmcnt(0)
	s_waitcnt_vscnt null, 0x0
	s_barrier
	buffer_gl0_inv
	s_and_saveexec_b32 s2, s0
	s_cbranch_execz .LBB118_438
; %bb.429:
	s_and_not1_b32 vcc_lo, exec_lo, s3
	s_cbranch_vccnz .LBB118_431
; %bb.430:
	scratch_load_b64 v[111:112], v115, off
	ds_load_b64 v[121:122], v114
	s_waitcnt vmcnt(0) lgkmcnt(0)
	v_mul_f64 v[111:112], v[111:112], v[121:122]
	s_cbranch_execz .LBB118_432
	s_branch .LBB118_433
.LBB118_431:
                                        ; implicit-def: $vgpr111_vgpr112
.LBB118_432:
	ds_load_b64 v[111:112], v114
.LBB118_433:
	s_and_saveexec_b32 s4, s1
	s_cbranch_execz .LBB118_437
; %bb.434:
	v_dual_mov_b32 v121, 0 :: v_dual_add_nc_u32 v122, -11, v0
	s_movk_i32 s5, 0x218
	s_mov_b32 s1, 0
	s_delay_alu instid0(VALU_DEP_1)
	v_add_nc_u32_e32 v121, 0x58, v121
.LBB118_435:                            ; =>This Inner Loop Header: Depth=1
	scratch_load_b64 v[123:124], v121, off
	v_dual_mov_b32 v125, s5 :: v_dual_add_nc_u32 v122, -1, v122
	v_add_nc_u32_e32 v121, 8, v121
	s_add_i32 s5, s5, 8
	ds_load_b64 v[125:126], v125
	v_cmp_eq_u32_e32 vcc_lo, 0, v122
	s_or_b32 s1, vcc_lo, s1
	s_waitcnt vmcnt(0) lgkmcnt(0)
	v_fma_f64 v[111:112], v[123:124], v[125:126], v[111:112]
	s_and_not1_b32 exec_lo, exec_lo, s1
	s_cbranch_execnz .LBB118_435
; %bb.436:
	s_or_b32 exec_lo, exec_lo, s1
.LBB118_437:
	s_delay_alu instid0(SALU_CYCLE_1)
	s_or_b32 exec_lo, exec_lo, s4
	v_mov_b32_e32 v121, 0
	ds_load_b64 v[121:122], v121 offset:80
	s_waitcnt lgkmcnt(0)
	v_mul_f64 v[111:112], v[111:112], v[121:122]
	scratch_store_b64 off, v[111:112], off offset:80
.LBB118_438:
	s_or_b32 exec_lo, exec_lo, s2
	scratch_load_b64 v[111:112], off, off offset:72
	v_cmp_lt_u32_e64 s1, 9, v0
	s_waitcnt vmcnt(0)
	ds_store_b64 v114, v[111:112]
	s_waitcnt lgkmcnt(0)
	s_waitcnt_vscnt null, 0x0
	s_barrier
	buffer_gl0_inv
	s_and_saveexec_b32 s2, s1
	s_cbranch_execz .LBB118_448
; %bb.439:
	s_and_not1_b32 vcc_lo, exec_lo, s3
	s_cbranch_vccnz .LBB118_441
; %bb.440:
	scratch_load_b64 v[111:112], v115, off
	ds_load_b64 v[121:122], v114
	s_waitcnt vmcnt(0) lgkmcnt(0)
	v_mul_f64 v[111:112], v[111:112], v[121:122]
	s_cbranch_execz .LBB118_442
	s_branch .LBB118_443
.LBB118_441:
                                        ; implicit-def: $vgpr111_vgpr112
.LBB118_442:
	ds_load_b64 v[111:112], v114
.LBB118_443:
	s_and_saveexec_b32 s4, s0
	s_cbranch_execz .LBB118_447
; %bb.444:
	v_add_nc_u32_e32 v121, -10, v0
	s_movk_i32 s5, 0x210
	s_mov_b32 s0, 0
.LBB118_445:                            ; =>This Inner Loop Header: Depth=1
	scratch_load_b64 v[122:123], v120, off
	v_dual_mov_b32 v124, s5 :: v_dual_add_nc_u32 v121, -1, v121
	v_add_nc_u32_e32 v120, 8, v120
	s_add_i32 s5, s5, 8
	ds_load_b64 v[124:125], v124
	v_cmp_eq_u32_e32 vcc_lo, 0, v121
	s_or_b32 s0, vcc_lo, s0
	s_waitcnt vmcnt(0) lgkmcnt(0)
	v_fma_f64 v[111:112], v[122:123], v[124:125], v[111:112]
	s_and_not1_b32 exec_lo, exec_lo, s0
	s_cbranch_execnz .LBB118_445
; %bb.446:
	s_or_b32 exec_lo, exec_lo, s0
.LBB118_447:
	s_delay_alu instid0(SALU_CYCLE_1)
	s_or_b32 exec_lo, exec_lo, s4
	v_mov_b32_e32 v120, 0
	ds_load_b64 v[120:121], v120 offset:72
	s_waitcnt lgkmcnt(0)
	v_mul_f64 v[111:112], v[111:112], v[120:121]
	scratch_store_b64 off, v[111:112], off offset:72
.LBB118_448:
	s_or_b32 exec_lo, exec_lo, s2
	scratch_load_b64 v[111:112], off, off offset:64
	v_cmp_lt_u32_e64 s0, 8, v0
	s_waitcnt vmcnt(0)
	ds_store_b64 v114, v[111:112]
	s_waitcnt lgkmcnt(0)
	s_waitcnt_vscnt null, 0x0
	s_barrier
	buffer_gl0_inv
	s_and_saveexec_b32 s2, s0
	s_cbranch_execz .LBB118_458
; %bb.449:
	s_and_not1_b32 vcc_lo, exec_lo, s3
	s_cbranch_vccnz .LBB118_451
; %bb.450:
	scratch_load_b64 v[111:112], v115, off
	ds_load_b64 v[120:121], v114
	s_waitcnt vmcnt(0) lgkmcnt(0)
	v_mul_f64 v[111:112], v[111:112], v[120:121]
	s_cbranch_execz .LBB118_452
	s_branch .LBB118_453
.LBB118_451:
                                        ; implicit-def: $vgpr111_vgpr112
.LBB118_452:
	ds_load_b64 v[111:112], v114
.LBB118_453:
	s_and_saveexec_b32 s4, s1
	s_cbranch_execz .LBB118_457
; %bb.454:
	v_dual_mov_b32 v120, 0 :: v_dual_add_nc_u32 v121, -9, v0
	s_movk_i32 s5, 0x208
	s_mov_b32 s1, 0
	s_delay_alu instid0(VALU_DEP_1)
	v_add_nc_u32_e32 v120, 0x48, v120
.LBB118_455:                            ; =>This Inner Loop Header: Depth=1
	scratch_load_b64 v[122:123], v120, off
	v_dual_mov_b32 v124, s5 :: v_dual_add_nc_u32 v121, -1, v121
	v_add_nc_u32_e32 v120, 8, v120
	s_add_i32 s5, s5, 8
	ds_load_b64 v[124:125], v124
	v_cmp_eq_u32_e32 vcc_lo, 0, v121
	s_or_b32 s1, vcc_lo, s1
	s_waitcnt vmcnt(0) lgkmcnt(0)
	v_fma_f64 v[111:112], v[122:123], v[124:125], v[111:112]
	s_and_not1_b32 exec_lo, exec_lo, s1
	s_cbranch_execnz .LBB118_455
; %bb.456:
	s_or_b32 exec_lo, exec_lo, s1
.LBB118_457:
	s_delay_alu instid0(SALU_CYCLE_1)
	s_or_b32 exec_lo, exec_lo, s4
	v_mov_b32_e32 v120, 0
	ds_load_b64 v[120:121], v120 offset:64
	s_waitcnt lgkmcnt(0)
	v_mul_f64 v[111:112], v[111:112], v[120:121]
	scratch_store_b64 off, v[111:112], off offset:64
.LBB118_458:
	s_or_b32 exec_lo, exec_lo, s2
	scratch_load_b64 v[111:112], off, off offset:56
	v_cmp_lt_u32_e64 s1, 7, v0
	s_waitcnt vmcnt(0)
	ds_store_b64 v114, v[111:112]
	s_waitcnt lgkmcnt(0)
	s_waitcnt_vscnt null, 0x0
	s_barrier
	buffer_gl0_inv
	s_and_saveexec_b32 s2, s1
	s_cbranch_execz .LBB118_468
; %bb.459:
	s_and_not1_b32 vcc_lo, exec_lo, s3
	s_cbranch_vccnz .LBB118_461
; %bb.460:
	scratch_load_b64 v[111:112], v115, off
	ds_load_b64 v[120:121], v114
	s_waitcnt vmcnt(0) lgkmcnt(0)
	v_mul_f64 v[111:112], v[111:112], v[120:121]
	s_cbranch_execz .LBB118_462
	s_branch .LBB118_463
.LBB118_461:
                                        ; implicit-def: $vgpr111_vgpr112
.LBB118_462:
	ds_load_b64 v[111:112], v114
.LBB118_463:
	s_and_saveexec_b32 s4, s0
	s_cbranch_execz .LBB118_467
; %bb.464:
	v_add_nc_u32_e32 v120, -8, v0
	s_movk_i32 s5, 0x200
	s_mov_b32 s0, 0
.LBB118_465:                            ; =>This Inner Loop Header: Depth=1
	scratch_load_b64 v[121:122], v119, off
	v_dual_mov_b32 v123, s5 :: v_dual_add_nc_u32 v120, -1, v120
	v_add_nc_u32_e32 v119, 8, v119
	s_add_i32 s5, s5, 8
	ds_load_b64 v[123:124], v123
	v_cmp_eq_u32_e32 vcc_lo, 0, v120
	s_or_b32 s0, vcc_lo, s0
	s_waitcnt vmcnt(0) lgkmcnt(0)
	v_fma_f64 v[111:112], v[121:122], v[123:124], v[111:112]
	s_and_not1_b32 exec_lo, exec_lo, s0
	s_cbranch_execnz .LBB118_465
; %bb.466:
	s_or_b32 exec_lo, exec_lo, s0
.LBB118_467:
	s_delay_alu instid0(SALU_CYCLE_1)
	s_or_b32 exec_lo, exec_lo, s4
	v_mov_b32_e32 v119, 0
	ds_load_b64 v[119:120], v119 offset:56
	s_waitcnt lgkmcnt(0)
	v_mul_f64 v[111:112], v[111:112], v[119:120]
	scratch_store_b64 off, v[111:112], off offset:56
.LBB118_468:
	s_or_b32 exec_lo, exec_lo, s2
	scratch_load_b64 v[111:112], off, off offset:48
	v_cmp_lt_u32_e64 s0, 6, v0
	s_waitcnt vmcnt(0)
	ds_store_b64 v114, v[111:112]
	s_waitcnt lgkmcnt(0)
	s_waitcnt_vscnt null, 0x0
	s_barrier
	buffer_gl0_inv
	s_and_saveexec_b32 s2, s0
	s_cbranch_execz .LBB118_478
; %bb.469:
	s_and_not1_b32 vcc_lo, exec_lo, s3
	s_cbranch_vccnz .LBB118_471
; %bb.470:
	scratch_load_b64 v[111:112], v115, off
	ds_load_b64 v[119:120], v114
	s_waitcnt vmcnt(0) lgkmcnt(0)
	v_mul_f64 v[111:112], v[111:112], v[119:120]
	s_cbranch_execz .LBB118_472
	s_branch .LBB118_473
.LBB118_471:
                                        ; implicit-def: $vgpr111_vgpr112
.LBB118_472:
	ds_load_b64 v[111:112], v114
.LBB118_473:
	s_and_saveexec_b32 s4, s1
	s_cbranch_execz .LBB118_477
; %bb.474:
	v_add_nc_u32_e64 v119, 0, 56
	v_add_nc_u32_e32 v120, -7, v0
	s_movk_i32 s5, 0x1f8
	s_mov_b32 s1, 0
.LBB118_475:                            ; =>This Inner Loop Header: Depth=1
	scratch_load_b64 v[121:122], v119, off
	v_dual_mov_b32 v123, s5 :: v_dual_add_nc_u32 v120, -1, v120
	v_add_nc_u32_e32 v119, 8, v119
	s_add_i32 s5, s5, 8
	ds_load_b64 v[123:124], v123
	v_cmp_eq_u32_e32 vcc_lo, 0, v120
	s_or_b32 s1, vcc_lo, s1
	s_waitcnt vmcnt(0) lgkmcnt(0)
	v_fma_f64 v[111:112], v[121:122], v[123:124], v[111:112]
	s_and_not1_b32 exec_lo, exec_lo, s1
	s_cbranch_execnz .LBB118_475
; %bb.476:
	s_or_b32 exec_lo, exec_lo, s1
.LBB118_477:
	s_delay_alu instid0(SALU_CYCLE_1)
	s_or_b32 exec_lo, exec_lo, s4
	v_mov_b32_e32 v119, 0
	ds_load_b64 v[119:120], v119 offset:48
	s_waitcnt lgkmcnt(0)
	v_mul_f64 v[111:112], v[111:112], v[119:120]
	scratch_store_b64 off, v[111:112], off offset:48
.LBB118_478:
	s_or_b32 exec_lo, exec_lo, s2
	scratch_load_b64 v[111:112], off, off offset:40
	v_cmp_lt_u32_e64 s1, 5, v0
	s_waitcnt vmcnt(0)
	ds_store_b64 v114, v[111:112]
	s_waitcnt lgkmcnt(0)
	s_waitcnt_vscnt null, 0x0
	s_barrier
	buffer_gl0_inv
	s_and_saveexec_b32 s2, s1
	s_cbranch_execz .LBB118_488
; %bb.479:
	s_and_not1_b32 vcc_lo, exec_lo, s3
	s_cbranch_vccnz .LBB118_481
; %bb.480:
	scratch_load_b64 v[111:112], v115, off
	ds_load_b64 v[119:120], v114
	s_waitcnt vmcnt(0) lgkmcnt(0)
	v_mul_f64 v[111:112], v[111:112], v[119:120]
	s_cbranch_execz .LBB118_482
	s_branch .LBB118_483
.LBB118_481:
                                        ; implicit-def: $vgpr111_vgpr112
.LBB118_482:
	ds_load_b64 v[111:112], v114
.LBB118_483:
	s_and_saveexec_b32 s4, s0
	s_cbranch_execz .LBB118_487
; %bb.484:
	v_add_nc_u32_e32 v119, -6, v0
	s_movk_i32 s5, 0x1f0
	s_mov_b32 s0, 0
.LBB118_485:                            ; =>This Inner Loop Header: Depth=1
	scratch_load_b64 v[120:121], v118, off
	v_dual_mov_b32 v122, s5 :: v_dual_add_nc_u32 v119, -1, v119
	v_add_nc_u32_e32 v118, 8, v118
	s_add_i32 s5, s5, 8
	ds_load_b64 v[122:123], v122
	v_cmp_eq_u32_e32 vcc_lo, 0, v119
	s_or_b32 s0, vcc_lo, s0
	s_waitcnt vmcnt(0) lgkmcnt(0)
	v_fma_f64 v[111:112], v[120:121], v[122:123], v[111:112]
	s_and_not1_b32 exec_lo, exec_lo, s0
	s_cbranch_execnz .LBB118_485
; %bb.486:
	s_or_b32 exec_lo, exec_lo, s0
.LBB118_487:
	s_delay_alu instid0(SALU_CYCLE_1)
	s_or_b32 exec_lo, exec_lo, s4
	v_mov_b32_e32 v118, 0
	ds_load_b64 v[118:119], v118 offset:40
	s_waitcnt lgkmcnt(0)
	v_mul_f64 v[111:112], v[111:112], v[118:119]
	scratch_store_b64 off, v[111:112], off offset:40
.LBB118_488:
	s_or_b32 exec_lo, exec_lo, s2
	scratch_load_b64 v[111:112], off, off offset:32
	v_cmp_lt_u32_e64 s0, 4, v0
	s_waitcnt vmcnt(0)
	ds_store_b64 v114, v[111:112]
	s_waitcnt lgkmcnt(0)
	s_waitcnt_vscnt null, 0x0
	s_barrier
	buffer_gl0_inv
	s_and_saveexec_b32 s2, s0
	s_cbranch_execz .LBB118_498
; %bb.489:
	s_and_not1_b32 vcc_lo, exec_lo, s3
	s_cbranch_vccnz .LBB118_491
; %bb.490:
	scratch_load_b64 v[111:112], v115, off
	ds_load_b64 v[118:119], v114
	s_waitcnt vmcnt(0) lgkmcnt(0)
	v_mul_f64 v[111:112], v[111:112], v[118:119]
	s_cbranch_execz .LBB118_492
	s_branch .LBB118_493
.LBB118_491:
                                        ; implicit-def: $vgpr111_vgpr112
.LBB118_492:
	ds_load_b64 v[111:112], v114
.LBB118_493:
	s_and_saveexec_b32 s4, s1
	s_cbranch_execz .LBB118_497
; %bb.494:
	v_add_nc_u32_e64 v118, 0, 40
	v_add_nc_u32_e32 v119, -5, v0
	s_movk_i32 s5, 0x1e8
	s_mov_b32 s1, 0
.LBB118_495:                            ; =>This Inner Loop Header: Depth=1
	scratch_load_b64 v[120:121], v118, off
	v_dual_mov_b32 v122, s5 :: v_dual_add_nc_u32 v119, -1, v119
	v_add_nc_u32_e32 v118, 8, v118
	s_add_i32 s5, s5, 8
	ds_load_b64 v[122:123], v122
	v_cmp_eq_u32_e32 vcc_lo, 0, v119
	s_or_b32 s1, vcc_lo, s1
	s_waitcnt vmcnt(0) lgkmcnt(0)
	v_fma_f64 v[111:112], v[120:121], v[122:123], v[111:112]
	s_and_not1_b32 exec_lo, exec_lo, s1
	s_cbranch_execnz .LBB118_495
; %bb.496:
	s_or_b32 exec_lo, exec_lo, s1
.LBB118_497:
	s_delay_alu instid0(SALU_CYCLE_1)
	s_or_b32 exec_lo, exec_lo, s4
	v_mov_b32_e32 v118, 0
	ds_load_b64 v[118:119], v118 offset:32
	s_waitcnt lgkmcnt(0)
	v_mul_f64 v[111:112], v[111:112], v[118:119]
	scratch_store_b64 off, v[111:112], off offset:32
.LBB118_498:
	s_or_b32 exec_lo, exec_lo, s2
	scratch_load_b64 v[111:112], off, off offset:24
	v_cmp_lt_u32_e64 s1, 3, v0
	s_waitcnt vmcnt(0)
	ds_store_b64 v114, v[111:112]
	s_waitcnt lgkmcnt(0)
	s_waitcnt_vscnt null, 0x0
	s_barrier
	buffer_gl0_inv
	s_and_saveexec_b32 s2, s1
	s_cbranch_execz .LBB118_508
; %bb.499:
	s_and_not1_b32 vcc_lo, exec_lo, s3
	s_cbranch_vccnz .LBB118_501
; %bb.500:
	scratch_load_b64 v[111:112], v115, off
	ds_load_b64 v[118:119], v114
	s_waitcnt vmcnt(0) lgkmcnt(0)
	v_mul_f64 v[111:112], v[111:112], v[118:119]
	s_cbranch_execz .LBB118_502
	s_branch .LBB118_503
.LBB118_501:
                                        ; implicit-def: $vgpr111_vgpr112
.LBB118_502:
	ds_load_b64 v[111:112], v114
.LBB118_503:
	s_and_saveexec_b32 s4, s0
	s_cbranch_execz .LBB118_507
; %bb.504:
	v_add_nc_u32_e32 v118, -4, v0
	s_movk_i32 s5, 0x1e0
	s_mov_b32 s0, 0
.LBB118_505:                            ; =>This Inner Loop Header: Depth=1
	scratch_load_b64 v[119:120], v117, off
	v_dual_mov_b32 v121, s5 :: v_dual_add_nc_u32 v118, -1, v118
	v_add_nc_u32_e32 v117, 8, v117
	s_add_i32 s5, s5, 8
	ds_load_b64 v[121:122], v121
	v_cmp_eq_u32_e32 vcc_lo, 0, v118
	s_or_b32 s0, vcc_lo, s0
	s_waitcnt vmcnt(0) lgkmcnt(0)
	v_fma_f64 v[111:112], v[119:120], v[121:122], v[111:112]
	s_and_not1_b32 exec_lo, exec_lo, s0
	s_cbranch_execnz .LBB118_505
; %bb.506:
	s_or_b32 exec_lo, exec_lo, s0
.LBB118_507:
	s_delay_alu instid0(SALU_CYCLE_1)
	s_or_b32 exec_lo, exec_lo, s4
	v_mov_b32_e32 v117, 0
	ds_load_b64 v[117:118], v117 offset:24
	s_waitcnt lgkmcnt(0)
	v_mul_f64 v[111:112], v[111:112], v[117:118]
	scratch_store_b64 off, v[111:112], off offset:24
.LBB118_508:
	s_or_b32 exec_lo, exec_lo, s2
	scratch_load_b64 v[111:112], off, off offset:16
	v_cmp_lt_u32_e64 s0, 2, v0
	s_waitcnt vmcnt(0)
	ds_store_b64 v114, v[111:112]
	s_waitcnt lgkmcnt(0)
	s_waitcnt_vscnt null, 0x0
	s_barrier
	buffer_gl0_inv
	s_and_saveexec_b32 s2, s0
	s_cbranch_execz .LBB118_518
; %bb.509:
	s_and_not1_b32 vcc_lo, exec_lo, s3
	s_cbranch_vccnz .LBB118_511
; %bb.510:
	scratch_load_b64 v[111:112], v115, off
	ds_load_b64 v[117:118], v114
	s_waitcnt vmcnt(0) lgkmcnt(0)
	v_mul_f64 v[111:112], v[111:112], v[117:118]
	s_cbranch_execz .LBB118_512
	s_branch .LBB118_513
.LBB118_511:
                                        ; implicit-def: $vgpr111_vgpr112
.LBB118_512:
	ds_load_b64 v[111:112], v114
.LBB118_513:
	s_and_saveexec_b32 s4, s1
	s_cbranch_execz .LBB118_517
; %bb.514:
	v_add_nc_u32_e64 v117, 0, 24
	v_add_nc_u32_e32 v118, -3, v0
	s_movk_i32 s5, 0x1d8
	s_mov_b32 s1, 0
.LBB118_515:                            ; =>This Inner Loop Header: Depth=1
	scratch_load_b64 v[119:120], v117, off
	v_dual_mov_b32 v121, s5 :: v_dual_add_nc_u32 v118, -1, v118
	v_add_nc_u32_e32 v117, 8, v117
	s_add_i32 s5, s5, 8
	ds_load_b64 v[121:122], v121
	v_cmp_eq_u32_e32 vcc_lo, 0, v118
	s_or_b32 s1, vcc_lo, s1
	s_waitcnt vmcnt(0) lgkmcnt(0)
	v_fma_f64 v[111:112], v[119:120], v[121:122], v[111:112]
	s_and_not1_b32 exec_lo, exec_lo, s1
	s_cbranch_execnz .LBB118_515
; %bb.516:
	s_or_b32 exec_lo, exec_lo, s1
.LBB118_517:
	s_delay_alu instid0(SALU_CYCLE_1)
	s_or_b32 exec_lo, exec_lo, s4
	v_mov_b32_e32 v117, 0
	ds_load_b64 v[117:118], v117 offset:16
	s_waitcnt lgkmcnt(0)
	v_mul_f64 v[111:112], v[111:112], v[117:118]
	scratch_store_b64 off, v[111:112], off offset:16
.LBB118_518:
	s_or_b32 exec_lo, exec_lo, s2
	scratch_load_b64 v[111:112], off, off offset:8
	v_cmp_lt_u32_e64 s1, 1, v0
	s_waitcnt vmcnt(0)
	ds_store_b64 v114, v[111:112]
	s_waitcnt lgkmcnt(0)
	s_waitcnt_vscnt null, 0x0
	s_barrier
	buffer_gl0_inv
	s_and_saveexec_b32 s2, s1
	s_cbranch_execz .LBB118_528
; %bb.519:
	s_and_not1_b32 vcc_lo, exec_lo, s3
	s_cbranch_vccnz .LBB118_521
; %bb.520:
	scratch_load_b64 v[111:112], v115, off
	ds_load_b64 v[117:118], v114
	s_waitcnt vmcnt(0) lgkmcnt(0)
	v_mul_f64 v[111:112], v[111:112], v[117:118]
	s_cbranch_execz .LBB118_522
	s_branch .LBB118_523
.LBB118_521:
                                        ; implicit-def: $vgpr111_vgpr112
.LBB118_522:
	ds_load_b64 v[111:112], v114
.LBB118_523:
	s_and_saveexec_b32 s4, s0
	s_cbranch_execz .LBB118_527
; %bb.524:
	v_add_nc_u32_e32 v117, -2, v0
	s_movk_i32 s5, 0x1d0
	s_mov_b32 s0, 0
.LBB118_525:                            ; =>This Inner Loop Header: Depth=1
	scratch_load_b64 v[118:119], v116, off
	v_dual_mov_b32 v120, s5 :: v_dual_add_nc_u32 v117, -1, v117
	v_add_nc_u32_e32 v116, 8, v116
	s_add_i32 s5, s5, 8
	ds_load_b64 v[120:121], v120
	v_cmp_eq_u32_e32 vcc_lo, 0, v117
	s_or_b32 s0, vcc_lo, s0
	s_waitcnt vmcnt(0) lgkmcnt(0)
	v_fma_f64 v[111:112], v[118:119], v[120:121], v[111:112]
	s_and_not1_b32 exec_lo, exec_lo, s0
	s_cbranch_execnz .LBB118_525
; %bb.526:
	s_or_b32 exec_lo, exec_lo, s0
.LBB118_527:
	s_delay_alu instid0(SALU_CYCLE_1)
	s_or_b32 exec_lo, exec_lo, s4
	v_mov_b32_e32 v116, 0
	ds_load_b64 v[116:117], v116 offset:8
	s_waitcnt lgkmcnt(0)
	v_mul_f64 v[111:112], v[111:112], v[116:117]
	scratch_store_b64 off, v[111:112], off offset:8
.LBB118_528:
	s_or_b32 exec_lo, exec_lo, s2
	scratch_load_b64 v[111:112], off, off
	s_mov_b32 s0, 0
	s_mov_b32 s2, exec_lo
	s_waitcnt vmcnt(0)
	ds_store_b64 v114, v[111:112]
	s_waitcnt lgkmcnt(0)
	s_waitcnt_vscnt null, 0x0
	s_barrier
	buffer_gl0_inv
	v_cmpx_ne_u32_e32 0, v0
	s_cbranch_execz .LBB118_538
; %bb.529:
	s_and_not1_b32 vcc_lo, exec_lo, s3
	s_cbranch_vccnz .LBB118_531
; %bb.530:
	scratch_load_b64 v[111:112], v115, off
	ds_load_b64 v[116:117], v114
	s_waitcnt vmcnt(0) lgkmcnt(0)
	v_mul_f64 v[111:112], v[111:112], v[116:117]
	s_cbranch_execz .LBB118_532
	s_branch .LBB118_533
.LBB118_531:
                                        ; implicit-def: $vgpr111_vgpr112
.LBB118_532:
	ds_load_b64 v[111:112], v114
.LBB118_533:
	s_and_saveexec_b32 s4, s1
	s_cbranch_execz .LBB118_537
; %bb.534:
	v_or_b32_e64 v116, 0, 8
	v_add_nc_u32_e32 v117, -1, v0
	s_movk_i32 s5, 0x1c8
	s_mov_b32 s1, 0
.LBB118_535:                            ; =>This Inner Loop Header: Depth=1
	scratch_load_b64 v[118:119], v116, off
	v_dual_mov_b32 v120, s5 :: v_dual_add_nc_u32 v117, -1, v117
	v_add_nc_u32_e32 v116, 8, v116
	s_add_i32 s5, s5, 8
	ds_load_b64 v[120:121], v120
	v_cmp_eq_u32_e32 vcc_lo, 0, v117
	s_or_b32 s1, vcc_lo, s1
	s_waitcnt vmcnt(0) lgkmcnt(0)
	v_fma_f64 v[111:112], v[118:119], v[120:121], v[111:112]
	s_and_not1_b32 exec_lo, exec_lo, s1
	s_cbranch_execnz .LBB118_535
; %bb.536:
	s_or_b32 exec_lo, exec_lo, s1
.LBB118_537:
	s_delay_alu instid0(SALU_CYCLE_1)
	s_or_b32 exec_lo, exec_lo, s4
	v_mov_b32_e32 v116, 0
	ds_load_b64 v[116:117], v116
	s_waitcnt lgkmcnt(0)
	v_mul_f64 v[111:112], v[111:112], v[116:117]
	scratch_store_b64 off, v[111:112], off
.LBB118_538:
	s_or_b32 exec_lo, exec_lo, s2
.LBB118_539:
	s_delay_alu instid0(SALU_CYCLE_1)
	s_and_b32 vcc_lo, exec_lo, s0
	s_cbranch_vccz .LBB118_1075
; %bb.540:
	scratch_load_b64 v[111:112], off, off offset:8
	v_cmp_eq_u32_e64 s0, 0, v0
	s_waitcnt vmcnt(0)
	ds_store_b64 v114, v[111:112]
	s_waitcnt lgkmcnt(0)
	s_waitcnt_vscnt null, 0x0
	s_barrier
	buffer_gl0_inv
	s_and_saveexec_b32 s1, s0
	s_cbranch_execz .LBB118_546
; %bb.541:
	s_and_b32 vcc_lo, exec_lo, s3
	s_cbranch_vccz .LBB118_543
; %bb.542:
	scratch_load_b64 v[111:112], v115, off
	ds_load_b64 v[116:117], v114
	s_waitcnt vmcnt(0) lgkmcnt(0)
	v_mul_f64 v[111:112], v[111:112], v[116:117]
	s_cbranch_execz .LBB118_544
	s_branch .LBB118_545
.LBB118_543:
                                        ; implicit-def: $vgpr111_vgpr112
.LBB118_544:
	ds_load_b64 v[111:112], v114
.LBB118_545:
	v_mov_b32_e32 v116, 0
	ds_load_b64 v[116:117], v116 offset:8
	s_waitcnt lgkmcnt(0)
	v_mul_f64 v[111:112], v[111:112], v[116:117]
	scratch_store_b64 off, v[111:112], off offset:8
.LBB118_546:
	s_or_b32 exec_lo, exec_lo, s1
	scratch_load_b64 v[111:112], off, off offset:16
	v_cndmask_b32_e64 v116, 0, 1, s3
	s_mov_b32 s1, exec_lo
	s_waitcnt vmcnt(0)
	ds_store_b64 v114, v[111:112]
	s_waitcnt lgkmcnt(0)
	s_waitcnt_vscnt null, 0x0
	s_barrier
	buffer_gl0_inv
	v_cmpx_gt_u32_e32 2, v0
	s_cbranch_execz .LBB118_554
; %bb.547:
	s_and_not1_b32 vcc_lo, exec_lo, s3
	s_cbranch_vccnz .LBB118_549
; %bb.548:
	scratch_load_b64 v[111:112], v115, off
	ds_load_b64 v[117:118], v114
	s_waitcnt vmcnt(0) lgkmcnt(0)
	v_mul_f64 v[111:112], v[111:112], v[117:118]
	s_cbranch_execz .LBB118_550
	s_branch .LBB118_551
.LBB118_549:
                                        ; implicit-def: $vgpr111_vgpr112
.LBB118_550:
	ds_load_b64 v[111:112], v114
.LBB118_551:
	s_and_saveexec_b32 s2, s0
	s_cbranch_execz .LBB118_553
; %bb.552:
	scratch_load_b64 v[117:118], v115, off offset:8
	ds_load_b64 v[119:120], v114 offset:8
	s_waitcnt vmcnt(0) lgkmcnt(0)
	v_fma_f64 v[111:112], v[117:118], v[119:120], v[111:112]
.LBB118_553:
	s_or_b32 exec_lo, exec_lo, s2
	v_mov_b32_e32 v117, 0
	ds_load_b64 v[117:118], v117 offset:16
	s_waitcnt lgkmcnt(0)
	v_mul_f64 v[111:112], v[111:112], v[117:118]
	scratch_store_b64 off, v[111:112], off offset:16
.LBB118_554:
	s_or_b32 exec_lo, exec_lo, s1
	scratch_load_b64 v[111:112], off, off offset:24
	s_mov_b32 s1, exec_lo
	s_waitcnt vmcnt(0)
	ds_store_b64 v114, v[111:112]
	s_waitcnt lgkmcnt(0)
	s_waitcnt_vscnt null, 0x0
	s_barrier
	buffer_gl0_inv
	v_cmpx_gt_u32_e32 3, v0
	s_cbranch_execz .LBB118_564
; %bb.555:
	v_cmp_ne_u32_e32 vcc_lo, 1, v116
	s_cbranch_vccnz .LBB118_557
; %bb.556:
	scratch_load_b64 v[111:112], v115, off
	ds_load_b64 v[117:118], v114
	s_waitcnt vmcnt(0) lgkmcnt(0)
	v_mul_f64 v[111:112], v[111:112], v[117:118]
	s_cbranch_execz .LBB118_558
	s_branch .LBB118_559
.LBB118_557:
                                        ; implicit-def: $vgpr111_vgpr112
.LBB118_558:
	ds_load_b64 v[111:112], v114
.LBB118_559:
	s_mov_b32 s2, exec_lo
	v_cmpx_ne_u32_e32 2, v0
	s_cbranch_execz .LBB118_563
; %bb.560:
	scratch_load_b64 v[117:118], v115, off offset:8
	ds_load_b64 v[119:120], v114 offset:8
	s_waitcnt vmcnt(0) lgkmcnt(0)
	v_fma_f64 v[111:112], v[117:118], v[119:120], v[111:112]
	s_and_saveexec_b32 s3, s0
	s_cbranch_execz .LBB118_562
; %bb.561:
	scratch_load_b64 v[117:118], off, off offset:16
	v_mov_b32_e32 v119, 0
	ds_load_b64 v[119:120], v119 offset:464
	s_waitcnt vmcnt(0) lgkmcnt(0)
	v_fma_f64 v[111:112], v[117:118], v[119:120], v[111:112]
.LBB118_562:
	s_or_b32 exec_lo, exec_lo, s3
.LBB118_563:
	s_delay_alu instid0(SALU_CYCLE_1)
	s_or_b32 exec_lo, exec_lo, s2
	v_mov_b32_e32 v117, 0
	ds_load_b64 v[117:118], v117 offset:24
	s_waitcnt lgkmcnt(0)
	v_mul_f64 v[111:112], v[111:112], v[117:118]
	scratch_store_b64 off, v[111:112], off offset:24
.LBB118_564:
	s_or_b32 exec_lo, exec_lo, s1
	scratch_load_b64 v[111:112], off, off offset:32
	s_mov_b32 s0, exec_lo
	s_waitcnt vmcnt(0)
	ds_store_b64 v114, v[111:112]
	s_waitcnt lgkmcnt(0)
	s_waitcnt_vscnt null, 0x0
	s_barrier
	buffer_gl0_inv
	v_cmpx_gt_u32_e32 4, v0
	s_cbranch_execz .LBB118_574
; %bb.565:
	v_cmp_ne_u32_e32 vcc_lo, 1, v116
	s_cbranch_vccnz .LBB118_567
; %bb.566:
	scratch_load_b64 v[111:112], v115, off
	ds_load_b64 v[117:118], v114
	s_waitcnt vmcnt(0) lgkmcnt(0)
	v_mul_f64 v[111:112], v[111:112], v[117:118]
	s_cbranch_execz .LBB118_568
	s_branch .LBB118_569
.LBB118_567:
                                        ; implicit-def: $vgpr111_vgpr112
.LBB118_568:
	ds_load_b64 v[111:112], v114
.LBB118_569:
	s_mov_b32 s1, exec_lo
	v_cmpx_ne_u32_e32 3, v0
	s_cbranch_execz .LBB118_573
; %bb.570:
	v_add_nc_u32_e32 v117, 0x1c8, v113
	v_add3_u32 v118, 0, v113, 8
	v_mov_b32_e32 v119, v0
	s_mov_b32 s2, 0
.LBB118_571:                            ; =>This Inner Loop Header: Depth=1
	scratch_load_b64 v[120:121], v118, off
	ds_load_b64 v[122:123], v117
	v_add_nc_u32_e32 v119, 1, v119
	v_add_nc_u32_e32 v117, 8, v117
	v_add_nc_u32_e32 v118, 8, v118
	s_delay_alu instid0(VALU_DEP_3)
	v_cmp_lt_u32_e32 vcc_lo, 2, v119
	s_or_b32 s2, vcc_lo, s2
	s_waitcnt vmcnt(0) lgkmcnt(0)
	v_fma_f64 v[111:112], v[120:121], v[122:123], v[111:112]
	s_and_not1_b32 exec_lo, exec_lo, s2
	s_cbranch_execnz .LBB118_571
; %bb.572:
	s_or_b32 exec_lo, exec_lo, s2
.LBB118_573:
	s_delay_alu instid0(SALU_CYCLE_1)
	s_or_b32 exec_lo, exec_lo, s1
	v_mov_b32_e32 v117, 0
	ds_load_b64 v[117:118], v117 offset:32
	s_waitcnt lgkmcnt(0)
	v_mul_f64 v[111:112], v[111:112], v[117:118]
	scratch_store_b64 off, v[111:112], off offset:32
.LBB118_574:
	s_or_b32 exec_lo, exec_lo, s0
	scratch_load_b64 v[111:112], off, off offset:40
	s_mov_b32 s0, exec_lo
	s_waitcnt vmcnt(0)
	ds_store_b64 v114, v[111:112]
	s_waitcnt lgkmcnt(0)
	s_waitcnt_vscnt null, 0x0
	s_barrier
	buffer_gl0_inv
	v_cmpx_gt_u32_e32 5, v0
	s_cbranch_execz .LBB118_584
; %bb.575:
	v_cmp_ne_u32_e32 vcc_lo, 1, v116
	s_cbranch_vccnz .LBB118_577
; %bb.576:
	scratch_load_b64 v[111:112], v115, off
	ds_load_b64 v[117:118], v114
	s_waitcnt vmcnt(0) lgkmcnt(0)
	v_mul_f64 v[111:112], v[111:112], v[117:118]
	s_cbranch_execz .LBB118_578
	s_branch .LBB118_579
.LBB118_577:
                                        ; implicit-def: $vgpr111_vgpr112
.LBB118_578:
	ds_load_b64 v[111:112], v114
.LBB118_579:
	s_mov_b32 s1, exec_lo
	v_cmpx_ne_u32_e32 4, v0
	s_cbranch_execz .LBB118_583
; %bb.580:
	v_add_nc_u32_e32 v117, 0x1c8, v113
	v_add3_u32 v118, 0, v113, 8
	v_mov_b32_e32 v119, v0
	s_mov_b32 s2, 0
.LBB118_581:                            ; =>This Inner Loop Header: Depth=1
	scratch_load_b64 v[120:121], v118, off
	ds_load_b64 v[122:123], v117
	v_add_nc_u32_e32 v119, 1, v119
	v_add_nc_u32_e32 v117, 8, v117
	v_add_nc_u32_e32 v118, 8, v118
	s_delay_alu instid0(VALU_DEP_3)
	v_cmp_lt_u32_e32 vcc_lo, 3, v119
	s_or_b32 s2, vcc_lo, s2
	s_waitcnt vmcnt(0) lgkmcnt(0)
	v_fma_f64 v[111:112], v[120:121], v[122:123], v[111:112]
	s_and_not1_b32 exec_lo, exec_lo, s2
	s_cbranch_execnz .LBB118_581
; %bb.582:
	s_or_b32 exec_lo, exec_lo, s2
.LBB118_583:
	s_delay_alu instid0(SALU_CYCLE_1)
	s_or_b32 exec_lo, exec_lo, s1
	v_mov_b32_e32 v117, 0
	ds_load_b64 v[117:118], v117 offset:40
	s_waitcnt lgkmcnt(0)
	v_mul_f64 v[111:112], v[111:112], v[117:118]
	scratch_store_b64 off, v[111:112], off offset:40
.LBB118_584:
	;; [unrolled: 58-line block ×43, first 2 shown]
	s_or_b32 exec_lo, exec_lo, s0
	scratch_load_b64 v[111:112], off, off offset:376
	s_mov_b32 s0, exec_lo
	s_waitcnt vmcnt(0)
	ds_store_b64 v114, v[111:112]
	s_waitcnt lgkmcnt(0)
	s_waitcnt_vscnt null, 0x0
	s_barrier
	buffer_gl0_inv
	v_cmpx_gt_u32_e32 47, v0
	s_cbranch_execz .LBB118_1004
; %bb.995:
	v_cmp_ne_u32_e32 vcc_lo, 1, v116
	s_cbranch_vccnz .LBB118_997
; %bb.996:
	scratch_load_b64 v[111:112], v115, off
	ds_load_b64 v[117:118], v114
	s_waitcnt vmcnt(0) lgkmcnt(0)
	v_mul_f64 v[111:112], v[111:112], v[117:118]
	s_cbranch_execz .LBB118_998
	s_branch .LBB118_999
.LBB118_997:
                                        ; implicit-def: $vgpr111_vgpr112
.LBB118_998:
	ds_load_b64 v[111:112], v114
.LBB118_999:
	s_mov_b32 s1, exec_lo
	v_cmpx_ne_u32_e32 46, v0
	s_cbranch_execz .LBB118_1003
; %bb.1000:
	v_add_nc_u32_e32 v117, 0x1c8, v113
	v_add3_u32 v118, 0, v113, 8
	v_mov_b32_e32 v119, v0
	s_mov_b32 s2, 0
.LBB118_1001:                           ; =>This Inner Loop Header: Depth=1
	scratch_load_b64 v[120:121], v118, off
	ds_load_b64 v[122:123], v117
	v_add_nc_u32_e32 v119, 1, v119
	v_add_nc_u32_e32 v117, 8, v117
	v_add_nc_u32_e32 v118, 8, v118
	s_delay_alu instid0(VALU_DEP_3)
	v_cmp_lt_u32_e32 vcc_lo, 45, v119
	s_or_b32 s2, vcc_lo, s2
	s_waitcnt vmcnt(0) lgkmcnt(0)
	v_fma_f64 v[111:112], v[120:121], v[122:123], v[111:112]
	s_and_not1_b32 exec_lo, exec_lo, s2
	s_cbranch_execnz .LBB118_1001
; %bb.1002:
	s_or_b32 exec_lo, exec_lo, s2
.LBB118_1003:
	s_delay_alu instid0(SALU_CYCLE_1)
	s_or_b32 exec_lo, exec_lo, s1
	v_mov_b32_e32 v117, 0
	ds_load_b64 v[117:118], v117 offset:376
	s_waitcnt lgkmcnt(0)
	v_mul_f64 v[111:112], v[111:112], v[117:118]
	scratch_store_b64 off, v[111:112], off offset:376
.LBB118_1004:
	s_or_b32 exec_lo, exec_lo, s0
	scratch_load_b64 v[111:112], off, off offset:384
	s_mov_b32 s0, exec_lo
	s_waitcnt vmcnt(0)
	ds_store_b64 v114, v[111:112]
	s_waitcnt lgkmcnt(0)
	s_waitcnt_vscnt null, 0x0
	s_barrier
	buffer_gl0_inv
	v_cmpx_gt_u32_e32 48, v0
	s_cbranch_execz .LBB118_1014
; %bb.1005:
	v_cmp_ne_u32_e32 vcc_lo, 1, v116
	s_cbranch_vccnz .LBB118_1007
; %bb.1006:
	scratch_load_b64 v[111:112], v115, off
	ds_load_b64 v[117:118], v114
	s_waitcnt vmcnt(0) lgkmcnt(0)
	v_mul_f64 v[111:112], v[111:112], v[117:118]
	s_cbranch_execz .LBB118_1008
	s_branch .LBB118_1009
.LBB118_1007:
                                        ; implicit-def: $vgpr111_vgpr112
.LBB118_1008:
	ds_load_b64 v[111:112], v114
.LBB118_1009:
	s_mov_b32 s1, exec_lo
	v_cmpx_ne_u32_e32 47, v0
	s_cbranch_execz .LBB118_1013
; %bb.1010:
	v_add_nc_u32_e32 v117, 0x1c8, v113
	v_add3_u32 v118, 0, v113, 8
	v_mov_b32_e32 v119, v0
	s_mov_b32 s2, 0
.LBB118_1011:                           ; =>This Inner Loop Header: Depth=1
	scratch_load_b64 v[120:121], v118, off
	ds_load_b64 v[122:123], v117
	v_add_nc_u32_e32 v119, 1, v119
	v_add_nc_u32_e32 v117, 8, v117
	v_add_nc_u32_e32 v118, 8, v118
	s_delay_alu instid0(VALU_DEP_3)
	v_cmp_lt_u32_e32 vcc_lo, 46, v119
	s_or_b32 s2, vcc_lo, s2
	s_waitcnt vmcnt(0) lgkmcnt(0)
	v_fma_f64 v[111:112], v[120:121], v[122:123], v[111:112]
	s_and_not1_b32 exec_lo, exec_lo, s2
	s_cbranch_execnz .LBB118_1011
; %bb.1012:
	s_or_b32 exec_lo, exec_lo, s2
.LBB118_1013:
	s_delay_alu instid0(SALU_CYCLE_1)
	s_or_b32 exec_lo, exec_lo, s1
	v_mov_b32_e32 v117, 0
	ds_load_b64 v[117:118], v117 offset:384
	s_waitcnt lgkmcnt(0)
	v_mul_f64 v[111:112], v[111:112], v[117:118]
	scratch_store_b64 off, v[111:112], off offset:384
.LBB118_1014:
	;; [unrolled: 58-line block ×6, first 2 shown]
	s_or_b32 exec_lo, exec_lo, s0
	scratch_load_b64 v[111:112], off, off offset:424
	v_cmp_gt_u32_e64 s0, 53, v0
	s_waitcnt vmcnt(0)
	ds_store_b64 v114, v[111:112]
	s_waitcnt lgkmcnt(0)
	s_waitcnt_vscnt null, 0x0
	s_barrier
	buffer_gl0_inv
	s_and_saveexec_b32 s1, s0
	s_cbranch_execz .LBB118_1064
; %bb.1055:
	v_cmp_ne_u32_e32 vcc_lo, 1, v116
	s_cbranch_vccnz .LBB118_1057
; %bb.1056:
	scratch_load_b64 v[111:112], v115, off
	ds_load_b64 v[117:118], v114
	s_waitcnt vmcnt(0) lgkmcnt(0)
	v_mul_f64 v[111:112], v[111:112], v[117:118]
	s_cbranch_execz .LBB118_1058
	s_branch .LBB118_1059
.LBB118_1057:
                                        ; implicit-def: $vgpr111_vgpr112
.LBB118_1058:
	ds_load_b64 v[111:112], v114
.LBB118_1059:
	s_mov_b32 s2, exec_lo
	v_cmpx_ne_u32_e32 52, v0
	s_cbranch_execz .LBB118_1063
; %bb.1060:
	v_add_nc_u32_e32 v117, 0x1c8, v113
	v_add3_u32 v118, 0, v113, 8
	v_mov_b32_e32 v119, v0
	s_mov_b32 s3, 0
.LBB118_1061:                           ; =>This Inner Loop Header: Depth=1
	scratch_load_b64 v[120:121], v118, off
	ds_load_b64 v[122:123], v117
	v_add_nc_u32_e32 v119, 1, v119
	v_add_nc_u32_e32 v117, 8, v117
	;; [unrolled: 1-line block ×3, first 2 shown]
	s_delay_alu instid0(VALU_DEP_3)
	v_cmp_lt_u32_e32 vcc_lo, 51, v119
	s_or_b32 s3, vcc_lo, s3
	s_waitcnt vmcnt(0) lgkmcnt(0)
	v_fma_f64 v[111:112], v[120:121], v[122:123], v[111:112]
	s_and_not1_b32 exec_lo, exec_lo, s3
	s_cbranch_execnz .LBB118_1061
; %bb.1062:
	s_or_b32 exec_lo, exec_lo, s3
.LBB118_1063:
	s_delay_alu instid0(SALU_CYCLE_1)
	s_or_b32 exec_lo, exec_lo, s2
	v_mov_b32_e32 v117, 0
	ds_load_b64 v[117:118], v117 offset:424
	s_waitcnt lgkmcnt(0)
	v_mul_f64 v[111:112], v[111:112], v[117:118]
	scratch_store_b64 off, v[111:112], off offset:424
.LBB118_1064:
	s_or_b32 exec_lo, exec_lo, s1
	scratch_load_b64 v[111:112], off, off offset:432
	s_mov_b32 s1, exec_lo
	s_waitcnt vmcnt(0)
	ds_store_b64 v114, v[111:112]
	s_waitcnt lgkmcnt(0)
	s_waitcnt_vscnt null, 0x0
	s_barrier
	buffer_gl0_inv
	v_cmpx_ne_u32_e32 54, v0
	s_cbranch_execz .LBB118_1074
; %bb.1065:
	v_cmp_ne_u32_e32 vcc_lo, 1, v116
	s_cbranch_vccnz .LBB118_1067
; %bb.1066:
	scratch_load_b64 v[111:112], v115, off
	ds_load_b64 v[115:116], v114
	s_waitcnt vmcnt(0) lgkmcnt(0)
	v_mul_f64 v[111:112], v[111:112], v[115:116]
	s_cbranch_execz .LBB118_1068
	s_branch .LBB118_1069
.LBB118_1067:
                                        ; implicit-def: $vgpr111_vgpr112
.LBB118_1068:
	ds_load_b64 v[111:112], v114
.LBB118_1069:
	s_and_saveexec_b32 s2, s0
	s_cbranch_execz .LBB118_1073
; %bb.1070:
	v_add_nc_u32_e32 v114, 0x1c8, v113
	v_add3_u32 v113, 0, v113, 8
	s_mov_b32 s0, 0
.LBB118_1071:                           ; =>This Inner Loop Header: Depth=1
	scratch_load_b64 v[115:116], v113, off
	ds_load_b64 v[117:118], v114
	v_add_nc_u32_e32 v0, 1, v0
	v_add_nc_u32_e32 v114, 8, v114
	;; [unrolled: 1-line block ×3, first 2 shown]
	s_delay_alu instid0(VALU_DEP_3)
	v_cmp_lt_u32_e32 vcc_lo, 52, v0
	s_or_b32 s0, vcc_lo, s0
	s_waitcnt vmcnt(0) lgkmcnt(0)
	v_fma_f64 v[111:112], v[115:116], v[117:118], v[111:112]
	s_and_not1_b32 exec_lo, exec_lo, s0
	s_cbranch_execnz .LBB118_1071
; %bb.1072:
	s_or_b32 exec_lo, exec_lo, s0
.LBB118_1073:
	s_delay_alu instid0(SALU_CYCLE_1)
	s_or_b32 exec_lo, exec_lo, s2
	v_mov_b32_e32 v0, 0
	ds_load_b64 v[113:114], v0 offset:432
	s_waitcnt lgkmcnt(0)
	v_mul_f64 v[111:112], v[111:112], v[113:114]
	scratch_store_b64 off, v[111:112], off offset:432
.LBB118_1074:
	s_or_b32 exec_lo, exec_lo, s1
.LBB118_1075:
	s_clause 0xe
	scratch_load_b128 v[111:114], off, off
	scratch_load_b128 v[115:118], off, off offset:16
	scratch_load_b128 v[119:122], off, off offset:32
	;; [unrolled: 1-line block ×14, first 2 shown]
	s_waitcnt vmcnt(14)
	s_clause 0x1
	global_store_b64 v[23:24], v[111:112], off
	global_store_b64 v[9:10], v[113:114], off
	s_waitcnt vmcnt(13)
	s_clause 0x1
	global_store_b64 v[25:26], v[115:116], off
	global_store_b64 v[11:12], v[117:118], off
	;; [unrolled: 4-line block ×4, first 2 shown]
	scratch_load_b128 v[33:36], off, off offset:320
	s_waitcnt vmcnt(11)
	s_clause 0x1
	global_store_b64 v[29:30], v[127:128], off
	global_store_b64 v[27:28], v[129:130], off
	s_waitcnt vmcnt(10)
	s_clause 0x1
	global_store_b64 v[19:20], v[131:132], off
	global_store_b64 v[21:22], v[133:134], off
	;; [unrolled: 4-line block ×3, first 2 shown]
	s_clause 0xb
	scratch_load_b128 v[111:114], off, off offset:224
	scratch_load_b128 v[23:26], off, off offset:240
	;; [unrolled: 1-line block ×11, first 2 shown]
	scratch_load_b64 v[0:1], off, off offset:432
	s_waitcnt vmcnt(20)
	s_clause 0x1
	global_store_b64 v[3:4], v[139:140], off
	global_store_b64 v[7:8], v[141:142], off
	s_waitcnt vmcnt(19)
	s_clause 0x1
	global_store_b64 v[17:18], v[143:144], off
	global_store_b64 v[31:32], v[145:146], off
	;; [unrolled: 4-line block ×12, first 2 shown]
	global_store_b64 v[79:80], v[167:168], off
	global_store_b64 v[81:82], v[169:170], off
	;; [unrolled: 1-line block ×4, first 2 shown]
	s_waitcnt vmcnt(6)
	s_clause 0x1
	global_store_b64 v[87:88], v[123:124], off
	global_store_b64 v[89:90], v[125:126], off
	s_waitcnt vmcnt(5)
	s_clause 0x1
	global_store_b64 v[91:92], v[27:28], off
	global_store_b64 v[93:94], v[29:30], off
	s_waitcnt vmcnt(4)
	s_clause 0x1
	global_store_b64 v[95:96], v[127:128], off
	global_store_b64 v[97:98], v[129:130], off
	s_waitcnt vmcnt(3)
	s_clause 0x1
	global_store_b64 v[99:100], v[19:20], off
	global_store_b64 v[101:102], v[21:22], off
	s_waitcnt vmcnt(2)
	s_clause 0x1
	global_store_b64 v[103:104], v[131:132], off
	global_store_b64 v[105:106], v[133:134], off
	s_waitcnt vmcnt(1)
	s_clause 0x1
	global_store_b64 v[107:108], v[13:14], off
	global_store_b64 v[109:110], v[15:16], off
	s_waitcnt vmcnt(0)
	global_store_b64 v[45:46], v[0:1], off
.LBB118_1076:
	s_endpgm
	.section	.rodata,"a",@progbits
	.p2align	6, 0x0
	.amdhsa_kernel _ZN9rocsolver6v33100L18trti2_kernel_smallILi55EdPKPdEEv13rocblas_fill_17rocblas_diagonal_T1_iil
		.amdhsa_group_segment_fixed_size 888
		.amdhsa_private_segment_fixed_size 448
		.amdhsa_kernarg_size 32
		.amdhsa_user_sgpr_count 15
		.amdhsa_user_sgpr_dispatch_ptr 0
		.amdhsa_user_sgpr_queue_ptr 0
		.amdhsa_user_sgpr_kernarg_segment_ptr 1
		.amdhsa_user_sgpr_dispatch_id 0
		.amdhsa_user_sgpr_private_segment_size 0
		.amdhsa_wavefront_size32 1
		.amdhsa_uses_dynamic_stack 0
		.amdhsa_enable_private_segment 1
		.amdhsa_system_sgpr_workgroup_id_x 1
		.amdhsa_system_sgpr_workgroup_id_y 0
		.amdhsa_system_sgpr_workgroup_id_z 0
		.amdhsa_system_sgpr_workgroup_info 0
		.amdhsa_system_vgpr_workitem_id 0
		.amdhsa_next_free_vgpr 172
		.amdhsa_next_free_sgpr 25
		.amdhsa_reserve_vcc 1
		.amdhsa_float_round_mode_32 0
		.amdhsa_float_round_mode_16_64 0
		.amdhsa_float_denorm_mode_32 3
		.amdhsa_float_denorm_mode_16_64 3
		.amdhsa_dx10_clamp 1
		.amdhsa_ieee_mode 1
		.amdhsa_fp16_overflow 0
		.amdhsa_workgroup_processor_mode 1
		.amdhsa_memory_ordered 1
		.amdhsa_forward_progress 0
		.amdhsa_shared_vgpr_count 0
		.amdhsa_exception_fp_ieee_invalid_op 0
		.amdhsa_exception_fp_denorm_src 0
		.amdhsa_exception_fp_ieee_div_zero 0
		.amdhsa_exception_fp_ieee_overflow 0
		.amdhsa_exception_fp_ieee_underflow 0
		.amdhsa_exception_fp_ieee_inexact 0
		.amdhsa_exception_int_div_zero 0
	.end_amdhsa_kernel
	.section	.text._ZN9rocsolver6v33100L18trti2_kernel_smallILi55EdPKPdEEv13rocblas_fill_17rocblas_diagonal_T1_iil,"axG",@progbits,_ZN9rocsolver6v33100L18trti2_kernel_smallILi55EdPKPdEEv13rocblas_fill_17rocblas_diagonal_T1_iil,comdat
.Lfunc_end118:
	.size	_ZN9rocsolver6v33100L18trti2_kernel_smallILi55EdPKPdEEv13rocblas_fill_17rocblas_diagonal_T1_iil, .Lfunc_end118-_ZN9rocsolver6v33100L18trti2_kernel_smallILi55EdPKPdEEv13rocblas_fill_17rocblas_diagonal_T1_iil
                                        ; -- End function
	.section	.AMDGPU.csdata,"",@progbits
; Kernel info:
; codeLenInByte = 30140
; NumSgprs: 27
; NumVgprs: 172
; ScratchSize: 448
; MemoryBound: 0
; FloatMode: 240
; IeeeMode: 1
; LDSByteSize: 888 bytes/workgroup (compile time only)
; SGPRBlocks: 3
; VGPRBlocks: 21
; NumSGPRsForWavesPerEU: 27
; NumVGPRsForWavesPerEU: 172
; Occupancy: 8
; WaveLimiterHint : 1
; COMPUTE_PGM_RSRC2:SCRATCH_EN: 1
; COMPUTE_PGM_RSRC2:USER_SGPR: 15
; COMPUTE_PGM_RSRC2:TRAP_HANDLER: 0
; COMPUTE_PGM_RSRC2:TGID_X_EN: 1
; COMPUTE_PGM_RSRC2:TGID_Y_EN: 0
; COMPUTE_PGM_RSRC2:TGID_Z_EN: 0
; COMPUTE_PGM_RSRC2:TIDIG_COMP_CNT: 0
	.section	.text._ZN9rocsolver6v33100L18trti2_kernel_smallILi56EdPKPdEEv13rocblas_fill_17rocblas_diagonal_T1_iil,"axG",@progbits,_ZN9rocsolver6v33100L18trti2_kernel_smallILi56EdPKPdEEv13rocblas_fill_17rocblas_diagonal_T1_iil,comdat
	.globl	_ZN9rocsolver6v33100L18trti2_kernel_smallILi56EdPKPdEEv13rocblas_fill_17rocblas_diagonal_T1_iil ; -- Begin function _ZN9rocsolver6v33100L18trti2_kernel_smallILi56EdPKPdEEv13rocblas_fill_17rocblas_diagonal_T1_iil
	.p2align	8
	.type	_ZN9rocsolver6v33100L18trti2_kernel_smallILi56EdPKPdEEv13rocblas_fill_17rocblas_diagonal_T1_iil,@function
_ZN9rocsolver6v33100L18trti2_kernel_smallILi56EdPKPdEEv13rocblas_fill_17rocblas_diagonal_T1_iil: ; @_ZN9rocsolver6v33100L18trti2_kernel_smallILi56EdPKPdEEv13rocblas_fill_17rocblas_diagonal_T1_iil
; %bb.0:
	s_mov_b32 s2, exec_lo
	v_cmpx_gt_u32_e32 56, v0
	s_cbranch_execz .LBB119_1096
; %bb.1:
	s_clause 0x1
	s_load_b64 s[4:5], s[0:1], 0x10
	s_load_b128 s[0:3], s[0:1], 0x0
	s_mov_b32 s6, s15
	s_ashr_i32 s7, s15, 31
	v_lshlrev_b32_e32 v115, 3, v0
	s_lshl_b64 s[8:9], s[6:7], 3
	s_waitcnt lgkmcnt(0)
	s_ashr_i32 s7, s4, 31
	s_add_u32 s2, s2, s8
	s_addc_u32 s3, s3, s9
	v_add3_u32 v1, s5, s5, v0
	s_load_b64 s[2:3], s[2:3], 0x0
	s_mov_b32 s6, s4
	s_mov_b32 s8, s5
	s_lshl_b64 s[6:7], s[6:7], 3
	v_add_nc_u32_e32 v3, s5, v1
	v_ashrrev_i32_e32 v2, 31, v1
	s_delay_alu instid0(VALU_DEP_2) | instskip(SKIP_1) | instid1(VALU_DEP_3)
	v_add_nc_u32_e32 v5, s5, v3
	v_ashrrev_i32_e32 v4, 31, v3
	v_lshlrev_b64 v[1:2], 3, v[1:2]
	s_delay_alu instid0(VALU_DEP_3) | instskip(NEXT) | instid1(VALU_DEP_3)
	v_add_nc_u32_e32 v7, s5, v5
	v_lshlrev_b64 v[3:4], 3, v[3:4]
	v_ashrrev_i32_e32 v6, 31, v5
	s_delay_alu instid0(VALU_DEP_3)
	v_ashrrev_i32_e32 v8, 31, v7
	s_waitcnt lgkmcnt(0)
	s_add_u32 s2, s2, s6
	s_addc_u32 s3, s3, s7
	v_add_co_u32 v25, s4, s2, v115
	s_ashr_i32 s9, s5, 31
	v_add_co_ci_u32_e64 v26, null, s3, 0, s4
	s_lshl_b64 s[6:7], s[8:9], 3
	v_add_nc_u32_e32 v11, s5, v7
	v_add_co_u32 v15, vcc_lo, v25, s6
	s_delay_alu instid0(VALU_DEP_3)
	v_add_co_ci_u32_e32 v16, vcc_lo, s7, v26, vcc_lo
	s_clause 0x1
	global_load_b64 v[51:52], v115, s[2:3]
	global_load_b64 v[53:54], v[15:16], off
	v_lshlrev_b64 v[7:8], 3, v[7:8]
	v_add_co_u32 v29, vcc_lo, s2, v1
	v_add_co_ci_u32_e32 v30, vcc_lo, s3, v2, vcc_lo
	v_lshlrev_b64 v[5:6], 3, v[5:6]
	v_add_co_u32 v17, vcc_lo, s2, v3
	v_add_nc_u32_e32 v3, s5, v11
	v_add_co_ci_u32_e32 v18, vcc_lo, s3, v4, vcc_lo
	v_add_co_u32 v1, vcc_lo, s2, v7
	v_ashrrev_i32_e32 v12, 31, v11
	v_add_co_ci_u32_e32 v2, vcc_lo, s3, v8, vcc_lo
	v_add_co_u32 v9, vcc_lo, s2, v5
	v_ashrrev_i32_e32 v4, 31, v3
	v_add_nc_u32_e32 v7, s5, v3
	v_add_co_ci_u32_e32 v10, vcc_lo, s3, v6, vcc_lo
	v_lshlrev_b64 v[5:6], 3, v[11:12]
	s_delay_alu instid0(VALU_DEP_4) | instskip(NEXT) | instid1(VALU_DEP_4)
	v_lshlrev_b64 v[3:4], 3, v[3:4]
	v_add_nc_u32_e32 v13, s5, v7
	s_clause 0x3
	global_load_b64 v[59:60], v[29:30], off
	global_load_b64 v[61:62], v[17:18], off
	;; [unrolled: 1-line block ×4, first 2 shown]
	v_ashrrev_i32_e32 v8, 31, v7
	s_cmpk_lg_i32 s1, 0x84
	v_add_co_u32 v11, vcc_lo, s2, v5
	v_add_co_ci_u32_e32 v12, vcc_lo, s3, v6, vcc_lo
	v_add_co_u32 v5, vcc_lo, s2, v3
	v_ashrrev_i32_e32 v14, 31, v13
	v_add_co_ci_u32_e32 v6, vcc_lo, s3, v4, vcc_lo
	v_lshlrev_b64 v[3:4], 3, v[7:8]
	v_add_nc_u32_e32 v19, s5, v13
	s_delay_alu instid0(VALU_DEP_4)
	v_lshlrev_b64 v[13:14], 3, v[13:14]
	s_clause 0x1
	global_load_b64 v[67:68], v[11:12], off
	global_load_b64 v[69:70], v[5:6], off
	v_add_co_u32 v7, vcc_lo, s2, v3
	v_add_co_ci_u32_e32 v8, vcc_lo, s3, v4, vcc_lo
	v_add_co_u32 v3, vcc_lo, s2, v13
	v_add_co_ci_u32_e32 v4, vcc_lo, s3, v14, vcc_lo
	s_clause 0x1
	global_load_b64 v[71:72], v[7:8], off
	global_load_b64 v[73:74], v[3:4], off
	v_add_nc_u32_e32 v21, s5, v19
	v_ashrrev_i32_e32 v20, 31, v19
	s_delay_alu instid0(VALU_DEP_2) | instskip(SKIP_1) | instid1(VALU_DEP_3)
	v_add_nc_u32_e32 v23, s5, v21
	v_ashrrev_i32_e32 v22, 31, v21
	v_lshlrev_b64 v[19:20], 3, v[19:20]
	s_delay_alu instid0(VALU_DEP_3) | instskip(NEXT) | instid1(VALU_DEP_3)
	v_add_nc_u32_e32 v27, s5, v23
	v_lshlrev_b64 v[21:22], 3, v[21:22]
	v_ashrrev_i32_e32 v24, 31, v23
	s_delay_alu instid0(VALU_DEP_4) | instskip(NEXT) | instid1(VALU_DEP_4)
	v_add_co_u32 v35, vcc_lo, s2, v19
	v_add_nc_u32_e32 v13, s5, v27
	v_ashrrev_i32_e32 v28, 31, v27
	v_add_co_ci_u32_e32 v36, vcc_lo, s3, v20, vcc_lo
	v_lshlrev_b64 v[19:20], 3, v[23:24]
	s_delay_alu instid0(VALU_DEP_4) | instskip(SKIP_3) | instid1(VALU_DEP_4)
	v_add_nc_u32_e32 v31, s5, v13
	v_add_co_u32 v33, vcc_lo, s2, v21
	v_ashrrev_i32_e32 v14, 31, v13
	v_add_co_ci_u32_e32 v34, vcc_lo, s3, v22, vcc_lo
	v_add_nc_u32_e32 v37, s5, v31
	v_lshlrev_b64 v[21:22], 3, v[27:28]
	v_add_co_u32 v27, vcc_lo, s2, v19
	v_lshlrev_b64 v[13:14], 3, v[13:14]
	s_delay_alu instid0(VALU_DEP_4) | instskip(SKIP_3) | instid1(VALU_DEP_4)
	v_add_nc_u32_e32 v39, s5, v37
	v_ashrrev_i32_e32 v32, 31, v31
	v_add_co_ci_u32_e32 v28, vcc_lo, s3, v20, vcc_lo
	v_add_co_u32 v23, vcc_lo, s2, v21
	v_add_nc_u32_e32 v41, s5, v39
	v_ashrrev_i32_e32 v38, 31, v37
	v_add_co_ci_u32_e32 v24, vcc_lo, s3, v22, vcc_lo
	v_lshlrev_b64 v[21:22], 3, v[31:32]
	s_delay_alu instid0(VALU_DEP_4) | instskip(SKIP_3) | instid1(VALU_DEP_4)
	v_add_nc_u32_e32 v43, s5, v41
	v_add_co_u32 v19, vcc_lo, s2, v13
	v_ashrrev_i32_e32 v40, 31, v39
	v_add_co_ci_u32_e32 v20, vcc_lo, s3, v14, vcc_lo
	v_add_nc_u32_e32 v45, s5, v43
	v_lshlrev_b64 v[13:14], 3, v[37:38]
	v_ashrrev_i32_e32 v42, 31, v41
	v_add_co_u32 v21, vcc_lo, s2, v21
	s_delay_alu instid0(VALU_DEP_4) | instskip(SKIP_3) | instid1(VALU_DEP_4)
	v_add_nc_u32_e32 v47, s5, v45
	v_lshlrev_b64 v[31:32], 3, v[39:40]
	v_ashrrev_i32_e32 v44, 31, v43
	v_add_co_ci_u32_e32 v22, vcc_lo, s3, v22, vcc_lo
	v_add_nc_u32_e32 v49, s5, v47
	v_add_co_u32 v13, vcc_lo, s2, v13
	v_lshlrev_b64 v[37:38], 3, v[41:42]
	s_clause 0x2
	global_load_b64 v[75:76], v[35:36], off
	global_load_b64 v[77:78], v[33:34], off
	;; [unrolled: 1-line block ×3, first 2 shown]
	v_add_nc_u32_e32 v55, s5, v49
	v_add_co_ci_u32_e32 v14, vcc_lo, s3, v14, vcc_lo
	v_add_co_u32 v31, vcc_lo, s2, v31
	s_delay_alu instid0(VALU_DEP_3) | instskip(SKIP_3) | instid1(VALU_DEP_4)
	v_add_nc_u32_e32 v57, s5, v55
	v_lshlrev_b64 v[39:40], 3, v[43:44]
	v_add_co_ci_u32_e32 v32, vcc_lo, s3, v32, vcc_lo
	v_ashrrev_i32_e32 v46, 31, v45
	v_add_nc_u32_e32 v103, s5, v57
	v_add_co_u32 v37, vcc_lo, s2, v37
	v_add_co_ci_u32_e32 v38, vcc_lo, s3, v38, vcc_lo
	s_delay_alu instid0(VALU_DEP_3)
	v_add_nc_u32_e32 v105, s5, v103
	v_ashrrev_i32_e32 v48, 31, v47
	v_add_co_u32 v41, vcc_lo, s2, v39
	s_clause 0x3
	global_load_b64 v[81:82], v[23:24], off
	global_load_b64 v[83:84], v[19:20], off
	global_load_b64 v[85:86], v[21:22], off
	global_load_b64 v[87:88], v[13:14], off
	v_add_nc_u32_e32 v107, s5, v105
	v_lshlrev_b64 v[43:44], 3, v[45:46]
	v_ashrrev_i32_e32 v50, 31, v49
	v_lshlrev_b64 v[45:46], 3, v[47:48]
	v_add_co_ci_u32_e32 v42, vcc_lo, s3, v40, vcc_lo
	v_add_nc_u32_e32 v111, s5, v107
	v_add_co_u32 v43, vcc_lo, s2, v43
	v_lshlrev_b64 v[47:48], 3, v[49:50]
	v_ashrrev_i32_e32 v56, 31, v55
	s_delay_alu instid0(VALU_DEP_4) | instskip(SKIP_2) | instid1(VALU_DEP_3)
	v_add_nc_u32_e32 v113, s5, v111
	v_add_co_ci_u32_e32 v44, vcc_lo, s3, v44, vcc_lo
	v_add_co_u32 v45, vcc_lo, s2, v45
	v_add_nc_u32_e32 v116, s5, v113
	v_ashrrev_i32_e32 v58, 31, v57
	s_clause 0x2
	global_load_b64 v[89:90], v[31:32], off
	global_load_b64 v[91:92], v[37:38], off
	;; [unrolled: 1-line block ×3, first 2 shown]
	v_add_co_ci_u32_e32 v46, vcc_lo, s3, v46, vcc_lo
	v_add_nc_u32_e32 v122, s5, v116
	v_lshlrev_b64 v[49:50], 3, v[55:56]
	v_add_co_u32 v47, vcc_lo, s2, v47
	v_ashrrev_i32_e32 v104, 31, v103
	s_delay_alu instid0(VALU_DEP_4) | instskip(SKIP_3) | instid1(VALU_DEP_4)
	v_add_nc_u32_e32 v128, s5, v122
	v_add_co_ci_u32_e32 v48, vcc_lo, s3, v48, vcc_lo
	v_ashrrev_i32_e32 v106, 31, v105
	v_ashrrev_i32_e32 v108, 31, v107
	v_add_nc_u32_e32 v130, s5, v128
	global_load_b64 v[95:96], v[43:44], off
	v_ashrrev_i32_e32 v112, 31, v111
	v_lshlrev_b64 v[55:56], 3, v[105:106]
	v_ashrrev_i32_e32 v114, 31, v113
	v_add_nc_u32_e32 v132, s5, v130
	v_ashrrev_i32_e32 v123, 31, v122
	v_ashrrev_i32_e32 v129, 31, v128
	v_ashrrev_i32_e32 v131, 31, v130
	s_delay_alu instid0(VALU_DEP_4) | instskip(SKIP_1) | instid1(VALU_DEP_2)
	v_add_nc_u32_e32 v134, s5, v132
	v_ashrrev_i32_e32 v133, 31, v132
	v_add_nc_u32_e32 v136, s5, v134
	v_ashrrev_i32_e32 v135, 31, v134
	s_delay_alu instid0(VALU_DEP_2) | instskip(SKIP_1) | instid1(VALU_DEP_2)
	v_add_nc_u32_e32 v138, s5, v136
	v_ashrrev_i32_e32 v137, 31, v136
	v_add_nc_u32_e32 v140, s5, v138
	v_ashrrev_i32_e32 v139, 31, v138
	s_delay_alu instid0(VALU_DEP_2) | instskip(SKIP_1) | instid1(VALU_DEP_2)
	v_add_nc_u32_e32 v142, s5, v140
	v_ashrrev_i32_e32 v141, 31, v140
	v_add_nc_u32_e32 v144, s5, v142
	v_ashrrev_i32_e32 v143, 31, v142
	s_delay_alu instid0(VALU_DEP_2) | instskip(SKIP_1) | instid1(VALU_DEP_2)
	v_add_nc_u32_e32 v146, s5, v144
	v_ashrrev_i32_e32 v145, 31, v144
	v_add_nc_u32_e32 v148, s5, v146
	v_ashrrev_i32_e32 v147, 31, v146
	s_delay_alu instid0(VALU_DEP_2) | instskip(SKIP_1) | instid1(VALU_DEP_2)
	v_add_nc_u32_e32 v150, s5, v148
	v_ashrrev_i32_e32 v149, 31, v148
	v_add_nc_u32_e32 v152, s5, v150
	v_ashrrev_i32_e32 v151, 31, v150
	s_delay_alu instid0(VALU_DEP_2) | instskip(SKIP_1) | instid1(VALU_DEP_2)
	v_add_nc_u32_e32 v154, s5, v152
	v_ashrrev_i32_e32 v153, 31, v152
	v_add_nc_u32_e32 v156, s5, v154
	v_ashrrev_i32_e32 v155, 31, v154
	s_delay_alu instid0(VALU_DEP_2) | instskip(SKIP_1) | instid1(VALU_DEP_2)
	v_add_nc_u32_e32 v158, s5, v156
	v_ashrrev_i32_e32 v157, 31, v156
	v_add_nc_u32_e32 v160, s5, v158
	v_ashrrev_i32_e32 v159, 31, v158
	s_delay_alu instid0(VALU_DEP_2) | instskip(SKIP_1) | instid1(VALU_DEP_2)
	v_add_nc_u32_e32 v162, s5, v160
	v_ashrrev_i32_e32 v161, 31, v160
	v_add_nc_u32_e32 v164, s5, v162
	v_ashrrev_i32_e32 v163, 31, v162
	s_delay_alu instid0(VALU_DEP_2) | instskip(SKIP_1) | instid1(VALU_DEP_2)
	v_add_nc_u32_e32 v166, s5, v164
	v_ashrrev_i32_e32 v165, 31, v164
	v_add_nc_u32_e32 v168, s5, v166
	v_ashrrev_i32_e32 v167, 31, v166
	s_delay_alu instid0(VALU_DEP_2) | instskip(SKIP_1) | instid1(VALU_DEP_2)
	v_add_nc_u32_e32 v170, s5, v168
	v_ashrrev_i32_e32 v169, 31, v168
	v_add_nc_u32_e32 v172, s5, v170
	v_ashrrev_i32_e32 v171, 31, v170
	s_delay_alu instid0(VALU_DEP_2) | instskip(SKIP_1) | instid1(VALU_DEP_2)
	v_add_nc_u32_e32 v39, s5, v172
	v_ashrrev_i32_e32 v173, 31, v172
	v_ashrrev_i32_e32 v40, 31, v39
	s_delay_alu instid0(VALU_DEP_1) | instskip(NEXT) | instid1(VALU_DEP_1)
	v_lshlrev_b64 v[39:40], 3, v[39:40]
	v_add_co_u32 v39, vcc_lo, s2, v39
	s_delay_alu instid0(VALU_DEP_2)
	v_add_co_ci_u32_e32 v40, vcc_lo, s3, v40, vcc_lo
	v_add_co_u32 v49, vcc_lo, s2, v49
	v_add_co_ci_u32_e32 v50, vcc_lo, s3, v50, vcc_lo
	global_load_b64 v[118:119], v[39:40], off
	s_waitcnt vmcnt(20)
	scratch_store_b128 off, v[51:54], off
	v_lshlrev_b64 v[51:52], 3, v[57:58]
	v_lshlrev_b64 v[53:54], 3, v[103:104]
	s_clause 0x2
	global_load_b64 v[97:98], v[45:46], off
	global_load_b64 v[99:100], v[47:48], off
	;; [unrolled: 1-line block ×3, first 2 shown]
	v_lshlrev_b64 v[57:58], 3, v[107:108]
	v_add_co_u32 v51, vcc_lo, s2, v51
	v_add_co_ci_u32_e32 v52, vcc_lo, s3, v52, vcc_lo
	v_add_co_u32 v53, vcc_lo, s2, v53
	v_add_co_ci_u32_e32 v54, vcc_lo, s3, v54, vcc_lo
	;; [unrolled: 2-line block ×4, first 2 shown]
	global_load_b64 v[103:104], v[51:52], off
	s_waitcnt vmcnt(22)
	scratch_store_b128 off, v[59:62], off offset:16
	v_lshlrev_b64 v[59:60], 3, v[111:112]
	s_waitcnt vmcnt(20)
	scratch_store_b128 off, v[63:66], off offset:32
	s_clause 0x2
	global_load_b64 v[105:106], v[53:54], off
	global_load_b64 v[107:108], v[55:56], off
	;; [unrolled: 1-line block ×3, first 2 shown]
	v_lshlrev_b64 v[61:62], 3, v[113:114]
	v_mov_b32_e32 v113, 0
	v_ashrrev_i32_e32 v117, 31, v116
	v_add_co_u32 v59, vcc_lo, s2, v59
	v_add_co_ci_u32_e32 v60, vcc_lo, s3, v60, vcc_lo
	s_delay_alu instid0(VALU_DEP_3) | instskip(SKIP_3) | instid1(VALU_DEP_4)
	v_lshlrev_b64 v[63:64], 3, v[116:117]
	v_add_co_u32 v61, vcc_lo, s2, v61
	v_lshlrev_b64 v[65:66], 3, v[122:123]
	v_add_co_ci_u32_e32 v62, vcc_lo, s3, v62, vcc_lo
	v_add_co_u32 v63, vcc_lo, s2, v63
	v_add_co_ci_u32_e32 v64, vcc_lo, s3, v64, vcc_lo
	s_delay_alu instid0(VALU_DEP_4)
	v_add_co_u32 v65, vcc_lo, s2, v65
	v_add_co_ci_u32_e32 v66, vcc_lo, s3, v66, vcc_lo
	s_waitcnt vmcnt(21)
	scratch_store_b128 off, v[67:70], off offset:48
	s_clause 0x1
	global_load_b64 v[120:121], v[59:60], off
	global_load_b64 v[122:123], v[61:62], off
	v_lshlrev_b64 v[67:68], 3, v[128:129]
	v_lshlrev_b64 v[69:70], 3, v[130:131]
	s_waitcnt vmcnt(21)
	scratch_store_b128 off, v[71:74], off offset:64
	s_clause 0x1
	global_load_b64 v[124:125], v[63:64], off
	global_load_b64 v[126:127], v[65:66], off
	v_lshlrev_b64 v[71:72], 3, v[132:133]
	v_lshlrev_b64 v[73:74], 3, v[134:135]
	v_add_co_u32 v67, vcc_lo, s2, v67
	v_add_co_ci_u32_e32 v68, vcc_lo, s3, v68, vcc_lo
	v_add_co_u32 v69, vcc_lo, s2, v69
	v_add_co_ci_u32_e32 v70, vcc_lo, s3, v70, vcc_lo
	;; [unrolled: 2-line block ×4, first 2 shown]
	v_lshlrev_b64 v[111:112], 3, v[140:141]
	global_load_b64 v[128:129], v[67:68], off
	v_mov_b32_e32 v114, 0xbff00000
	s_waitcnt vmcnt(22)
	scratch_store_b128 off, v[75:78], off offset:80
	v_lshlrev_b64 v[75:76], 3, v[136:137]
	v_lshlrev_b64 v[77:78], 3, v[138:139]
	s_waitcnt vmcnt(20)
	scratch_store_b128 off, v[79:82], off offset:96
	s_waitcnt vmcnt(18)
	scratch_store_b128 off, v[83:86], off offset:112
	v_add_co_u32 v75, vcc_lo, s2, v75
	v_add_co_ci_u32_e32 v76, vcc_lo, s3, v76, vcc_lo
	v_add_co_u32 v77, vcc_lo, s2, v77
	v_lshlrev_b64 v[81:82], 3, v[142:143]
	v_add_co_ci_u32_e32 v78, vcc_lo, s3, v78, vcc_lo
	v_add_co_u32 v79, vcc_lo, s2, v111
	v_lshlrev_b64 v[83:84], 3, v[144:145]
	;; [unrolled: 3-line block ×4, first 2 shown]
	v_add_co_ci_u32_e32 v84, vcc_lo, s3, v84, vcc_lo
	s_clause 0x3
	global_load_b64 v[130:131], v[69:70], off
	global_load_b64 v[132:133], v[71:72], off
	;; [unrolled: 1-line block ×4, first 2 shown]
	s_waitcnt vmcnt(20)
	scratch_store_b128 off, v[87:90], off offset:128
	s_waitcnt vmcnt(18)
	scratch_store_b128 off, v[91:94], off offset:144
	v_add_co_u32 v85, vcc_lo, s2, v85
	v_lshlrev_b64 v[89:90], 3, v[150:151]
	v_add_co_ci_u32_e32 v86, vcc_lo, s3, v86, vcc_lo
	v_add_co_u32 v87, vcc_lo, s2, v111
	v_lshlrev_b64 v[91:92], 3, v[152:153]
	v_add_co_ci_u32_e32 v88, vcc_lo, s3, v112, vcc_lo
	;; [unrolled: 3-line block ×4, first 2 shown]
	s_clause 0x3
	global_load_b64 v[138:139], v[77:78], off
	global_load_b64 v[140:141], v[79:80], off
	;; [unrolled: 1-line block ×4, first 2 shown]
	v_add_co_u32 v93, vcc_lo, s2, v93
	v_add_co_ci_u32_e32 v94, vcc_lo, s3, v94, vcc_lo
	s_waitcnt vmcnt(19)
	scratch_store_b128 off, v[95:98], off offset:160
	s_waitcnt vmcnt(17)
	scratch_store_b128 off, v[99:102], off offset:176
	v_lshlrev_b64 v[97:98], 3, v[158:159]
	v_add_co_u32 v95, vcc_lo, s2, v111
	v_lshlrev_b64 v[99:100], 3, v[160:161]
	v_add_co_ci_u32_e32 v96, vcc_lo, s3, v112, vcc_lo
	s_delay_alu instid0(VALU_DEP_4)
	v_add_co_u32 v97, vcc_lo, s2, v97
	v_lshlrev_b64 v[101:102], 3, v[162:163]
	v_add_co_ci_u32_e32 v98, vcc_lo, s3, v98, vcc_lo
	v_add_co_u32 v99, vcc_lo, s2, v99
	v_lshlrev_b64 v[111:112], 3, v[164:165]
	v_add_co_ci_u32_e32 v100, vcc_lo, s3, v100, vcc_lo
	s_clause 0x3
	global_load_b64 v[146:147], v[85:86], off
	global_load_b64 v[148:149], v[87:88], off
	global_load_b64 v[150:151], v[89:90], off
	global_load_b64 v[152:153], v[91:92], off
	s_waitcnt vmcnt(19)
	scratch_store_b128 off, v[103:106], off offset:192
	s_waitcnt vmcnt(17)
	scratch_store_b128 off, v[107:110], off offset:208
	v_add_co_u32 v101, vcc_lo, s2, v101
	v_lshlrev_b64 v[105:106], 3, v[166:167]
	v_add_co_ci_u32_e32 v102, vcc_lo, s3, v102, vcc_lo
	v_add_co_u32 v103, vcc_lo, s2, v111
	v_lshlrev_b64 v[107:108], 3, v[168:169]
	v_add_co_ci_u32_e32 v104, vcc_lo, s3, v112, vcc_lo
	v_add_co_u32 v105, vcc_lo, s2, v105
	v_add_co_ci_u32_e32 v106, vcc_lo, s3, v106, vcc_lo
	v_lshlrev_b64 v[111:112], 3, v[170:171]
	v_add_co_u32 v109, vcc_lo, s2, v107
	v_add_co_ci_u32_e32 v110, vcc_lo, s3, v108, vcc_lo
	v_lshlrev_b64 v[107:108], 3, v[172:173]
	s_delay_alu instid0(VALU_DEP_4)
	v_add_co_u32 v111, vcc_lo, s2, v111
	v_add_co_ci_u32_e32 v112, vcc_lo, s3, v112, vcc_lo
	s_clause 0x3
	global_load_b64 v[154:155], v[93:94], off
	global_load_b64 v[156:157], v[95:96], off
	;; [unrolled: 1-line block ×4, first 2 shown]
	v_add_co_u32 v107, vcc_lo, s2, v107
	v_add_co_ci_u32_e32 v108, vcc_lo, s3, v108, vcc_lo
	s_waitcnt vmcnt(19)
	scratch_store_b128 off, v[120:123], off offset:224
	s_clause 0x2
	global_load_b64 v[162:163], v[101:102], off
	global_load_b64 v[120:121], v[103:104], off
	;; [unrolled: 1-line block ×3, first 2 shown]
	s_waitcnt vmcnt(20)
	scratch_store_b128 off, v[124:127], off offset:240
	s_clause 0x2
	global_load_b64 v[124:125], v[109:110], off
	global_load_b64 v[126:127], v[111:112], off
	;; [unrolled: 1-line block ×3, first 2 shown]
	s_cselect_b32 s2, -1, 0
	s_cmpk_eq_i32 s1, 0x84
	s_waitcnt vmcnt(21)
	scratch_store_b128 off, v[128:131], off offset:256
	s_waitcnt vmcnt(19)
	scratch_store_b128 off, v[132:135], off offset:272
	;; [unrolled: 2-line block ×12, first 2 shown]
	s_cbranch_scc1 .LBB119_3
; %bb.2:
	scratch_load_b64 v[113:114], v115, off
	s_waitcnt vmcnt(0)
	v_div_scale_f64 v[116:117], null, v[113:114], v[113:114], 1.0
	v_div_scale_f64 v[122:123], vcc_lo, 1.0, v[113:114], 1.0
	s_delay_alu instid0(VALU_DEP_2) | instskip(SKIP_2) | instid1(VALU_DEP_1)
	v_rcp_f64_e32 v[118:119], v[116:117]
	s_waitcnt_depctr 0xfff
	v_fma_f64 v[120:121], -v[116:117], v[118:119], 1.0
	v_fma_f64 v[118:119], v[118:119], v[120:121], v[118:119]
	s_delay_alu instid0(VALU_DEP_1) | instskip(NEXT) | instid1(VALU_DEP_1)
	v_fma_f64 v[120:121], -v[116:117], v[118:119], 1.0
	v_fma_f64 v[118:119], v[118:119], v[120:121], v[118:119]
	s_delay_alu instid0(VALU_DEP_1) | instskip(NEXT) | instid1(VALU_DEP_1)
	v_mul_f64 v[120:121], v[122:123], v[118:119]
	v_fma_f64 v[116:117], -v[116:117], v[120:121], v[122:123]
	s_delay_alu instid0(VALU_DEP_1) | instskip(NEXT) | instid1(VALU_DEP_1)
	v_div_fmas_f64 v[116:117], v[116:117], v[118:119], v[120:121]
	v_div_fixup_f64 v[113:114], v[116:117], v[113:114], 1.0
	scratch_store_b64 v115, v[113:114], off
	v_xor_b32_e32 v114, 0x80000000, v114
.LBB119_3:
	v_add_nc_u32_e32 v116, 0x1c0, v115
	v_add_nc_u32_e32 v117, 0, v115
	s_cmpk_eq_i32 s0, 0x79
	s_mov_b32 s0, -1
	ds_store_b64 v115, v[113:114]
	s_cbranch_scc1 .LBB119_549
; %bb.4:
	scratch_load_b64 v[113:114], off, off offset:432
	v_cmp_eq_u32_e64 s0, 55, v0
	s_movk_i32 s1, 0x50
	s_movk_i32 s3, 0x60
	;; [unrolled: 1-line block ×22, first 2 shown]
	s_waitcnt vmcnt(0)
	ds_store_b64 v116, v[113:114]
	s_waitcnt lgkmcnt(0)
	s_waitcnt_vscnt null, 0x0
	s_barrier
	buffer_gl0_inv
	s_and_saveexec_b32 s24, s0
	s_cbranch_execz .LBB119_10
; %bb.5:
	s_and_b32 vcc_lo, exec_lo, s2
	s_cbranch_vccz .LBB119_7
; %bb.6:
	scratch_load_b64 v[113:114], v117, off
	ds_load_b64 v[118:119], v116
	s_waitcnt vmcnt(0) lgkmcnt(0)
	v_mul_f64 v[113:114], v[113:114], v[118:119]
	s_cbranch_execz .LBB119_8
	s_branch .LBB119_9
.LBB119_7:
                                        ; implicit-def: $vgpr113_vgpr114
.LBB119_8:
	ds_load_b64 v[113:114], v116
.LBB119_9:
	v_mov_b32_e32 v118, 0
	ds_load_b64 v[118:119], v118 offset:432
	s_waitcnt lgkmcnt(0)
	v_mul_f64 v[113:114], v[113:114], v[118:119]
	scratch_store_b64 off, v[113:114], off offset:432
.LBB119_10:
	s_or_b32 exec_lo, exec_lo, s24
	scratch_load_b64 v[113:114], off, off offset:424
	v_add_nc_u32_e64 v118, 0, 16
	v_add_nc_u32_e64 v119, 0, 32
	;; [unrolled: 1-line block ×26, first 2 shown]
	v_cmp_lt_u32_e64 s1, 53, v0
	s_waitcnt vmcnt(0)
	ds_store_b64 v116, v[113:114]
	s_waitcnt lgkmcnt(0)
	s_waitcnt_vscnt null, 0x0
	s_barrier
	buffer_gl0_inv
	s_and_saveexec_b32 s3, s1
	s_cbranch_execz .LBB119_18
; %bb.11:
	s_and_not1_b32 vcc_lo, exec_lo, s2
	s_cbranch_vccnz .LBB119_13
; %bb.12:
	scratch_load_b64 v[113:114], v117, off
	ds_load_b64 v[144:145], v116
	s_waitcnt vmcnt(0) lgkmcnt(0)
	v_mul_f64 v[113:114], v[113:114], v[144:145]
	s_cbranch_execz .LBB119_14
	s_branch .LBB119_15
.LBB119_13:
                                        ; implicit-def: $vgpr113_vgpr114
.LBB119_14:
	ds_load_b64 v[113:114], v116
.LBB119_15:
	s_and_saveexec_b32 s4, s0
	s_cbranch_execz .LBB119_17
; %bb.16:
	scratch_load_b64 v[144:145], off, off offset:432
	v_mov_b32_e32 v146, 0
	ds_load_b64 v[146:147], v146 offset:880
	s_waitcnt vmcnt(0) lgkmcnt(0)
	v_fma_f64 v[113:114], v[144:145], v[146:147], v[113:114]
.LBB119_17:
	s_or_b32 exec_lo, exec_lo, s4
	v_mov_b32_e32 v144, 0
	ds_load_b64 v[144:145], v144 offset:424
	s_waitcnt lgkmcnt(0)
	v_mul_f64 v[113:114], v[113:114], v[144:145]
	scratch_store_b64 off, v[113:114], off offset:424
.LBB119_18:
	s_or_b32 exec_lo, exec_lo, s3
	scratch_load_b64 v[113:114], off, off offset:416
	v_cmp_lt_u32_e64 s0, 52, v0
	s_waitcnt vmcnt(0)
	ds_store_b64 v116, v[113:114]
	s_waitcnt lgkmcnt(0)
	s_waitcnt_vscnt null, 0x0
	s_barrier
	buffer_gl0_inv
	s_and_saveexec_b32 s3, s0
	s_cbranch_execz .LBB119_28
; %bb.19:
	s_and_not1_b32 vcc_lo, exec_lo, s2
	s_cbranch_vccnz .LBB119_21
; %bb.20:
	scratch_load_b64 v[113:114], v117, off
	ds_load_b64 v[144:145], v116
	s_waitcnt vmcnt(0) lgkmcnt(0)
	v_mul_f64 v[113:114], v[113:114], v[144:145]
	s_cbranch_execz .LBB119_22
	s_branch .LBB119_23
.LBB119_21:
                                        ; implicit-def: $vgpr113_vgpr114
.LBB119_22:
	ds_load_b64 v[113:114], v116
.LBB119_23:
	s_and_saveexec_b32 s4, s1
	s_cbranch_execz .LBB119_27
; %bb.24:
	v_mov_b32_e32 v144, 0
	v_subrev_nc_u32_e32 v145, 53, v0
	s_movk_i32 s5, 0x368
	s_mov_b32 s1, 0
	s_delay_alu instid0(VALU_DEP_2)
	v_add_nc_u32_e32 v144, 0x1a8, v144
.LBB119_25:                             ; =>This Inner Loop Header: Depth=1
	scratch_load_b64 v[146:147], v144, off
	v_dual_mov_b32 v148, s5 :: v_dual_add_nc_u32 v145, -1, v145
	v_add_nc_u32_e32 v144, 8, v144
	s_add_i32 s5, s5, 8
	ds_load_b64 v[148:149], v148
	v_cmp_eq_u32_e32 vcc_lo, 0, v145
	s_or_b32 s1, vcc_lo, s1
	s_waitcnt vmcnt(0) lgkmcnt(0)
	v_fma_f64 v[113:114], v[146:147], v[148:149], v[113:114]
	s_and_not1_b32 exec_lo, exec_lo, s1
	s_cbranch_execnz .LBB119_25
; %bb.26:
	s_or_b32 exec_lo, exec_lo, s1
.LBB119_27:
	s_delay_alu instid0(SALU_CYCLE_1)
	s_or_b32 exec_lo, exec_lo, s4
	v_mov_b32_e32 v144, 0
	ds_load_b64 v[144:145], v144 offset:416
	s_waitcnt lgkmcnt(0)
	v_mul_f64 v[113:114], v[113:114], v[144:145]
	scratch_store_b64 off, v[113:114], off offset:416
.LBB119_28:
	s_or_b32 exec_lo, exec_lo, s3
	scratch_load_b64 v[113:114], off, off offset:408
	v_cmp_lt_u32_e64 s1, 51, v0
	s_waitcnt vmcnt(0)
	ds_store_b64 v116, v[113:114]
	s_waitcnt lgkmcnt(0)
	s_waitcnt_vscnt null, 0x0
	s_barrier
	buffer_gl0_inv
	s_and_saveexec_b32 s3, s1
	s_cbranch_execz .LBB119_38
; %bb.29:
	s_and_not1_b32 vcc_lo, exec_lo, s2
	s_cbranch_vccnz .LBB119_31
; %bb.30:
	scratch_load_b64 v[113:114], v117, off
	ds_load_b64 v[144:145], v116
	s_waitcnt vmcnt(0) lgkmcnt(0)
	v_mul_f64 v[113:114], v[113:114], v[144:145]
	s_cbranch_execz .LBB119_32
	s_branch .LBB119_33
.LBB119_31:
                                        ; implicit-def: $vgpr113_vgpr114
.LBB119_32:
	ds_load_b64 v[113:114], v116
.LBB119_33:
	s_and_saveexec_b32 s4, s0
	s_cbranch_execz .LBB119_37
; %bb.34:
	v_subrev_nc_u32_e32 v144, 52, v0
	s_movk_i32 s5, 0x360
	s_mov_b32 s0, 0
.LBB119_35:                             ; =>This Inner Loop Header: Depth=1
	scratch_load_b64 v[145:146], v143, off
	v_dual_mov_b32 v147, s5 :: v_dual_add_nc_u32 v144, -1, v144
	v_add_nc_u32_e32 v143, 8, v143
	s_add_i32 s5, s5, 8
	ds_load_b64 v[147:148], v147
	v_cmp_eq_u32_e32 vcc_lo, 0, v144
	s_or_b32 s0, vcc_lo, s0
	s_waitcnt vmcnt(0) lgkmcnt(0)
	v_fma_f64 v[113:114], v[145:146], v[147:148], v[113:114]
	s_and_not1_b32 exec_lo, exec_lo, s0
	s_cbranch_execnz .LBB119_35
; %bb.36:
	s_or_b32 exec_lo, exec_lo, s0
.LBB119_37:
	s_delay_alu instid0(SALU_CYCLE_1)
	s_or_b32 exec_lo, exec_lo, s4
	v_mov_b32_e32 v143, 0
	ds_load_b64 v[143:144], v143 offset:408
	s_waitcnt lgkmcnt(0)
	v_mul_f64 v[113:114], v[113:114], v[143:144]
	scratch_store_b64 off, v[113:114], off offset:408
.LBB119_38:
	s_or_b32 exec_lo, exec_lo, s3
	scratch_load_b64 v[113:114], off, off offset:400
	v_cmp_lt_u32_e64 s0, 50, v0
	s_waitcnt vmcnt(0)
	ds_store_b64 v116, v[113:114]
	s_waitcnt lgkmcnt(0)
	s_waitcnt_vscnt null, 0x0
	s_barrier
	buffer_gl0_inv
	s_and_saveexec_b32 s3, s0
	s_cbranch_execz .LBB119_48
; %bb.39:
	s_and_not1_b32 vcc_lo, exec_lo, s2
	s_cbranch_vccnz .LBB119_41
; %bb.40:
	scratch_load_b64 v[113:114], v117, off
	ds_load_b64 v[143:144], v116
	s_waitcnt vmcnt(0) lgkmcnt(0)
	v_mul_f64 v[113:114], v[113:114], v[143:144]
	s_cbranch_execz .LBB119_42
	s_branch .LBB119_43
.LBB119_41:
                                        ; implicit-def: $vgpr113_vgpr114
.LBB119_42:
	ds_load_b64 v[113:114], v116
.LBB119_43:
	s_and_saveexec_b32 s4, s1
	s_cbranch_execz .LBB119_47
; %bb.44:
	v_mov_b32_e32 v143, 0
	v_subrev_nc_u32_e32 v144, 51, v0
	s_movk_i32 s5, 0x358
	s_mov_b32 s1, 0
	s_delay_alu instid0(VALU_DEP_2)
	v_add_nc_u32_e32 v143, 0x198, v143
.LBB119_45:                             ; =>This Inner Loop Header: Depth=1
	scratch_load_b64 v[145:146], v143, off
	v_dual_mov_b32 v147, s5 :: v_dual_add_nc_u32 v144, -1, v144
	v_add_nc_u32_e32 v143, 8, v143
	s_add_i32 s5, s5, 8
	ds_load_b64 v[147:148], v147
	v_cmp_eq_u32_e32 vcc_lo, 0, v144
	s_or_b32 s1, vcc_lo, s1
	s_waitcnt vmcnt(0) lgkmcnt(0)
	v_fma_f64 v[113:114], v[145:146], v[147:148], v[113:114]
	s_and_not1_b32 exec_lo, exec_lo, s1
	s_cbranch_execnz .LBB119_45
; %bb.46:
	s_or_b32 exec_lo, exec_lo, s1
.LBB119_47:
	s_delay_alu instid0(SALU_CYCLE_1)
	s_or_b32 exec_lo, exec_lo, s4
	v_mov_b32_e32 v143, 0
	ds_load_b64 v[143:144], v143 offset:400
	s_waitcnt lgkmcnt(0)
	v_mul_f64 v[113:114], v[113:114], v[143:144]
	scratch_store_b64 off, v[113:114], off offset:400
.LBB119_48:
	s_or_b32 exec_lo, exec_lo, s3
	scratch_load_b64 v[113:114], off, off offset:392
	v_cmp_lt_u32_e64 s1, 49, v0
	s_waitcnt vmcnt(0)
	ds_store_b64 v116, v[113:114]
	s_waitcnt lgkmcnt(0)
	s_waitcnt_vscnt null, 0x0
	s_barrier
	buffer_gl0_inv
	s_and_saveexec_b32 s3, s1
	s_cbranch_execz .LBB119_58
; %bb.49:
	s_and_not1_b32 vcc_lo, exec_lo, s2
	s_cbranch_vccnz .LBB119_51
; %bb.50:
	scratch_load_b64 v[113:114], v117, off
	ds_load_b64 v[143:144], v116
	s_waitcnt vmcnt(0) lgkmcnt(0)
	v_mul_f64 v[113:114], v[113:114], v[143:144]
	s_cbranch_execz .LBB119_52
	s_branch .LBB119_53
.LBB119_51:
                                        ; implicit-def: $vgpr113_vgpr114
.LBB119_52:
	ds_load_b64 v[113:114], v116
.LBB119_53:
	s_and_saveexec_b32 s4, s0
	s_cbranch_execz .LBB119_57
; %bb.54:
	v_subrev_nc_u32_e32 v143, 50, v0
	s_movk_i32 s5, 0x350
	s_mov_b32 s0, 0
.LBB119_55:                             ; =>This Inner Loop Header: Depth=1
	scratch_load_b64 v[144:145], v142, off
	v_dual_mov_b32 v146, s5 :: v_dual_add_nc_u32 v143, -1, v143
	v_add_nc_u32_e32 v142, 8, v142
	s_add_i32 s5, s5, 8
	ds_load_b64 v[146:147], v146
	v_cmp_eq_u32_e32 vcc_lo, 0, v143
	s_or_b32 s0, vcc_lo, s0
	s_waitcnt vmcnt(0) lgkmcnt(0)
	v_fma_f64 v[113:114], v[144:145], v[146:147], v[113:114]
	s_and_not1_b32 exec_lo, exec_lo, s0
	s_cbranch_execnz .LBB119_55
; %bb.56:
	s_or_b32 exec_lo, exec_lo, s0
.LBB119_57:
	s_delay_alu instid0(SALU_CYCLE_1)
	s_or_b32 exec_lo, exec_lo, s4
	v_mov_b32_e32 v142, 0
	ds_load_b64 v[142:143], v142 offset:392
	s_waitcnt lgkmcnt(0)
	v_mul_f64 v[113:114], v[113:114], v[142:143]
	scratch_store_b64 off, v[113:114], off offset:392
.LBB119_58:
	s_or_b32 exec_lo, exec_lo, s3
	scratch_load_b64 v[113:114], off, off offset:384
	v_cmp_lt_u32_e64 s0, 48, v0
	s_waitcnt vmcnt(0)
	ds_store_b64 v116, v[113:114]
	s_waitcnt lgkmcnt(0)
	s_waitcnt_vscnt null, 0x0
	s_barrier
	buffer_gl0_inv
	s_and_saveexec_b32 s3, s0
	s_cbranch_execz .LBB119_68
; %bb.59:
	s_and_not1_b32 vcc_lo, exec_lo, s2
	s_cbranch_vccnz .LBB119_61
; %bb.60:
	scratch_load_b64 v[113:114], v117, off
	ds_load_b64 v[142:143], v116
	s_waitcnt vmcnt(0) lgkmcnt(0)
	v_mul_f64 v[113:114], v[113:114], v[142:143]
	s_cbranch_execz .LBB119_62
	s_branch .LBB119_63
.LBB119_61:
                                        ; implicit-def: $vgpr113_vgpr114
.LBB119_62:
	ds_load_b64 v[113:114], v116
.LBB119_63:
	s_and_saveexec_b32 s4, s1
	s_cbranch_execz .LBB119_67
; %bb.64:
	v_mov_b32_e32 v142, 0
	v_subrev_nc_u32_e32 v143, 49, v0
	s_movk_i32 s5, 0x348
	s_mov_b32 s1, 0
	s_delay_alu instid0(VALU_DEP_2)
	v_add_nc_u32_e32 v142, 0x188, v142
.LBB119_65:                             ; =>This Inner Loop Header: Depth=1
	scratch_load_b64 v[144:145], v142, off
	v_dual_mov_b32 v146, s5 :: v_dual_add_nc_u32 v143, -1, v143
	v_add_nc_u32_e32 v142, 8, v142
	s_add_i32 s5, s5, 8
	ds_load_b64 v[146:147], v146
	v_cmp_eq_u32_e32 vcc_lo, 0, v143
	s_or_b32 s1, vcc_lo, s1
	s_waitcnt vmcnt(0) lgkmcnt(0)
	v_fma_f64 v[113:114], v[144:145], v[146:147], v[113:114]
	s_and_not1_b32 exec_lo, exec_lo, s1
	s_cbranch_execnz .LBB119_65
; %bb.66:
	s_or_b32 exec_lo, exec_lo, s1
.LBB119_67:
	s_delay_alu instid0(SALU_CYCLE_1)
	s_or_b32 exec_lo, exec_lo, s4
	v_mov_b32_e32 v142, 0
	ds_load_b64 v[142:143], v142 offset:384
	s_waitcnt lgkmcnt(0)
	v_mul_f64 v[113:114], v[113:114], v[142:143]
	scratch_store_b64 off, v[113:114], off offset:384
.LBB119_68:
	s_or_b32 exec_lo, exec_lo, s3
	scratch_load_b64 v[113:114], off, off offset:376
	v_cmp_lt_u32_e64 s1, 47, v0
	s_waitcnt vmcnt(0)
	ds_store_b64 v116, v[113:114]
	s_waitcnt lgkmcnt(0)
	s_waitcnt_vscnt null, 0x0
	s_barrier
	buffer_gl0_inv
	s_and_saveexec_b32 s3, s1
	s_cbranch_execz .LBB119_78
; %bb.69:
	s_and_not1_b32 vcc_lo, exec_lo, s2
	s_cbranch_vccnz .LBB119_71
; %bb.70:
	scratch_load_b64 v[113:114], v117, off
	ds_load_b64 v[142:143], v116
	s_waitcnt vmcnt(0) lgkmcnt(0)
	v_mul_f64 v[113:114], v[113:114], v[142:143]
	s_cbranch_execz .LBB119_72
	s_branch .LBB119_73
.LBB119_71:
                                        ; implicit-def: $vgpr113_vgpr114
.LBB119_72:
	ds_load_b64 v[113:114], v116
.LBB119_73:
	s_and_saveexec_b32 s4, s0
	s_cbranch_execz .LBB119_77
; %bb.74:
	v_subrev_nc_u32_e32 v142, 48, v0
	s_movk_i32 s5, 0x340
	s_mov_b32 s0, 0
.LBB119_75:                             ; =>This Inner Loop Header: Depth=1
	scratch_load_b64 v[143:144], v141, off
	v_dual_mov_b32 v145, s5 :: v_dual_add_nc_u32 v142, -1, v142
	v_add_nc_u32_e32 v141, 8, v141
	s_add_i32 s5, s5, 8
	ds_load_b64 v[145:146], v145
	v_cmp_eq_u32_e32 vcc_lo, 0, v142
	s_or_b32 s0, vcc_lo, s0
	s_waitcnt vmcnt(0) lgkmcnt(0)
	v_fma_f64 v[113:114], v[143:144], v[145:146], v[113:114]
	s_and_not1_b32 exec_lo, exec_lo, s0
	s_cbranch_execnz .LBB119_75
; %bb.76:
	s_or_b32 exec_lo, exec_lo, s0
.LBB119_77:
	s_delay_alu instid0(SALU_CYCLE_1)
	s_or_b32 exec_lo, exec_lo, s4
	v_mov_b32_e32 v141, 0
	ds_load_b64 v[141:142], v141 offset:376
	s_waitcnt lgkmcnt(0)
	v_mul_f64 v[113:114], v[113:114], v[141:142]
	scratch_store_b64 off, v[113:114], off offset:376
.LBB119_78:
	s_or_b32 exec_lo, exec_lo, s3
	scratch_load_b64 v[113:114], off, off offset:368
	v_cmp_lt_u32_e64 s0, 46, v0
	s_waitcnt vmcnt(0)
	ds_store_b64 v116, v[113:114]
	s_waitcnt lgkmcnt(0)
	s_waitcnt_vscnt null, 0x0
	s_barrier
	buffer_gl0_inv
	s_and_saveexec_b32 s3, s0
	s_cbranch_execz .LBB119_88
; %bb.79:
	s_and_not1_b32 vcc_lo, exec_lo, s2
	s_cbranch_vccnz .LBB119_81
; %bb.80:
	scratch_load_b64 v[113:114], v117, off
	ds_load_b64 v[141:142], v116
	s_waitcnt vmcnt(0) lgkmcnt(0)
	v_mul_f64 v[113:114], v[113:114], v[141:142]
	s_cbranch_execz .LBB119_82
	s_branch .LBB119_83
.LBB119_81:
                                        ; implicit-def: $vgpr113_vgpr114
.LBB119_82:
	ds_load_b64 v[113:114], v116
.LBB119_83:
	s_and_saveexec_b32 s4, s1
	s_cbranch_execz .LBB119_87
; %bb.84:
	v_mov_b32_e32 v141, 0
	v_subrev_nc_u32_e32 v142, 47, v0
	s_movk_i32 s5, 0x338
	s_mov_b32 s1, 0
	s_delay_alu instid0(VALU_DEP_2)
	v_add_nc_u32_e32 v141, 0x178, v141
.LBB119_85:                             ; =>This Inner Loop Header: Depth=1
	scratch_load_b64 v[143:144], v141, off
	v_dual_mov_b32 v145, s5 :: v_dual_add_nc_u32 v142, -1, v142
	v_add_nc_u32_e32 v141, 8, v141
	s_add_i32 s5, s5, 8
	ds_load_b64 v[145:146], v145
	v_cmp_eq_u32_e32 vcc_lo, 0, v142
	s_or_b32 s1, vcc_lo, s1
	s_waitcnt vmcnt(0) lgkmcnt(0)
	v_fma_f64 v[113:114], v[143:144], v[145:146], v[113:114]
	s_and_not1_b32 exec_lo, exec_lo, s1
	s_cbranch_execnz .LBB119_85
; %bb.86:
	s_or_b32 exec_lo, exec_lo, s1
.LBB119_87:
	s_delay_alu instid0(SALU_CYCLE_1)
	s_or_b32 exec_lo, exec_lo, s4
	v_mov_b32_e32 v141, 0
	ds_load_b64 v[141:142], v141 offset:368
	s_waitcnt lgkmcnt(0)
	v_mul_f64 v[113:114], v[113:114], v[141:142]
	scratch_store_b64 off, v[113:114], off offset:368
.LBB119_88:
	s_or_b32 exec_lo, exec_lo, s3
	scratch_load_b64 v[113:114], off, off offset:360
	v_cmp_lt_u32_e64 s1, 45, v0
	s_waitcnt vmcnt(0)
	ds_store_b64 v116, v[113:114]
	s_waitcnt lgkmcnt(0)
	s_waitcnt_vscnt null, 0x0
	s_barrier
	buffer_gl0_inv
	s_and_saveexec_b32 s3, s1
	s_cbranch_execz .LBB119_98
; %bb.89:
	s_and_not1_b32 vcc_lo, exec_lo, s2
	s_cbranch_vccnz .LBB119_91
; %bb.90:
	scratch_load_b64 v[113:114], v117, off
	ds_load_b64 v[141:142], v116
	s_waitcnt vmcnt(0) lgkmcnt(0)
	v_mul_f64 v[113:114], v[113:114], v[141:142]
	s_cbranch_execz .LBB119_92
	s_branch .LBB119_93
.LBB119_91:
                                        ; implicit-def: $vgpr113_vgpr114
.LBB119_92:
	ds_load_b64 v[113:114], v116
.LBB119_93:
	s_and_saveexec_b32 s4, s0
	s_cbranch_execz .LBB119_97
; %bb.94:
	v_subrev_nc_u32_e32 v141, 46, v0
	s_movk_i32 s5, 0x330
	s_mov_b32 s0, 0
.LBB119_95:                             ; =>This Inner Loop Header: Depth=1
	scratch_load_b64 v[142:143], v140, off
	v_dual_mov_b32 v144, s5 :: v_dual_add_nc_u32 v141, -1, v141
	v_add_nc_u32_e32 v140, 8, v140
	s_add_i32 s5, s5, 8
	ds_load_b64 v[144:145], v144
	v_cmp_eq_u32_e32 vcc_lo, 0, v141
	s_or_b32 s0, vcc_lo, s0
	s_waitcnt vmcnt(0) lgkmcnt(0)
	v_fma_f64 v[113:114], v[142:143], v[144:145], v[113:114]
	s_and_not1_b32 exec_lo, exec_lo, s0
	s_cbranch_execnz .LBB119_95
; %bb.96:
	s_or_b32 exec_lo, exec_lo, s0
.LBB119_97:
	s_delay_alu instid0(SALU_CYCLE_1)
	s_or_b32 exec_lo, exec_lo, s4
	v_mov_b32_e32 v140, 0
	ds_load_b64 v[140:141], v140 offset:360
	s_waitcnt lgkmcnt(0)
	v_mul_f64 v[113:114], v[113:114], v[140:141]
	scratch_store_b64 off, v[113:114], off offset:360
.LBB119_98:
	s_or_b32 exec_lo, exec_lo, s3
	scratch_load_b64 v[113:114], off, off offset:352
	v_cmp_lt_u32_e64 s0, 44, v0
	s_waitcnt vmcnt(0)
	ds_store_b64 v116, v[113:114]
	s_waitcnt lgkmcnt(0)
	s_waitcnt_vscnt null, 0x0
	s_barrier
	buffer_gl0_inv
	s_and_saveexec_b32 s3, s0
	s_cbranch_execz .LBB119_108
; %bb.99:
	s_and_not1_b32 vcc_lo, exec_lo, s2
	s_cbranch_vccnz .LBB119_101
; %bb.100:
	scratch_load_b64 v[113:114], v117, off
	ds_load_b64 v[140:141], v116
	s_waitcnt vmcnt(0) lgkmcnt(0)
	v_mul_f64 v[113:114], v[113:114], v[140:141]
	s_cbranch_execz .LBB119_102
	s_branch .LBB119_103
.LBB119_101:
                                        ; implicit-def: $vgpr113_vgpr114
.LBB119_102:
	ds_load_b64 v[113:114], v116
.LBB119_103:
	s_and_saveexec_b32 s4, s1
	s_cbranch_execz .LBB119_107
; %bb.104:
	v_mov_b32_e32 v140, 0
	v_subrev_nc_u32_e32 v141, 45, v0
	s_movk_i32 s5, 0x328
	s_mov_b32 s1, 0
	s_delay_alu instid0(VALU_DEP_2)
	v_add_nc_u32_e32 v140, 0x168, v140
.LBB119_105:                            ; =>This Inner Loop Header: Depth=1
	scratch_load_b64 v[142:143], v140, off
	v_dual_mov_b32 v144, s5 :: v_dual_add_nc_u32 v141, -1, v141
	v_add_nc_u32_e32 v140, 8, v140
	s_add_i32 s5, s5, 8
	ds_load_b64 v[144:145], v144
	v_cmp_eq_u32_e32 vcc_lo, 0, v141
	s_or_b32 s1, vcc_lo, s1
	s_waitcnt vmcnt(0) lgkmcnt(0)
	v_fma_f64 v[113:114], v[142:143], v[144:145], v[113:114]
	s_and_not1_b32 exec_lo, exec_lo, s1
	s_cbranch_execnz .LBB119_105
; %bb.106:
	s_or_b32 exec_lo, exec_lo, s1
.LBB119_107:
	s_delay_alu instid0(SALU_CYCLE_1)
	s_or_b32 exec_lo, exec_lo, s4
	v_mov_b32_e32 v140, 0
	ds_load_b64 v[140:141], v140 offset:352
	s_waitcnt lgkmcnt(0)
	v_mul_f64 v[113:114], v[113:114], v[140:141]
	scratch_store_b64 off, v[113:114], off offset:352
.LBB119_108:
	s_or_b32 exec_lo, exec_lo, s3
	scratch_load_b64 v[113:114], off, off offset:344
	v_cmp_lt_u32_e64 s1, 43, v0
	s_waitcnt vmcnt(0)
	ds_store_b64 v116, v[113:114]
	s_waitcnt lgkmcnt(0)
	s_waitcnt_vscnt null, 0x0
	s_barrier
	buffer_gl0_inv
	s_and_saveexec_b32 s3, s1
	s_cbranch_execz .LBB119_118
; %bb.109:
	s_and_not1_b32 vcc_lo, exec_lo, s2
	s_cbranch_vccnz .LBB119_111
; %bb.110:
	scratch_load_b64 v[113:114], v117, off
	ds_load_b64 v[140:141], v116
	s_waitcnt vmcnt(0) lgkmcnt(0)
	v_mul_f64 v[113:114], v[113:114], v[140:141]
	s_cbranch_execz .LBB119_112
	s_branch .LBB119_113
.LBB119_111:
                                        ; implicit-def: $vgpr113_vgpr114
.LBB119_112:
	ds_load_b64 v[113:114], v116
.LBB119_113:
	s_and_saveexec_b32 s4, s0
	s_cbranch_execz .LBB119_117
; %bb.114:
	v_subrev_nc_u32_e32 v140, 44, v0
	s_movk_i32 s5, 0x320
	s_mov_b32 s0, 0
.LBB119_115:                            ; =>This Inner Loop Header: Depth=1
	scratch_load_b64 v[141:142], v139, off
	v_dual_mov_b32 v143, s5 :: v_dual_add_nc_u32 v140, -1, v140
	v_add_nc_u32_e32 v139, 8, v139
	s_add_i32 s5, s5, 8
	ds_load_b64 v[143:144], v143
	v_cmp_eq_u32_e32 vcc_lo, 0, v140
	s_or_b32 s0, vcc_lo, s0
	s_waitcnt vmcnt(0) lgkmcnt(0)
	v_fma_f64 v[113:114], v[141:142], v[143:144], v[113:114]
	s_and_not1_b32 exec_lo, exec_lo, s0
	s_cbranch_execnz .LBB119_115
; %bb.116:
	s_or_b32 exec_lo, exec_lo, s0
.LBB119_117:
	s_delay_alu instid0(SALU_CYCLE_1)
	s_or_b32 exec_lo, exec_lo, s4
	v_mov_b32_e32 v139, 0
	ds_load_b64 v[139:140], v139 offset:344
	s_waitcnt lgkmcnt(0)
	v_mul_f64 v[113:114], v[113:114], v[139:140]
	scratch_store_b64 off, v[113:114], off offset:344
.LBB119_118:
	s_or_b32 exec_lo, exec_lo, s3
	scratch_load_b64 v[113:114], off, off offset:336
	v_cmp_lt_u32_e64 s0, 42, v0
	s_waitcnt vmcnt(0)
	ds_store_b64 v116, v[113:114]
	s_waitcnt lgkmcnt(0)
	s_waitcnt_vscnt null, 0x0
	s_barrier
	buffer_gl0_inv
	s_and_saveexec_b32 s3, s0
	s_cbranch_execz .LBB119_128
; %bb.119:
	s_and_not1_b32 vcc_lo, exec_lo, s2
	s_cbranch_vccnz .LBB119_121
; %bb.120:
	scratch_load_b64 v[113:114], v117, off
	ds_load_b64 v[139:140], v116
	s_waitcnt vmcnt(0) lgkmcnt(0)
	v_mul_f64 v[113:114], v[113:114], v[139:140]
	s_cbranch_execz .LBB119_122
	s_branch .LBB119_123
.LBB119_121:
                                        ; implicit-def: $vgpr113_vgpr114
.LBB119_122:
	ds_load_b64 v[113:114], v116
.LBB119_123:
	s_and_saveexec_b32 s4, s1
	s_cbranch_execz .LBB119_127
; %bb.124:
	v_mov_b32_e32 v139, 0
	v_subrev_nc_u32_e32 v140, 43, v0
	s_movk_i32 s5, 0x318
	s_mov_b32 s1, 0
	s_delay_alu instid0(VALU_DEP_2)
	v_add_nc_u32_e32 v139, 0x158, v139
.LBB119_125:                            ; =>This Inner Loop Header: Depth=1
	scratch_load_b64 v[141:142], v139, off
	v_dual_mov_b32 v143, s5 :: v_dual_add_nc_u32 v140, -1, v140
	v_add_nc_u32_e32 v139, 8, v139
	s_add_i32 s5, s5, 8
	ds_load_b64 v[143:144], v143
	v_cmp_eq_u32_e32 vcc_lo, 0, v140
	s_or_b32 s1, vcc_lo, s1
	s_waitcnt vmcnt(0) lgkmcnt(0)
	v_fma_f64 v[113:114], v[141:142], v[143:144], v[113:114]
	s_and_not1_b32 exec_lo, exec_lo, s1
	s_cbranch_execnz .LBB119_125
; %bb.126:
	s_or_b32 exec_lo, exec_lo, s1
.LBB119_127:
	s_delay_alu instid0(SALU_CYCLE_1)
	s_or_b32 exec_lo, exec_lo, s4
	v_mov_b32_e32 v139, 0
	ds_load_b64 v[139:140], v139 offset:336
	s_waitcnt lgkmcnt(0)
	v_mul_f64 v[113:114], v[113:114], v[139:140]
	scratch_store_b64 off, v[113:114], off offset:336
.LBB119_128:
	s_or_b32 exec_lo, exec_lo, s3
	scratch_load_b64 v[113:114], off, off offset:328
	v_cmp_lt_u32_e64 s1, 41, v0
	s_waitcnt vmcnt(0)
	ds_store_b64 v116, v[113:114]
	s_waitcnt lgkmcnt(0)
	s_waitcnt_vscnt null, 0x0
	s_barrier
	buffer_gl0_inv
	s_and_saveexec_b32 s3, s1
	s_cbranch_execz .LBB119_138
; %bb.129:
	s_and_not1_b32 vcc_lo, exec_lo, s2
	s_cbranch_vccnz .LBB119_131
; %bb.130:
	scratch_load_b64 v[113:114], v117, off
	ds_load_b64 v[139:140], v116
	s_waitcnt vmcnt(0) lgkmcnt(0)
	v_mul_f64 v[113:114], v[113:114], v[139:140]
	s_cbranch_execz .LBB119_132
	s_branch .LBB119_133
.LBB119_131:
                                        ; implicit-def: $vgpr113_vgpr114
.LBB119_132:
	ds_load_b64 v[113:114], v116
.LBB119_133:
	s_and_saveexec_b32 s4, s0
	s_cbranch_execz .LBB119_137
; %bb.134:
	v_subrev_nc_u32_e32 v139, 42, v0
	s_movk_i32 s5, 0x310
	s_mov_b32 s0, 0
.LBB119_135:                            ; =>This Inner Loop Header: Depth=1
	scratch_load_b64 v[140:141], v138, off
	v_dual_mov_b32 v142, s5 :: v_dual_add_nc_u32 v139, -1, v139
	v_add_nc_u32_e32 v138, 8, v138
	s_add_i32 s5, s5, 8
	ds_load_b64 v[142:143], v142
	v_cmp_eq_u32_e32 vcc_lo, 0, v139
	s_or_b32 s0, vcc_lo, s0
	s_waitcnt vmcnt(0) lgkmcnt(0)
	v_fma_f64 v[113:114], v[140:141], v[142:143], v[113:114]
	s_and_not1_b32 exec_lo, exec_lo, s0
	s_cbranch_execnz .LBB119_135
; %bb.136:
	s_or_b32 exec_lo, exec_lo, s0
.LBB119_137:
	s_delay_alu instid0(SALU_CYCLE_1)
	s_or_b32 exec_lo, exec_lo, s4
	v_mov_b32_e32 v138, 0
	ds_load_b64 v[138:139], v138 offset:328
	s_waitcnt lgkmcnt(0)
	v_mul_f64 v[113:114], v[113:114], v[138:139]
	scratch_store_b64 off, v[113:114], off offset:328
.LBB119_138:
	s_or_b32 exec_lo, exec_lo, s3
	scratch_load_b64 v[113:114], off, off offset:320
	v_cmp_lt_u32_e64 s0, 40, v0
	s_waitcnt vmcnt(0)
	ds_store_b64 v116, v[113:114]
	s_waitcnt lgkmcnt(0)
	s_waitcnt_vscnt null, 0x0
	s_barrier
	buffer_gl0_inv
	s_and_saveexec_b32 s3, s0
	s_cbranch_execz .LBB119_148
; %bb.139:
	s_and_not1_b32 vcc_lo, exec_lo, s2
	s_cbranch_vccnz .LBB119_141
; %bb.140:
	scratch_load_b64 v[113:114], v117, off
	ds_load_b64 v[138:139], v116
	s_waitcnt vmcnt(0) lgkmcnt(0)
	v_mul_f64 v[113:114], v[113:114], v[138:139]
	s_cbranch_execz .LBB119_142
	s_branch .LBB119_143
.LBB119_141:
                                        ; implicit-def: $vgpr113_vgpr114
.LBB119_142:
	ds_load_b64 v[113:114], v116
.LBB119_143:
	s_and_saveexec_b32 s4, s1
	s_cbranch_execz .LBB119_147
; %bb.144:
	v_mov_b32_e32 v138, 0
	v_subrev_nc_u32_e32 v139, 41, v0
	s_movk_i32 s5, 0x308
	s_mov_b32 s1, 0
	s_delay_alu instid0(VALU_DEP_2)
	v_add_nc_u32_e32 v138, 0x148, v138
.LBB119_145:                            ; =>This Inner Loop Header: Depth=1
	scratch_load_b64 v[140:141], v138, off
	v_dual_mov_b32 v142, s5 :: v_dual_add_nc_u32 v139, -1, v139
	v_add_nc_u32_e32 v138, 8, v138
	s_add_i32 s5, s5, 8
	ds_load_b64 v[142:143], v142
	v_cmp_eq_u32_e32 vcc_lo, 0, v139
	s_or_b32 s1, vcc_lo, s1
	s_waitcnt vmcnt(0) lgkmcnt(0)
	v_fma_f64 v[113:114], v[140:141], v[142:143], v[113:114]
	s_and_not1_b32 exec_lo, exec_lo, s1
	s_cbranch_execnz .LBB119_145
; %bb.146:
	s_or_b32 exec_lo, exec_lo, s1
.LBB119_147:
	s_delay_alu instid0(SALU_CYCLE_1)
	s_or_b32 exec_lo, exec_lo, s4
	v_mov_b32_e32 v138, 0
	ds_load_b64 v[138:139], v138 offset:320
	s_waitcnt lgkmcnt(0)
	v_mul_f64 v[113:114], v[113:114], v[138:139]
	scratch_store_b64 off, v[113:114], off offset:320
.LBB119_148:
	s_or_b32 exec_lo, exec_lo, s3
	scratch_load_b64 v[113:114], off, off offset:312
	v_cmp_lt_u32_e64 s1, 39, v0
	s_waitcnt vmcnt(0)
	ds_store_b64 v116, v[113:114]
	s_waitcnt lgkmcnt(0)
	s_waitcnt_vscnt null, 0x0
	s_barrier
	buffer_gl0_inv
	s_and_saveexec_b32 s3, s1
	s_cbranch_execz .LBB119_158
; %bb.149:
	s_and_not1_b32 vcc_lo, exec_lo, s2
	s_cbranch_vccnz .LBB119_151
; %bb.150:
	scratch_load_b64 v[113:114], v117, off
	ds_load_b64 v[138:139], v116
	s_waitcnt vmcnt(0) lgkmcnt(0)
	v_mul_f64 v[113:114], v[113:114], v[138:139]
	s_cbranch_execz .LBB119_152
	s_branch .LBB119_153
.LBB119_151:
                                        ; implicit-def: $vgpr113_vgpr114
.LBB119_152:
	ds_load_b64 v[113:114], v116
.LBB119_153:
	s_and_saveexec_b32 s4, s0
	s_cbranch_execz .LBB119_157
; %bb.154:
	v_subrev_nc_u32_e32 v138, 40, v0
	s_movk_i32 s5, 0x300
	s_mov_b32 s0, 0
.LBB119_155:                            ; =>This Inner Loop Header: Depth=1
	scratch_load_b64 v[139:140], v137, off
	v_dual_mov_b32 v141, s5 :: v_dual_add_nc_u32 v138, -1, v138
	v_add_nc_u32_e32 v137, 8, v137
	s_add_i32 s5, s5, 8
	ds_load_b64 v[141:142], v141
	v_cmp_eq_u32_e32 vcc_lo, 0, v138
	s_or_b32 s0, vcc_lo, s0
	s_waitcnt vmcnt(0) lgkmcnt(0)
	v_fma_f64 v[113:114], v[139:140], v[141:142], v[113:114]
	s_and_not1_b32 exec_lo, exec_lo, s0
	s_cbranch_execnz .LBB119_155
; %bb.156:
	s_or_b32 exec_lo, exec_lo, s0
.LBB119_157:
	s_delay_alu instid0(SALU_CYCLE_1)
	s_or_b32 exec_lo, exec_lo, s4
	v_mov_b32_e32 v137, 0
	ds_load_b64 v[137:138], v137 offset:312
	s_waitcnt lgkmcnt(0)
	v_mul_f64 v[113:114], v[113:114], v[137:138]
	scratch_store_b64 off, v[113:114], off offset:312
.LBB119_158:
	s_or_b32 exec_lo, exec_lo, s3
	scratch_load_b64 v[113:114], off, off offset:304
	v_cmp_lt_u32_e64 s0, 38, v0
	s_waitcnt vmcnt(0)
	ds_store_b64 v116, v[113:114]
	s_waitcnt lgkmcnt(0)
	s_waitcnt_vscnt null, 0x0
	s_barrier
	buffer_gl0_inv
	s_and_saveexec_b32 s3, s0
	s_cbranch_execz .LBB119_168
; %bb.159:
	s_and_not1_b32 vcc_lo, exec_lo, s2
	s_cbranch_vccnz .LBB119_161
; %bb.160:
	scratch_load_b64 v[113:114], v117, off
	ds_load_b64 v[137:138], v116
	s_waitcnt vmcnt(0) lgkmcnt(0)
	v_mul_f64 v[113:114], v[113:114], v[137:138]
	s_cbranch_execz .LBB119_162
	s_branch .LBB119_163
.LBB119_161:
                                        ; implicit-def: $vgpr113_vgpr114
.LBB119_162:
	ds_load_b64 v[113:114], v116
.LBB119_163:
	s_and_saveexec_b32 s4, s1
	s_cbranch_execz .LBB119_167
; %bb.164:
	v_mov_b32_e32 v137, 0
	v_subrev_nc_u32_e32 v138, 39, v0
	s_movk_i32 s5, 0x2f8
	s_mov_b32 s1, 0
	s_delay_alu instid0(VALU_DEP_2)
	v_add_nc_u32_e32 v137, 0x138, v137
.LBB119_165:                            ; =>This Inner Loop Header: Depth=1
	scratch_load_b64 v[139:140], v137, off
	v_dual_mov_b32 v141, s5 :: v_dual_add_nc_u32 v138, -1, v138
	v_add_nc_u32_e32 v137, 8, v137
	s_add_i32 s5, s5, 8
	ds_load_b64 v[141:142], v141
	v_cmp_eq_u32_e32 vcc_lo, 0, v138
	s_or_b32 s1, vcc_lo, s1
	s_waitcnt vmcnt(0) lgkmcnt(0)
	v_fma_f64 v[113:114], v[139:140], v[141:142], v[113:114]
	s_and_not1_b32 exec_lo, exec_lo, s1
	s_cbranch_execnz .LBB119_165
; %bb.166:
	s_or_b32 exec_lo, exec_lo, s1
.LBB119_167:
	s_delay_alu instid0(SALU_CYCLE_1)
	s_or_b32 exec_lo, exec_lo, s4
	v_mov_b32_e32 v137, 0
	ds_load_b64 v[137:138], v137 offset:304
	s_waitcnt lgkmcnt(0)
	v_mul_f64 v[113:114], v[113:114], v[137:138]
	scratch_store_b64 off, v[113:114], off offset:304
.LBB119_168:
	s_or_b32 exec_lo, exec_lo, s3
	scratch_load_b64 v[113:114], off, off offset:296
	v_cmp_lt_u32_e64 s1, 37, v0
	s_waitcnt vmcnt(0)
	ds_store_b64 v116, v[113:114]
	s_waitcnt lgkmcnt(0)
	s_waitcnt_vscnt null, 0x0
	s_barrier
	buffer_gl0_inv
	s_and_saveexec_b32 s3, s1
	s_cbranch_execz .LBB119_178
; %bb.169:
	s_and_not1_b32 vcc_lo, exec_lo, s2
	s_cbranch_vccnz .LBB119_171
; %bb.170:
	scratch_load_b64 v[113:114], v117, off
	ds_load_b64 v[137:138], v116
	s_waitcnt vmcnt(0) lgkmcnt(0)
	v_mul_f64 v[113:114], v[113:114], v[137:138]
	s_cbranch_execz .LBB119_172
	s_branch .LBB119_173
.LBB119_171:
                                        ; implicit-def: $vgpr113_vgpr114
.LBB119_172:
	ds_load_b64 v[113:114], v116
.LBB119_173:
	s_and_saveexec_b32 s4, s0
	s_cbranch_execz .LBB119_177
; %bb.174:
	v_subrev_nc_u32_e32 v137, 38, v0
	s_movk_i32 s5, 0x2f0
	s_mov_b32 s0, 0
.LBB119_175:                            ; =>This Inner Loop Header: Depth=1
	scratch_load_b64 v[138:139], v136, off
	v_dual_mov_b32 v140, s5 :: v_dual_add_nc_u32 v137, -1, v137
	v_add_nc_u32_e32 v136, 8, v136
	s_add_i32 s5, s5, 8
	ds_load_b64 v[140:141], v140
	v_cmp_eq_u32_e32 vcc_lo, 0, v137
	s_or_b32 s0, vcc_lo, s0
	s_waitcnt vmcnt(0) lgkmcnt(0)
	v_fma_f64 v[113:114], v[138:139], v[140:141], v[113:114]
	s_and_not1_b32 exec_lo, exec_lo, s0
	s_cbranch_execnz .LBB119_175
; %bb.176:
	s_or_b32 exec_lo, exec_lo, s0
.LBB119_177:
	s_delay_alu instid0(SALU_CYCLE_1)
	s_or_b32 exec_lo, exec_lo, s4
	v_mov_b32_e32 v136, 0
	ds_load_b64 v[136:137], v136 offset:296
	s_waitcnt lgkmcnt(0)
	v_mul_f64 v[113:114], v[113:114], v[136:137]
	scratch_store_b64 off, v[113:114], off offset:296
.LBB119_178:
	s_or_b32 exec_lo, exec_lo, s3
	scratch_load_b64 v[113:114], off, off offset:288
	v_cmp_lt_u32_e64 s0, 36, v0
	s_waitcnt vmcnt(0)
	ds_store_b64 v116, v[113:114]
	s_waitcnt lgkmcnt(0)
	s_waitcnt_vscnt null, 0x0
	s_barrier
	buffer_gl0_inv
	s_and_saveexec_b32 s3, s0
	s_cbranch_execz .LBB119_188
; %bb.179:
	s_and_not1_b32 vcc_lo, exec_lo, s2
	s_cbranch_vccnz .LBB119_181
; %bb.180:
	scratch_load_b64 v[113:114], v117, off
	ds_load_b64 v[136:137], v116
	s_waitcnt vmcnt(0) lgkmcnt(0)
	v_mul_f64 v[113:114], v[113:114], v[136:137]
	s_cbranch_execz .LBB119_182
	s_branch .LBB119_183
.LBB119_181:
                                        ; implicit-def: $vgpr113_vgpr114
.LBB119_182:
	ds_load_b64 v[113:114], v116
.LBB119_183:
	s_and_saveexec_b32 s4, s1
	s_cbranch_execz .LBB119_187
; %bb.184:
	v_mov_b32_e32 v136, 0
	v_subrev_nc_u32_e32 v137, 37, v0
	s_movk_i32 s5, 0x2e8
	s_mov_b32 s1, 0
	s_delay_alu instid0(VALU_DEP_2)
	v_add_nc_u32_e32 v136, 0x128, v136
.LBB119_185:                            ; =>This Inner Loop Header: Depth=1
	scratch_load_b64 v[138:139], v136, off
	v_dual_mov_b32 v140, s5 :: v_dual_add_nc_u32 v137, -1, v137
	v_add_nc_u32_e32 v136, 8, v136
	s_add_i32 s5, s5, 8
	ds_load_b64 v[140:141], v140
	v_cmp_eq_u32_e32 vcc_lo, 0, v137
	s_or_b32 s1, vcc_lo, s1
	s_waitcnt vmcnt(0) lgkmcnt(0)
	v_fma_f64 v[113:114], v[138:139], v[140:141], v[113:114]
	s_and_not1_b32 exec_lo, exec_lo, s1
	s_cbranch_execnz .LBB119_185
; %bb.186:
	s_or_b32 exec_lo, exec_lo, s1
.LBB119_187:
	s_delay_alu instid0(SALU_CYCLE_1)
	s_or_b32 exec_lo, exec_lo, s4
	v_mov_b32_e32 v136, 0
	ds_load_b64 v[136:137], v136 offset:288
	s_waitcnt lgkmcnt(0)
	v_mul_f64 v[113:114], v[113:114], v[136:137]
	scratch_store_b64 off, v[113:114], off offset:288
.LBB119_188:
	s_or_b32 exec_lo, exec_lo, s3
	scratch_load_b64 v[113:114], off, off offset:280
	v_cmp_lt_u32_e64 s1, 35, v0
	s_waitcnt vmcnt(0)
	ds_store_b64 v116, v[113:114]
	s_waitcnt lgkmcnt(0)
	s_waitcnt_vscnt null, 0x0
	s_barrier
	buffer_gl0_inv
	s_and_saveexec_b32 s3, s1
	s_cbranch_execz .LBB119_198
; %bb.189:
	s_and_not1_b32 vcc_lo, exec_lo, s2
	s_cbranch_vccnz .LBB119_191
; %bb.190:
	scratch_load_b64 v[113:114], v117, off
	ds_load_b64 v[136:137], v116
	s_waitcnt vmcnt(0) lgkmcnt(0)
	v_mul_f64 v[113:114], v[113:114], v[136:137]
	s_cbranch_execz .LBB119_192
	s_branch .LBB119_193
.LBB119_191:
                                        ; implicit-def: $vgpr113_vgpr114
.LBB119_192:
	ds_load_b64 v[113:114], v116
.LBB119_193:
	s_and_saveexec_b32 s4, s0
	s_cbranch_execz .LBB119_197
; %bb.194:
	v_subrev_nc_u32_e32 v136, 36, v0
	s_movk_i32 s5, 0x2e0
	s_mov_b32 s0, 0
.LBB119_195:                            ; =>This Inner Loop Header: Depth=1
	scratch_load_b64 v[137:138], v135, off
	v_dual_mov_b32 v139, s5 :: v_dual_add_nc_u32 v136, -1, v136
	v_add_nc_u32_e32 v135, 8, v135
	s_add_i32 s5, s5, 8
	ds_load_b64 v[139:140], v139
	v_cmp_eq_u32_e32 vcc_lo, 0, v136
	s_or_b32 s0, vcc_lo, s0
	s_waitcnt vmcnt(0) lgkmcnt(0)
	v_fma_f64 v[113:114], v[137:138], v[139:140], v[113:114]
	s_and_not1_b32 exec_lo, exec_lo, s0
	s_cbranch_execnz .LBB119_195
; %bb.196:
	s_or_b32 exec_lo, exec_lo, s0
.LBB119_197:
	s_delay_alu instid0(SALU_CYCLE_1)
	s_or_b32 exec_lo, exec_lo, s4
	v_mov_b32_e32 v135, 0
	ds_load_b64 v[135:136], v135 offset:280
	s_waitcnt lgkmcnt(0)
	v_mul_f64 v[113:114], v[113:114], v[135:136]
	scratch_store_b64 off, v[113:114], off offset:280
.LBB119_198:
	s_or_b32 exec_lo, exec_lo, s3
	scratch_load_b64 v[113:114], off, off offset:272
	v_cmp_lt_u32_e64 s0, 34, v0
	s_waitcnt vmcnt(0)
	ds_store_b64 v116, v[113:114]
	s_waitcnt lgkmcnt(0)
	s_waitcnt_vscnt null, 0x0
	s_barrier
	buffer_gl0_inv
	s_and_saveexec_b32 s3, s0
	s_cbranch_execz .LBB119_208
; %bb.199:
	s_and_not1_b32 vcc_lo, exec_lo, s2
	s_cbranch_vccnz .LBB119_201
; %bb.200:
	scratch_load_b64 v[113:114], v117, off
	ds_load_b64 v[135:136], v116
	s_waitcnt vmcnt(0) lgkmcnt(0)
	v_mul_f64 v[113:114], v[113:114], v[135:136]
	s_cbranch_execz .LBB119_202
	s_branch .LBB119_203
.LBB119_201:
                                        ; implicit-def: $vgpr113_vgpr114
.LBB119_202:
	ds_load_b64 v[113:114], v116
.LBB119_203:
	s_and_saveexec_b32 s4, s1
	s_cbranch_execz .LBB119_207
; %bb.204:
	v_mov_b32_e32 v135, 0
	v_subrev_nc_u32_e32 v136, 35, v0
	s_movk_i32 s5, 0x2d8
	s_mov_b32 s1, 0
	s_delay_alu instid0(VALU_DEP_2)
	v_add_nc_u32_e32 v135, 0x118, v135
.LBB119_205:                            ; =>This Inner Loop Header: Depth=1
	scratch_load_b64 v[137:138], v135, off
	v_dual_mov_b32 v139, s5 :: v_dual_add_nc_u32 v136, -1, v136
	v_add_nc_u32_e32 v135, 8, v135
	s_add_i32 s5, s5, 8
	ds_load_b64 v[139:140], v139
	v_cmp_eq_u32_e32 vcc_lo, 0, v136
	s_or_b32 s1, vcc_lo, s1
	s_waitcnt vmcnt(0) lgkmcnt(0)
	v_fma_f64 v[113:114], v[137:138], v[139:140], v[113:114]
	s_and_not1_b32 exec_lo, exec_lo, s1
	s_cbranch_execnz .LBB119_205
; %bb.206:
	s_or_b32 exec_lo, exec_lo, s1
.LBB119_207:
	s_delay_alu instid0(SALU_CYCLE_1)
	s_or_b32 exec_lo, exec_lo, s4
	v_mov_b32_e32 v135, 0
	ds_load_b64 v[135:136], v135 offset:272
	s_waitcnt lgkmcnt(0)
	v_mul_f64 v[113:114], v[113:114], v[135:136]
	scratch_store_b64 off, v[113:114], off offset:272
.LBB119_208:
	s_or_b32 exec_lo, exec_lo, s3
	scratch_load_b64 v[113:114], off, off offset:264
	v_cmp_lt_u32_e64 s1, 33, v0
	s_waitcnt vmcnt(0)
	ds_store_b64 v116, v[113:114]
	s_waitcnt lgkmcnt(0)
	s_waitcnt_vscnt null, 0x0
	s_barrier
	buffer_gl0_inv
	s_and_saveexec_b32 s3, s1
	s_cbranch_execz .LBB119_218
; %bb.209:
	s_and_not1_b32 vcc_lo, exec_lo, s2
	s_cbranch_vccnz .LBB119_211
; %bb.210:
	scratch_load_b64 v[113:114], v117, off
	ds_load_b64 v[135:136], v116
	s_waitcnt vmcnt(0) lgkmcnt(0)
	v_mul_f64 v[113:114], v[113:114], v[135:136]
	s_cbranch_execz .LBB119_212
	s_branch .LBB119_213
.LBB119_211:
                                        ; implicit-def: $vgpr113_vgpr114
.LBB119_212:
	ds_load_b64 v[113:114], v116
.LBB119_213:
	s_and_saveexec_b32 s4, s0
	s_cbranch_execz .LBB119_217
; %bb.214:
	v_subrev_nc_u32_e32 v135, 34, v0
	s_movk_i32 s5, 0x2d0
	s_mov_b32 s0, 0
.LBB119_215:                            ; =>This Inner Loop Header: Depth=1
	scratch_load_b64 v[136:137], v134, off
	v_dual_mov_b32 v138, s5 :: v_dual_add_nc_u32 v135, -1, v135
	v_add_nc_u32_e32 v134, 8, v134
	s_add_i32 s5, s5, 8
	ds_load_b64 v[138:139], v138
	v_cmp_eq_u32_e32 vcc_lo, 0, v135
	s_or_b32 s0, vcc_lo, s0
	s_waitcnt vmcnt(0) lgkmcnt(0)
	v_fma_f64 v[113:114], v[136:137], v[138:139], v[113:114]
	s_and_not1_b32 exec_lo, exec_lo, s0
	s_cbranch_execnz .LBB119_215
; %bb.216:
	s_or_b32 exec_lo, exec_lo, s0
.LBB119_217:
	s_delay_alu instid0(SALU_CYCLE_1)
	s_or_b32 exec_lo, exec_lo, s4
	v_mov_b32_e32 v134, 0
	ds_load_b64 v[134:135], v134 offset:264
	s_waitcnt lgkmcnt(0)
	v_mul_f64 v[113:114], v[113:114], v[134:135]
	scratch_store_b64 off, v[113:114], off offset:264
.LBB119_218:
	s_or_b32 exec_lo, exec_lo, s3
	scratch_load_b64 v[113:114], off, off offset:256
	v_cmp_lt_u32_e64 s0, 32, v0
	s_waitcnt vmcnt(0)
	ds_store_b64 v116, v[113:114]
	s_waitcnt lgkmcnt(0)
	s_waitcnt_vscnt null, 0x0
	s_barrier
	buffer_gl0_inv
	s_and_saveexec_b32 s3, s0
	s_cbranch_execz .LBB119_228
; %bb.219:
	s_and_not1_b32 vcc_lo, exec_lo, s2
	s_cbranch_vccnz .LBB119_221
; %bb.220:
	scratch_load_b64 v[113:114], v117, off
	ds_load_b64 v[134:135], v116
	s_waitcnt vmcnt(0) lgkmcnt(0)
	v_mul_f64 v[113:114], v[113:114], v[134:135]
	s_cbranch_execz .LBB119_222
	s_branch .LBB119_223
.LBB119_221:
                                        ; implicit-def: $vgpr113_vgpr114
.LBB119_222:
	ds_load_b64 v[113:114], v116
.LBB119_223:
	s_and_saveexec_b32 s4, s1
	s_cbranch_execz .LBB119_227
; %bb.224:
	v_mov_b32_e32 v134, 0
	v_subrev_nc_u32_e32 v135, 33, v0
	s_movk_i32 s5, 0x2c8
	s_mov_b32 s1, 0
	s_delay_alu instid0(VALU_DEP_2)
	v_add_nc_u32_e32 v134, 0x108, v134
.LBB119_225:                            ; =>This Inner Loop Header: Depth=1
	scratch_load_b64 v[136:137], v134, off
	v_dual_mov_b32 v138, s5 :: v_dual_add_nc_u32 v135, -1, v135
	v_add_nc_u32_e32 v134, 8, v134
	s_add_i32 s5, s5, 8
	ds_load_b64 v[138:139], v138
	v_cmp_eq_u32_e32 vcc_lo, 0, v135
	s_or_b32 s1, vcc_lo, s1
	s_waitcnt vmcnt(0) lgkmcnt(0)
	v_fma_f64 v[113:114], v[136:137], v[138:139], v[113:114]
	s_and_not1_b32 exec_lo, exec_lo, s1
	s_cbranch_execnz .LBB119_225
; %bb.226:
	s_or_b32 exec_lo, exec_lo, s1
.LBB119_227:
	s_delay_alu instid0(SALU_CYCLE_1)
	s_or_b32 exec_lo, exec_lo, s4
	v_mov_b32_e32 v134, 0
	ds_load_b64 v[134:135], v134 offset:256
	s_waitcnt lgkmcnt(0)
	v_mul_f64 v[113:114], v[113:114], v[134:135]
	scratch_store_b64 off, v[113:114], off offset:256
.LBB119_228:
	s_or_b32 exec_lo, exec_lo, s3
	scratch_load_b64 v[113:114], off, off offset:248
	v_cmp_lt_u32_e64 s1, 31, v0
	s_waitcnt vmcnt(0)
	ds_store_b64 v116, v[113:114]
	s_waitcnt lgkmcnt(0)
	s_waitcnt_vscnt null, 0x0
	s_barrier
	buffer_gl0_inv
	s_and_saveexec_b32 s3, s1
	s_cbranch_execz .LBB119_238
; %bb.229:
	s_and_not1_b32 vcc_lo, exec_lo, s2
	s_cbranch_vccnz .LBB119_231
; %bb.230:
	scratch_load_b64 v[113:114], v117, off
	ds_load_b64 v[134:135], v116
	s_waitcnt vmcnt(0) lgkmcnt(0)
	v_mul_f64 v[113:114], v[113:114], v[134:135]
	s_cbranch_execz .LBB119_232
	s_branch .LBB119_233
.LBB119_231:
                                        ; implicit-def: $vgpr113_vgpr114
.LBB119_232:
	ds_load_b64 v[113:114], v116
.LBB119_233:
	s_and_saveexec_b32 s4, s0
	s_cbranch_execz .LBB119_237
; %bb.234:
	v_subrev_nc_u32_e32 v134, 32, v0
	s_movk_i32 s5, 0x2c0
	s_mov_b32 s0, 0
.LBB119_235:                            ; =>This Inner Loop Header: Depth=1
	scratch_load_b64 v[135:136], v133, off
	v_dual_mov_b32 v137, s5 :: v_dual_add_nc_u32 v134, -1, v134
	v_add_nc_u32_e32 v133, 8, v133
	s_add_i32 s5, s5, 8
	ds_load_b64 v[137:138], v137
	v_cmp_eq_u32_e32 vcc_lo, 0, v134
	s_or_b32 s0, vcc_lo, s0
	s_waitcnt vmcnt(0) lgkmcnt(0)
	v_fma_f64 v[113:114], v[135:136], v[137:138], v[113:114]
	s_and_not1_b32 exec_lo, exec_lo, s0
	s_cbranch_execnz .LBB119_235
; %bb.236:
	s_or_b32 exec_lo, exec_lo, s0
.LBB119_237:
	s_delay_alu instid0(SALU_CYCLE_1)
	s_or_b32 exec_lo, exec_lo, s4
	v_mov_b32_e32 v133, 0
	ds_load_b64 v[133:134], v133 offset:248
	s_waitcnt lgkmcnt(0)
	v_mul_f64 v[113:114], v[113:114], v[133:134]
	scratch_store_b64 off, v[113:114], off offset:248
.LBB119_238:
	s_or_b32 exec_lo, exec_lo, s3
	scratch_load_b64 v[113:114], off, off offset:240
	v_cmp_lt_u32_e64 s0, 30, v0
	s_waitcnt vmcnt(0)
	ds_store_b64 v116, v[113:114]
	s_waitcnt lgkmcnt(0)
	s_waitcnt_vscnt null, 0x0
	s_barrier
	buffer_gl0_inv
	s_and_saveexec_b32 s3, s0
	s_cbranch_execz .LBB119_248
; %bb.239:
	s_and_not1_b32 vcc_lo, exec_lo, s2
	s_cbranch_vccnz .LBB119_241
; %bb.240:
	scratch_load_b64 v[113:114], v117, off
	ds_load_b64 v[133:134], v116
	s_waitcnt vmcnt(0) lgkmcnt(0)
	v_mul_f64 v[113:114], v[113:114], v[133:134]
	s_cbranch_execz .LBB119_242
	s_branch .LBB119_243
.LBB119_241:
                                        ; implicit-def: $vgpr113_vgpr114
.LBB119_242:
	ds_load_b64 v[113:114], v116
.LBB119_243:
	s_and_saveexec_b32 s4, s1
	s_cbranch_execz .LBB119_247
; %bb.244:
	v_mov_b32_e32 v133, 0
	v_subrev_nc_u32_e32 v134, 31, v0
	s_movk_i32 s5, 0x2b8
	s_mov_b32 s1, 0
	s_delay_alu instid0(VALU_DEP_2)
	v_add_nc_u32_e32 v133, 0xf8, v133
.LBB119_245:                            ; =>This Inner Loop Header: Depth=1
	scratch_load_b64 v[135:136], v133, off
	v_dual_mov_b32 v137, s5 :: v_dual_add_nc_u32 v134, -1, v134
	v_add_nc_u32_e32 v133, 8, v133
	s_add_i32 s5, s5, 8
	ds_load_b64 v[137:138], v137
	v_cmp_eq_u32_e32 vcc_lo, 0, v134
	s_or_b32 s1, vcc_lo, s1
	s_waitcnt vmcnt(0) lgkmcnt(0)
	v_fma_f64 v[113:114], v[135:136], v[137:138], v[113:114]
	s_and_not1_b32 exec_lo, exec_lo, s1
	s_cbranch_execnz .LBB119_245
; %bb.246:
	s_or_b32 exec_lo, exec_lo, s1
.LBB119_247:
	s_delay_alu instid0(SALU_CYCLE_1)
	s_or_b32 exec_lo, exec_lo, s4
	v_mov_b32_e32 v133, 0
	ds_load_b64 v[133:134], v133 offset:240
	s_waitcnt lgkmcnt(0)
	v_mul_f64 v[113:114], v[113:114], v[133:134]
	scratch_store_b64 off, v[113:114], off offset:240
.LBB119_248:
	s_or_b32 exec_lo, exec_lo, s3
	scratch_load_b64 v[113:114], off, off offset:232
	v_cmp_lt_u32_e64 s1, 29, v0
	s_waitcnt vmcnt(0)
	ds_store_b64 v116, v[113:114]
	s_waitcnt lgkmcnt(0)
	s_waitcnt_vscnt null, 0x0
	s_barrier
	buffer_gl0_inv
	s_and_saveexec_b32 s3, s1
	s_cbranch_execz .LBB119_258
; %bb.249:
	s_and_not1_b32 vcc_lo, exec_lo, s2
	s_cbranch_vccnz .LBB119_251
; %bb.250:
	scratch_load_b64 v[113:114], v117, off
	ds_load_b64 v[133:134], v116
	s_waitcnt vmcnt(0) lgkmcnt(0)
	v_mul_f64 v[113:114], v[113:114], v[133:134]
	s_cbranch_execz .LBB119_252
	s_branch .LBB119_253
.LBB119_251:
                                        ; implicit-def: $vgpr113_vgpr114
.LBB119_252:
	ds_load_b64 v[113:114], v116
.LBB119_253:
	s_and_saveexec_b32 s4, s0
	s_cbranch_execz .LBB119_257
; %bb.254:
	v_subrev_nc_u32_e32 v133, 30, v0
	s_movk_i32 s5, 0x2b0
	s_mov_b32 s0, 0
.LBB119_255:                            ; =>This Inner Loop Header: Depth=1
	scratch_load_b64 v[134:135], v132, off
	v_dual_mov_b32 v136, s5 :: v_dual_add_nc_u32 v133, -1, v133
	v_add_nc_u32_e32 v132, 8, v132
	s_add_i32 s5, s5, 8
	ds_load_b64 v[136:137], v136
	v_cmp_eq_u32_e32 vcc_lo, 0, v133
	s_or_b32 s0, vcc_lo, s0
	s_waitcnt vmcnt(0) lgkmcnt(0)
	v_fma_f64 v[113:114], v[134:135], v[136:137], v[113:114]
	s_and_not1_b32 exec_lo, exec_lo, s0
	s_cbranch_execnz .LBB119_255
; %bb.256:
	s_or_b32 exec_lo, exec_lo, s0
.LBB119_257:
	s_delay_alu instid0(SALU_CYCLE_1)
	s_or_b32 exec_lo, exec_lo, s4
	v_mov_b32_e32 v132, 0
	ds_load_b64 v[132:133], v132 offset:232
	s_waitcnt lgkmcnt(0)
	v_mul_f64 v[113:114], v[113:114], v[132:133]
	scratch_store_b64 off, v[113:114], off offset:232
.LBB119_258:
	s_or_b32 exec_lo, exec_lo, s3
	scratch_load_b64 v[113:114], off, off offset:224
	v_cmp_lt_u32_e64 s0, 28, v0
	s_waitcnt vmcnt(0)
	ds_store_b64 v116, v[113:114]
	s_waitcnt lgkmcnt(0)
	s_waitcnt_vscnt null, 0x0
	s_barrier
	buffer_gl0_inv
	s_and_saveexec_b32 s3, s0
	s_cbranch_execz .LBB119_268
; %bb.259:
	s_and_not1_b32 vcc_lo, exec_lo, s2
	s_cbranch_vccnz .LBB119_261
; %bb.260:
	scratch_load_b64 v[113:114], v117, off
	ds_load_b64 v[132:133], v116
	s_waitcnt vmcnt(0) lgkmcnt(0)
	v_mul_f64 v[113:114], v[113:114], v[132:133]
	s_cbranch_execz .LBB119_262
	s_branch .LBB119_263
.LBB119_261:
                                        ; implicit-def: $vgpr113_vgpr114
.LBB119_262:
	ds_load_b64 v[113:114], v116
.LBB119_263:
	s_and_saveexec_b32 s4, s1
	s_cbranch_execz .LBB119_267
; %bb.264:
	v_mov_b32_e32 v132, 0
	v_subrev_nc_u32_e32 v133, 29, v0
	s_movk_i32 s5, 0x2a8
	s_mov_b32 s1, 0
	s_delay_alu instid0(VALU_DEP_2)
	v_add_nc_u32_e32 v132, 0xe8, v132
.LBB119_265:                            ; =>This Inner Loop Header: Depth=1
	scratch_load_b64 v[134:135], v132, off
	v_dual_mov_b32 v136, s5 :: v_dual_add_nc_u32 v133, -1, v133
	v_add_nc_u32_e32 v132, 8, v132
	s_add_i32 s5, s5, 8
	ds_load_b64 v[136:137], v136
	v_cmp_eq_u32_e32 vcc_lo, 0, v133
	s_or_b32 s1, vcc_lo, s1
	s_waitcnt vmcnt(0) lgkmcnt(0)
	v_fma_f64 v[113:114], v[134:135], v[136:137], v[113:114]
	s_and_not1_b32 exec_lo, exec_lo, s1
	s_cbranch_execnz .LBB119_265
; %bb.266:
	s_or_b32 exec_lo, exec_lo, s1
.LBB119_267:
	s_delay_alu instid0(SALU_CYCLE_1)
	s_or_b32 exec_lo, exec_lo, s4
	v_mov_b32_e32 v132, 0
	ds_load_b64 v[132:133], v132 offset:224
	s_waitcnt lgkmcnt(0)
	v_mul_f64 v[113:114], v[113:114], v[132:133]
	scratch_store_b64 off, v[113:114], off offset:224
.LBB119_268:
	s_or_b32 exec_lo, exec_lo, s3
	scratch_load_b64 v[113:114], off, off offset:216
	v_cmp_lt_u32_e64 s1, 27, v0
	s_waitcnt vmcnt(0)
	ds_store_b64 v116, v[113:114]
	s_waitcnt lgkmcnt(0)
	s_waitcnt_vscnt null, 0x0
	s_barrier
	buffer_gl0_inv
	s_and_saveexec_b32 s3, s1
	s_cbranch_execz .LBB119_278
; %bb.269:
	s_and_not1_b32 vcc_lo, exec_lo, s2
	s_cbranch_vccnz .LBB119_271
; %bb.270:
	scratch_load_b64 v[113:114], v117, off
	ds_load_b64 v[132:133], v116
	s_waitcnt vmcnt(0) lgkmcnt(0)
	v_mul_f64 v[113:114], v[113:114], v[132:133]
	s_cbranch_execz .LBB119_272
	s_branch .LBB119_273
.LBB119_271:
                                        ; implicit-def: $vgpr113_vgpr114
.LBB119_272:
	ds_load_b64 v[113:114], v116
.LBB119_273:
	s_and_saveexec_b32 s4, s0
	s_cbranch_execz .LBB119_277
; %bb.274:
	v_subrev_nc_u32_e32 v132, 28, v0
	s_movk_i32 s5, 0x2a0
	s_mov_b32 s0, 0
.LBB119_275:                            ; =>This Inner Loop Header: Depth=1
	scratch_load_b64 v[133:134], v131, off
	v_dual_mov_b32 v135, s5 :: v_dual_add_nc_u32 v132, -1, v132
	v_add_nc_u32_e32 v131, 8, v131
	s_add_i32 s5, s5, 8
	ds_load_b64 v[135:136], v135
	v_cmp_eq_u32_e32 vcc_lo, 0, v132
	s_or_b32 s0, vcc_lo, s0
	s_waitcnt vmcnt(0) lgkmcnt(0)
	v_fma_f64 v[113:114], v[133:134], v[135:136], v[113:114]
	s_and_not1_b32 exec_lo, exec_lo, s0
	s_cbranch_execnz .LBB119_275
; %bb.276:
	s_or_b32 exec_lo, exec_lo, s0
.LBB119_277:
	s_delay_alu instid0(SALU_CYCLE_1)
	s_or_b32 exec_lo, exec_lo, s4
	v_mov_b32_e32 v131, 0
	ds_load_b64 v[131:132], v131 offset:216
	s_waitcnt lgkmcnt(0)
	v_mul_f64 v[113:114], v[113:114], v[131:132]
	scratch_store_b64 off, v[113:114], off offset:216
.LBB119_278:
	s_or_b32 exec_lo, exec_lo, s3
	scratch_load_b64 v[113:114], off, off offset:208
	v_cmp_lt_u32_e64 s0, 26, v0
	s_waitcnt vmcnt(0)
	ds_store_b64 v116, v[113:114]
	s_waitcnt lgkmcnt(0)
	s_waitcnt_vscnt null, 0x0
	s_barrier
	buffer_gl0_inv
	s_and_saveexec_b32 s3, s0
	s_cbranch_execz .LBB119_288
; %bb.279:
	s_and_not1_b32 vcc_lo, exec_lo, s2
	s_cbranch_vccnz .LBB119_281
; %bb.280:
	scratch_load_b64 v[113:114], v117, off
	ds_load_b64 v[131:132], v116
	s_waitcnt vmcnt(0) lgkmcnt(0)
	v_mul_f64 v[113:114], v[113:114], v[131:132]
	s_cbranch_execz .LBB119_282
	s_branch .LBB119_283
.LBB119_281:
                                        ; implicit-def: $vgpr113_vgpr114
.LBB119_282:
	ds_load_b64 v[113:114], v116
.LBB119_283:
	s_and_saveexec_b32 s4, s1
	s_cbranch_execz .LBB119_287
; %bb.284:
	v_mov_b32_e32 v131, 0
	v_subrev_nc_u32_e32 v132, 27, v0
	s_movk_i32 s5, 0x298
	s_mov_b32 s1, 0
	s_delay_alu instid0(VALU_DEP_2)
	v_add_nc_u32_e32 v131, 0xd8, v131
.LBB119_285:                            ; =>This Inner Loop Header: Depth=1
	scratch_load_b64 v[133:134], v131, off
	v_dual_mov_b32 v135, s5 :: v_dual_add_nc_u32 v132, -1, v132
	v_add_nc_u32_e32 v131, 8, v131
	s_add_i32 s5, s5, 8
	ds_load_b64 v[135:136], v135
	v_cmp_eq_u32_e32 vcc_lo, 0, v132
	s_or_b32 s1, vcc_lo, s1
	s_waitcnt vmcnt(0) lgkmcnt(0)
	v_fma_f64 v[113:114], v[133:134], v[135:136], v[113:114]
	s_and_not1_b32 exec_lo, exec_lo, s1
	s_cbranch_execnz .LBB119_285
; %bb.286:
	s_or_b32 exec_lo, exec_lo, s1
.LBB119_287:
	s_delay_alu instid0(SALU_CYCLE_1)
	s_or_b32 exec_lo, exec_lo, s4
	v_mov_b32_e32 v131, 0
	ds_load_b64 v[131:132], v131 offset:208
	s_waitcnt lgkmcnt(0)
	v_mul_f64 v[113:114], v[113:114], v[131:132]
	scratch_store_b64 off, v[113:114], off offset:208
.LBB119_288:
	s_or_b32 exec_lo, exec_lo, s3
	scratch_load_b64 v[113:114], off, off offset:200
	v_cmp_lt_u32_e64 s1, 25, v0
	s_waitcnt vmcnt(0)
	ds_store_b64 v116, v[113:114]
	s_waitcnt lgkmcnt(0)
	s_waitcnt_vscnt null, 0x0
	s_barrier
	buffer_gl0_inv
	s_and_saveexec_b32 s3, s1
	s_cbranch_execz .LBB119_298
; %bb.289:
	s_and_not1_b32 vcc_lo, exec_lo, s2
	s_cbranch_vccnz .LBB119_291
; %bb.290:
	scratch_load_b64 v[113:114], v117, off
	ds_load_b64 v[131:132], v116
	s_waitcnt vmcnt(0) lgkmcnt(0)
	v_mul_f64 v[113:114], v[113:114], v[131:132]
	s_cbranch_execz .LBB119_292
	s_branch .LBB119_293
.LBB119_291:
                                        ; implicit-def: $vgpr113_vgpr114
.LBB119_292:
	ds_load_b64 v[113:114], v116
.LBB119_293:
	s_and_saveexec_b32 s4, s0
	s_cbranch_execz .LBB119_297
; %bb.294:
	v_subrev_nc_u32_e32 v131, 26, v0
	s_movk_i32 s5, 0x290
	s_mov_b32 s0, 0
.LBB119_295:                            ; =>This Inner Loop Header: Depth=1
	scratch_load_b64 v[132:133], v130, off
	v_dual_mov_b32 v134, s5 :: v_dual_add_nc_u32 v131, -1, v131
	v_add_nc_u32_e32 v130, 8, v130
	s_add_i32 s5, s5, 8
	ds_load_b64 v[134:135], v134
	v_cmp_eq_u32_e32 vcc_lo, 0, v131
	s_or_b32 s0, vcc_lo, s0
	s_waitcnt vmcnt(0) lgkmcnt(0)
	v_fma_f64 v[113:114], v[132:133], v[134:135], v[113:114]
	s_and_not1_b32 exec_lo, exec_lo, s0
	s_cbranch_execnz .LBB119_295
; %bb.296:
	s_or_b32 exec_lo, exec_lo, s0
.LBB119_297:
	s_delay_alu instid0(SALU_CYCLE_1)
	s_or_b32 exec_lo, exec_lo, s4
	v_mov_b32_e32 v130, 0
	ds_load_b64 v[130:131], v130 offset:200
	s_waitcnt lgkmcnt(0)
	v_mul_f64 v[113:114], v[113:114], v[130:131]
	scratch_store_b64 off, v[113:114], off offset:200
.LBB119_298:
	s_or_b32 exec_lo, exec_lo, s3
	scratch_load_b64 v[113:114], off, off offset:192
	v_cmp_lt_u32_e64 s0, 24, v0
	s_waitcnt vmcnt(0)
	ds_store_b64 v116, v[113:114]
	s_waitcnt lgkmcnt(0)
	s_waitcnt_vscnt null, 0x0
	s_barrier
	buffer_gl0_inv
	s_and_saveexec_b32 s3, s0
	s_cbranch_execz .LBB119_308
; %bb.299:
	s_and_not1_b32 vcc_lo, exec_lo, s2
	s_cbranch_vccnz .LBB119_301
; %bb.300:
	scratch_load_b64 v[113:114], v117, off
	ds_load_b64 v[130:131], v116
	s_waitcnt vmcnt(0) lgkmcnt(0)
	v_mul_f64 v[113:114], v[113:114], v[130:131]
	s_cbranch_execz .LBB119_302
	s_branch .LBB119_303
.LBB119_301:
                                        ; implicit-def: $vgpr113_vgpr114
.LBB119_302:
	ds_load_b64 v[113:114], v116
.LBB119_303:
	s_and_saveexec_b32 s4, s1
	s_cbranch_execz .LBB119_307
; %bb.304:
	v_mov_b32_e32 v130, 0
	v_subrev_nc_u32_e32 v131, 25, v0
	s_movk_i32 s5, 0x288
	s_mov_b32 s1, 0
	s_delay_alu instid0(VALU_DEP_2)
	v_add_nc_u32_e32 v130, 0xc8, v130
.LBB119_305:                            ; =>This Inner Loop Header: Depth=1
	scratch_load_b64 v[132:133], v130, off
	v_dual_mov_b32 v134, s5 :: v_dual_add_nc_u32 v131, -1, v131
	v_add_nc_u32_e32 v130, 8, v130
	s_add_i32 s5, s5, 8
	ds_load_b64 v[134:135], v134
	v_cmp_eq_u32_e32 vcc_lo, 0, v131
	s_or_b32 s1, vcc_lo, s1
	s_waitcnt vmcnt(0) lgkmcnt(0)
	v_fma_f64 v[113:114], v[132:133], v[134:135], v[113:114]
	s_and_not1_b32 exec_lo, exec_lo, s1
	s_cbranch_execnz .LBB119_305
; %bb.306:
	s_or_b32 exec_lo, exec_lo, s1
.LBB119_307:
	s_delay_alu instid0(SALU_CYCLE_1)
	s_or_b32 exec_lo, exec_lo, s4
	v_mov_b32_e32 v130, 0
	ds_load_b64 v[130:131], v130 offset:192
	s_waitcnt lgkmcnt(0)
	v_mul_f64 v[113:114], v[113:114], v[130:131]
	scratch_store_b64 off, v[113:114], off offset:192
.LBB119_308:
	s_or_b32 exec_lo, exec_lo, s3
	scratch_load_b64 v[113:114], off, off offset:184
	v_cmp_lt_u32_e64 s1, 23, v0
	s_waitcnt vmcnt(0)
	ds_store_b64 v116, v[113:114]
	s_waitcnt lgkmcnt(0)
	s_waitcnt_vscnt null, 0x0
	s_barrier
	buffer_gl0_inv
	s_and_saveexec_b32 s3, s1
	s_cbranch_execz .LBB119_318
; %bb.309:
	s_and_not1_b32 vcc_lo, exec_lo, s2
	s_cbranch_vccnz .LBB119_311
; %bb.310:
	scratch_load_b64 v[113:114], v117, off
	ds_load_b64 v[130:131], v116
	s_waitcnt vmcnt(0) lgkmcnt(0)
	v_mul_f64 v[113:114], v[113:114], v[130:131]
	s_cbranch_execz .LBB119_312
	s_branch .LBB119_313
.LBB119_311:
                                        ; implicit-def: $vgpr113_vgpr114
.LBB119_312:
	ds_load_b64 v[113:114], v116
.LBB119_313:
	s_and_saveexec_b32 s4, s0
	s_cbranch_execz .LBB119_317
; %bb.314:
	v_subrev_nc_u32_e32 v130, 24, v0
	s_movk_i32 s5, 0x280
	s_mov_b32 s0, 0
.LBB119_315:                            ; =>This Inner Loop Header: Depth=1
	scratch_load_b64 v[131:132], v129, off
	v_dual_mov_b32 v133, s5 :: v_dual_add_nc_u32 v130, -1, v130
	v_add_nc_u32_e32 v129, 8, v129
	s_add_i32 s5, s5, 8
	ds_load_b64 v[133:134], v133
	v_cmp_eq_u32_e32 vcc_lo, 0, v130
	s_or_b32 s0, vcc_lo, s0
	s_waitcnt vmcnt(0) lgkmcnt(0)
	v_fma_f64 v[113:114], v[131:132], v[133:134], v[113:114]
	s_and_not1_b32 exec_lo, exec_lo, s0
	s_cbranch_execnz .LBB119_315
; %bb.316:
	s_or_b32 exec_lo, exec_lo, s0
.LBB119_317:
	s_delay_alu instid0(SALU_CYCLE_1)
	s_or_b32 exec_lo, exec_lo, s4
	v_mov_b32_e32 v129, 0
	ds_load_b64 v[129:130], v129 offset:184
	s_waitcnt lgkmcnt(0)
	v_mul_f64 v[113:114], v[113:114], v[129:130]
	scratch_store_b64 off, v[113:114], off offset:184
.LBB119_318:
	s_or_b32 exec_lo, exec_lo, s3
	scratch_load_b64 v[113:114], off, off offset:176
	v_cmp_lt_u32_e64 s0, 22, v0
	s_waitcnt vmcnt(0)
	ds_store_b64 v116, v[113:114]
	s_waitcnt lgkmcnt(0)
	s_waitcnt_vscnt null, 0x0
	s_barrier
	buffer_gl0_inv
	s_and_saveexec_b32 s3, s0
	s_cbranch_execz .LBB119_328
; %bb.319:
	s_and_not1_b32 vcc_lo, exec_lo, s2
	s_cbranch_vccnz .LBB119_321
; %bb.320:
	scratch_load_b64 v[113:114], v117, off
	ds_load_b64 v[129:130], v116
	s_waitcnt vmcnt(0) lgkmcnt(0)
	v_mul_f64 v[113:114], v[113:114], v[129:130]
	s_cbranch_execz .LBB119_322
	s_branch .LBB119_323
.LBB119_321:
                                        ; implicit-def: $vgpr113_vgpr114
.LBB119_322:
	ds_load_b64 v[113:114], v116
.LBB119_323:
	s_and_saveexec_b32 s4, s1
	s_cbranch_execz .LBB119_327
; %bb.324:
	v_mov_b32_e32 v129, 0
	v_subrev_nc_u32_e32 v130, 23, v0
	s_movk_i32 s5, 0x278
	s_mov_b32 s1, 0
	s_delay_alu instid0(VALU_DEP_2)
	v_add_nc_u32_e32 v129, 0xb8, v129
.LBB119_325:                            ; =>This Inner Loop Header: Depth=1
	scratch_load_b64 v[131:132], v129, off
	v_dual_mov_b32 v133, s5 :: v_dual_add_nc_u32 v130, -1, v130
	v_add_nc_u32_e32 v129, 8, v129
	s_add_i32 s5, s5, 8
	ds_load_b64 v[133:134], v133
	v_cmp_eq_u32_e32 vcc_lo, 0, v130
	s_or_b32 s1, vcc_lo, s1
	s_waitcnt vmcnt(0) lgkmcnt(0)
	v_fma_f64 v[113:114], v[131:132], v[133:134], v[113:114]
	s_and_not1_b32 exec_lo, exec_lo, s1
	s_cbranch_execnz .LBB119_325
; %bb.326:
	s_or_b32 exec_lo, exec_lo, s1
.LBB119_327:
	s_delay_alu instid0(SALU_CYCLE_1)
	s_or_b32 exec_lo, exec_lo, s4
	v_mov_b32_e32 v129, 0
	ds_load_b64 v[129:130], v129 offset:176
	s_waitcnt lgkmcnt(0)
	v_mul_f64 v[113:114], v[113:114], v[129:130]
	scratch_store_b64 off, v[113:114], off offset:176
.LBB119_328:
	s_or_b32 exec_lo, exec_lo, s3
	scratch_load_b64 v[113:114], off, off offset:168
	v_cmp_lt_u32_e64 s1, 21, v0
	s_waitcnt vmcnt(0)
	ds_store_b64 v116, v[113:114]
	s_waitcnt lgkmcnt(0)
	s_waitcnt_vscnt null, 0x0
	s_barrier
	buffer_gl0_inv
	s_and_saveexec_b32 s3, s1
	s_cbranch_execz .LBB119_338
; %bb.329:
	s_and_not1_b32 vcc_lo, exec_lo, s2
	s_cbranch_vccnz .LBB119_331
; %bb.330:
	scratch_load_b64 v[113:114], v117, off
	ds_load_b64 v[129:130], v116
	s_waitcnt vmcnt(0) lgkmcnt(0)
	v_mul_f64 v[113:114], v[113:114], v[129:130]
	s_cbranch_execz .LBB119_332
	s_branch .LBB119_333
.LBB119_331:
                                        ; implicit-def: $vgpr113_vgpr114
.LBB119_332:
	ds_load_b64 v[113:114], v116
.LBB119_333:
	s_and_saveexec_b32 s4, s0
	s_cbranch_execz .LBB119_337
; %bb.334:
	v_subrev_nc_u32_e32 v129, 22, v0
	s_movk_i32 s5, 0x270
	s_mov_b32 s0, 0
.LBB119_335:                            ; =>This Inner Loop Header: Depth=1
	scratch_load_b64 v[130:131], v128, off
	v_dual_mov_b32 v132, s5 :: v_dual_add_nc_u32 v129, -1, v129
	v_add_nc_u32_e32 v128, 8, v128
	s_add_i32 s5, s5, 8
	ds_load_b64 v[132:133], v132
	v_cmp_eq_u32_e32 vcc_lo, 0, v129
	s_or_b32 s0, vcc_lo, s0
	s_waitcnt vmcnt(0) lgkmcnt(0)
	v_fma_f64 v[113:114], v[130:131], v[132:133], v[113:114]
	s_and_not1_b32 exec_lo, exec_lo, s0
	s_cbranch_execnz .LBB119_335
; %bb.336:
	s_or_b32 exec_lo, exec_lo, s0
.LBB119_337:
	s_delay_alu instid0(SALU_CYCLE_1)
	s_or_b32 exec_lo, exec_lo, s4
	v_mov_b32_e32 v128, 0
	ds_load_b64 v[128:129], v128 offset:168
	s_waitcnt lgkmcnt(0)
	v_mul_f64 v[113:114], v[113:114], v[128:129]
	scratch_store_b64 off, v[113:114], off offset:168
.LBB119_338:
	s_or_b32 exec_lo, exec_lo, s3
	scratch_load_b64 v[113:114], off, off offset:160
	v_cmp_lt_u32_e64 s0, 20, v0
	s_waitcnt vmcnt(0)
	ds_store_b64 v116, v[113:114]
	s_waitcnt lgkmcnt(0)
	s_waitcnt_vscnt null, 0x0
	s_barrier
	buffer_gl0_inv
	s_and_saveexec_b32 s3, s0
	s_cbranch_execz .LBB119_348
; %bb.339:
	s_and_not1_b32 vcc_lo, exec_lo, s2
	s_cbranch_vccnz .LBB119_341
; %bb.340:
	scratch_load_b64 v[113:114], v117, off
	ds_load_b64 v[128:129], v116
	s_waitcnt vmcnt(0) lgkmcnt(0)
	v_mul_f64 v[113:114], v[113:114], v[128:129]
	s_cbranch_execz .LBB119_342
	s_branch .LBB119_343
.LBB119_341:
                                        ; implicit-def: $vgpr113_vgpr114
.LBB119_342:
	ds_load_b64 v[113:114], v116
.LBB119_343:
	s_and_saveexec_b32 s4, s1
	s_cbranch_execz .LBB119_347
; %bb.344:
	v_mov_b32_e32 v128, 0
	v_subrev_nc_u32_e32 v129, 21, v0
	s_movk_i32 s5, 0x268
	s_mov_b32 s1, 0
	s_delay_alu instid0(VALU_DEP_2)
	v_add_nc_u32_e32 v128, 0xa8, v128
.LBB119_345:                            ; =>This Inner Loop Header: Depth=1
	scratch_load_b64 v[130:131], v128, off
	v_dual_mov_b32 v132, s5 :: v_dual_add_nc_u32 v129, -1, v129
	v_add_nc_u32_e32 v128, 8, v128
	s_add_i32 s5, s5, 8
	ds_load_b64 v[132:133], v132
	v_cmp_eq_u32_e32 vcc_lo, 0, v129
	s_or_b32 s1, vcc_lo, s1
	s_waitcnt vmcnt(0) lgkmcnt(0)
	v_fma_f64 v[113:114], v[130:131], v[132:133], v[113:114]
	s_and_not1_b32 exec_lo, exec_lo, s1
	s_cbranch_execnz .LBB119_345
; %bb.346:
	s_or_b32 exec_lo, exec_lo, s1
.LBB119_347:
	s_delay_alu instid0(SALU_CYCLE_1)
	s_or_b32 exec_lo, exec_lo, s4
	v_mov_b32_e32 v128, 0
	ds_load_b64 v[128:129], v128 offset:160
	s_waitcnt lgkmcnt(0)
	v_mul_f64 v[113:114], v[113:114], v[128:129]
	scratch_store_b64 off, v[113:114], off offset:160
.LBB119_348:
	s_or_b32 exec_lo, exec_lo, s3
	scratch_load_b64 v[113:114], off, off offset:152
	v_cmp_lt_u32_e64 s1, 19, v0
	s_waitcnt vmcnt(0)
	ds_store_b64 v116, v[113:114]
	s_waitcnt lgkmcnt(0)
	s_waitcnt_vscnt null, 0x0
	s_barrier
	buffer_gl0_inv
	s_and_saveexec_b32 s3, s1
	s_cbranch_execz .LBB119_358
; %bb.349:
	s_and_not1_b32 vcc_lo, exec_lo, s2
	s_cbranch_vccnz .LBB119_351
; %bb.350:
	scratch_load_b64 v[113:114], v117, off
	ds_load_b64 v[128:129], v116
	s_waitcnt vmcnt(0) lgkmcnt(0)
	v_mul_f64 v[113:114], v[113:114], v[128:129]
	s_cbranch_execz .LBB119_352
	s_branch .LBB119_353
.LBB119_351:
                                        ; implicit-def: $vgpr113_vgpr114
.LBB119_352:
	ds_load_b64 v[113:114], v116
.LBB119_353:
	s_and_saveexec_b32 s4, s0
	s_cbranch_execz .LBB119_357
; %bb.354:
	v_subrev_nc_u32_e32 v128, 20, v0
	s_movk_i32 s5, 0x260
	s_mov_b32 s0, 0
.LBB119_355:                            ; =>This Inner Loop Header: Depth=1
	scratch_load_b64 v[129:130], v127, off
	v_dual_mov_b32 v131, s5 :: v_dual_add_nc_u32 v128, -1, v128
	v_add_nc_u32_e32 v127, 8, v127
	s_add_i32 s5, s5, 8
	ds_load_b64 v[131:132], v131
	v_cmp_eq_u32_e32 vcc_lo, 0, v128
	s_or_b32 s0, vcc_lo, s0
	s_waitcnt vmcnt(0) lgkmcnt(0)
	v_fma_f64 v[113:114], v[129:130], v[131:132], v[113:114]
	s_and_not1_b32 exec_lo, exec_lo, s0
	s_cbranch_execnz .LBB119_355
; %bb.356:
	s_or_b32 exec_lo, exec_lo, s0
.LBB119_357:
	s_delay_alu instid0(SALU_CYCLE_1)
	s_or_b32 exec_lo, exec_lo, s4
	v_mov_b32_e32 v127, 0
	ds_load_b64 v[127:128], v127 offset:152
	s_waitcnt lgkmcnt(0)
	v_mul_f64 v[113:114], v[113:114], v[127:128]
	scratch_store_b64 off, v[113:114], off offset:152
.LBB119_358:
	s_or_b32 exec_lo, exec_lo, s3
	scratch_load_b64 v[113:114], off, off offset:144
	v_cmp_lt_u32_e64 s0, 18, v0
	s_waitcnt vmcnt(0)
	ds_store_b64 v116, v[113:114]
	s_waitcnt lgkmcnt(0)
	s_waitcnt_vscnt null, 0x0
	s_barrier
	buffer_gl0_inv
	s_and_saveexec_b32 s3, s0
	s_cbranch_execz .LBB119_368
; %bb.359:
	s_and_not1_b32 vcc_lo, exec_lo, s2
	s_cbranch_vccnz .LBB119_361
; %bb.360:
	scratch_load_b64 v[113:114], v117, off
	ds_load_b64 v[127:128], v116
	s_waitcnt vmcnt(0) lgkmcnt(0)
	v_mul_f64 v[113:114], v[113:114], v[127:128]
	s_cbranch_execz .LBB119_362
	s_branch .LBB119_363
.LBB119_361:
                                        ; implicit-def: $vgpr113_vgpr114
.LBB119_362:
	ds_load_b64 v[113:114], v116
.LBB119_363:
	s_and_saveexec_b32 s4, s1
	s_cbranch_execz .LBB119_367
; %bb.364:
	v_mov_b32_e32 v127, 0
	v_subrev_nc_u32_e32 v128, 19, v0
	s_movk_i32 s5, 0x258
	s_mov_b32 s1, 0
	s_delay_alu instid0(VALU_DEP_2)
	v_add_nc_u32_e32 v127, 0x98, v127
.LBB119_365:                            ; =>This Inner Loop Header: Depth=1
	scratch_load_b64 v[129:130], v127, off
	v_dual_mov_b32 v131, s5 :: v_dual_add_nc_u32 v128, -1, v128
	v_add_nc_u32_e32 v127, 8, v127
	s_add_i32 s5, s5, 8
	ds_load_b64 v[131:132], v131
	v_cmp_eq_u32_e32 vcc_lo, 0, v128
	s_or_b32 s1, vcc_lo, s1
	s_waitcnt vmcnt(0) lgkmcnt(0)
	v_fma_f64 v[113:114], v[129:130], v[131:132], v[113:114]
	s_and_not1_b32 exec_lo, exec_lo, s1
	s_cbranch_execnz .LBB119_365
; %bb.366:
	s_or_b32 exec_lo, exec_lo, s1
.LBB119_367:
	s_delay_alu instid0(SALU_CYCLE_1)
	s_or_b32 exec_lo, exec_lo, s4
	v_mov_b32_e32 v127, 0
	ds_load_b64 v[127:128], v127 offset:144
	s_waitcnt lgkmcnt(0)
	v_mul_f64 v[113:114], v[113:114], v[127:128]
	scratch_store_b64 off, v[113:114], off offset:144
.LBB119_368:
	s_or_b32 exec_lo, exec_lo, s3
	scratch_load_b64 v[113:114], off, off offset:136
	v_cmp_lt_u32_e64 s1, 17, v0
	s_waitcnt vmcnt(0)
	ds_store_b64 v116, v[113:114]
	s_waitcnt lgkmcnt(0)
	s_waitcnt_vscnt null, 0x0
	s_barrier
	buffer_gl0_inv
	s_and_saveexec_b32 s3, s1
	s_cbranch_execz .LBB119_378
; %bb.369:
	s_and_not1_b32 vcc_lo, exec_lo, s2
	s_cbranch_vccnz .LBB119_371
; %bb.370:
	scratch_load_b64 v[113:114], v117, off
	ds_load_b64 v[127:128], v116
	s_waitcnt vmcnt(0) lgkmcnt(0)
	v_mul_f64 v[113:114], v[113:114], v[127:128]
	s_cbranch_execz .LBB119_372
	s_branch .LBB119_373
.LBB119_371:
                                        ; implicit-def: $vgpr113_vgpr114
.LBB119_372:
	ds_load_b64 v[113:114], v116
.LBB119_373:
	s_and_saveexec_b32 s4, s0
	s_cbranch_execz .LBB119_377
; %bb.374:
	v_subrev_nc_u32_e32 v127, 18, v0
	s_movk_i32 s5, 0x250
	s_mov_b32 s0, 0
.LBB119_375:                            ; =>This Inner Loop Header: Depth=1
	scratch_load_b64 v[128:129], v126, off
	v_dual_mov_b32 v130, s5 :: v_dual_add_nc_u32 v127, -1, v127
	v_add_nc_u32_e32 v126, 8, v126
	s_add_i32 s5, s5, 8
	ds_load_b64 v[130:131], v130
	v_cmp_eq_u32_e32 vcc_lo, 0, v127
	s_or_b32 s0, vcc_lo, s0
	s_waitcnt vmcnt(0) lgkmcnt(0)
	v_fma_f64 v[113:114], v[128:129], v[130:131], v[113:114]
	s_and_not1_b32 exec_lo, exec_lo, s0
	s_cbranch_execnz .LBB119_375
; %bb.376:
	s_or_b32 exec_lo, exec_lo, s0
.LBB119_377:
	s_delay_alu instid0(SALU_CYCLE_1)
	s_or_b32 exec_lo, exec_lo, s4
	v_mov_b32_e32 v126, 0
	ds_load_b64 v[126:127], v126 offset:136
	s_waitcnt lgkmcnt(0)
	v_mul_f64 v[113:114], v[113:114], v[126:127]
	scratch_store_b64 off, v[113:114], off offset:136
.LBB119_378:
	s_or_b32 exec_lo, exec_lo, s3
	scratch_load_b64 v[113:114], off, off offset:128
	v_cmp_lt_u32_e64 s0, 16, v0
	s_waitcnt vmcnt(0)
	ds_store_b64 v116, v[113:114]
	s_waitcnt lgkmcnt(0)
	s_waitcnt_vscnt null, 0x0
	s_barrier
	buffer_gl0_inv
	s_and_saveexec_b32 s3, s0
	s_cbranch_execz .LBB119_388
; %bb.379:
	s_and_not1_b32 vcc_lo, exec_lo, s2
	s_cbranch_vccnz .LBB119_381
; %bb.380:
	scratch_load_b64 v[113:114], v117, off
	ds_load_b64 v[126:127], v116
	s_waitcnt vmcnt(0) lgkmcnt(0)
	v_mul_f64 v[113:114], v[113:114], v[126:127]
	s_cbranch_execz .LBB119_382
	s_branch .LBB119_383
.LBB119_381:
                                        ; implicit-def: $vgpr113_vgpr114
.LBB119_382:
	ds_load_b64 v[113:114], v116
.LBB119_383:
	s_and_saveexec_b32 s4, s1
	s_cbranch_execz .LBB119_387
; %bb.384:
	v_mov_b32_e32 v126, 0
	v_subrev_nc_u32_e32 v127, 17, v0
	s_movk_i32 s5, 0x248
	s_mov_b32 s1, 0
	s_delay_alu instid0(VALU_DEP_2)
	v_add_nc_u32_e32 v126, 0x88, v126
.LBB119_385:                            ; =>This Inner Loop Header: Depth=1
	scratch_load_b64 v[128:129], v126, off
	v_dual_mov_b32 v130, s5 :: v_dual_add_nc_u32 v127, -1, v127
	v_add_nc_u32_e32 v126, 8, v126
	s_add_i32 s5, s5, 8
	ds_load_b64 v[130:131], v130
	v_cmp_eq_u32_e32 vcc_lo, 0, v127
	s_or_b32 s1, vcc_lo, s1
	s_waitcnt vmcnt(0) lgkmcnt(0)
	v_fma_f64 v[113:114], v[128:129], v[130:131], v[113:114]
	s_and_not1_b32 exec_lo, exec_lo, s1
	s_cbranch_execnz .LBB119_385
; %bb.386:
	s_or_b32 exec_lo, exec_lo, s1
.LBB119_387:
	s_delay_alu instid0(SALU_CYCLE_1)
	s_or_b32 exec_lo, exec_lo, s4
	v_mov_b32_e32 v126, 0
	ds_load_b64 v[126:127], v126 offset:128
	s_waitcnt lgkmcnt(0)
	v_mul_f64 v[113:114], v[113:114], v[126:127]
	scratch_store_b64 off, v[113:114], off offset:128
.LBB119_388:
	s_or_b32 exec_lo, exec_lo, s3
	scratch_load_b64 v[113:114], off, off offset:120
	v_cmp_lt_u32_e64 s1, 15, v0
	s_waitcnt vmcnt(0)
	ds_store_b64 v116, v[113:114]
	s_waitcnt lgkmcnt(0)
	s_waitcnt_vscnt null, 0x0
	s_barrier
	buffer_gl0_inv
	s_and_saveexec_b32 s3, s1
	s_cbranch_execz .LBB119_398
; %bb.389:
	s_and_not1_b32 vcc_lo, exec_lo, s2
	s_cbranch_vccnz .LBB119_391
; %bb.390:
	scratch_load_b64 v[113:114], v117, off
	ds_load_b64 v[126:127], v116
	s_waitcnt vmcnt(0) lgkmcnt(0)
	v_mul_f64 v[113:114], v[113:114], v[126:127]
	s_cbranch_execz .LBB119_392
	s_branch .LBB119_393
.LBB119_391:
                                        ; implicit-def: $vgpr113_vgpr114
.LBB119_392:
	ds_load_b64 v[113:114], v116
.LBB119_393:
	s_and_saveexec_b32 s4, s0
	s_cbranch_execz .LBB119_397
; %bb.394:
	v_add_nc_u32_e32 v126, -16, v0
	s_movk_i32 s5, 0x240
	s_mov_b32 s0, 0
.LBB119_395:                            ; =>This Inner Loop Header: Depth=1
	scratch_load_b64 v[127:128], v125, off
	v_dual_mov_b32 v129, s5 :: v_dual_add_nc_u32 v126, -1, v126
	v_add_nc_u32_e32 v125, 8, v125
	s_add_i32 s5, s5, 8
	ds_load_b64 v[129:130], v129
	v_cmp_eq_u32_e32 vcc_lo, 0, v126
	s_or_b32 s0, vcc_lo, s0
	s_waitcnt vmcnt(0) lgkmcnt(0)
	v_fma_f64 v[113:114], v[127:128], v[129:130], v[113:114]
	s_and_not1_b32 exec_lo, exec_lo, s0
	s_cbranch_execnz .LBB119_395
; %bb.396:
	s_or_b32 exec_lo, exec_lo, s0
.LBB119_397:
	s_delay_alu instid0(SALU_CYCLE_1)
	s_or_b32 exec_lo, exec_lo, s4
	v_mov_b32_e32 v125, 0
	ds_load_b64 v[125:126], v125 offset:120
	s_waitcnt lgkmcnt(0)
	v_mul_f64 v[113:114], v[113:114], v[125:126]
	scratch_store_b64 off, v[113:114], off offset:120
.LBB119_398:
	s_or_b32 exec_lo, exec_lo, s3
	scratch_load_b64 v[113:114], off, off offset:112
	v_cmp_lt_u32_e64 s0, 14, v0
	s_waitcnt vmcnt(0)
	ds_store_b64 v116, v[113:114]
	s_waitcnt lgkmcnt(0)
	s_waitcnt_vscnt null, 0x0
	s_barrier
	buffer_gl0_inv
	s_and_saveexec_b32 s3, s0
	s_cbranch_execz .LBB119_408
; %bb.399:
	s_and_not1_b32 vcc_lo, exec_lo, s2
	s_cbranch_vccnz .LBB119_401
; %bb.400:
	scratch_load_b64 v[113:114], v117, off
	ds_load_b64 v[125:126], v116
	s_waitcnt vmcnt(0) lgkmcnt(0)
	v_mul_f64 v[113:114], v[113:114], v[125:126]
	s_cbranch_execz .LBB119_402
	s_branch .LBB119_403
.LBB119_401:
                                        ; implicit-def: $vgpr113_vgpr114
.LBB119_402:
	ds_load_b64 v[113:114], v116
.LBB119_403:
	s_and_saveexec_b32 s4, s1
	s_cbranch_execz .LBB119_407
; %bb.404:
	v_dual_mov_b32 v125, 0 :: v_dual_add_nc_u32 v126, -15, v0
	s_movk_i32 s5, 0x238
	s_mov_b32 s1, 0
	s_delay_alu instid0(VALU_DEP_1)
	v_add_nc_u32_e32 v125, 0x78, v125
.LBB119_405:                            ; =>This Inner Loop Header: Depth=1
	scratch_load_b64 v[127:128], v125, off
	v_dual_mov_b32 v129, s5 :: v_dual_add_nc_u32 v126, -1, v126
	v_add_nc_u32_e32 v125, 8, v125
	s_add_i32 s5, s5, 8
	ds_load_b64 v[129:130], v129
	v_cmp_eq_u32_e32 vcc_lo, 0, v126
	s_or_b32 s1, vcc_lo, s1
	s_waitcnt vmcnt(0) lgkmcnt(0)
	v_fma_f64 v[113:114], v[127:128], v[129:130], v[113:114]
	s_and_not1_b32 exec_lo, exec_lo, s1
	s_cbranch_execnz .LBB119_405
; %bb.406:
	s_or_b32 exec_lo, exec_lo, s1
.LBB119_407:
	s_delay_alu instid0(SALU_CYCLE_1)
	s_or_b32 exec_lo, exec_lo, s4
	v_mov_b32_e32 v125, 0
	ds_load_b64 v[125:126], v125 offset:112
	s_waitcnt lgkmcnt(0)
	v_mul_f64 v[113:114], v[113:114], v[125:126]
	scratch_store_b64 off, v[113:114], off offset:112
.LBB119_408:
	s_or_b32 exec_lo, exec_lo, s3
	scratch_load_b64 v[113:114], off, off offset:104
	v_cmp_lt_u32_e64 s1, 13, v0
	s_waitcnt vmcnt(0)
	ds_store_b64 v116, v[113:114]
	s_waitcnt lgkmcnt(0)
	s_waitcnt_vscnt null, 0x0
	s_barrier
	buffer_gl0_inv
	s_and_saveexec_b32 s3, s1
	s_cbranch_execz .LBB119_418
; %bb.409:
	s_and_not1_b32 vcc_lo, exec_lo, s2
	s_cbranch_vccnz .LBB119_411
; %bb.410:
	scratch_load_b64 v[113:114], v117, off
	ds_load_b64 v[125:126], v116
	s_waitcnt vmcnt(0) lgkmcnt(0)
	v_mul_f64 v[113:114], v[113:114], v[125:126]
	s_cbranch_execz .LBB119_412
	s_branch .LBB119_413
.LBB119_411:
                                        ; implicit-def: $vgpr113_vgpr114
.LBB119_412:
	ds_load_b64 v[113:114], v116
.LBB119_413:
	s_and_saveexec_b32 s4, s0
	s_cbranch_execz .LBB119_417
; %bb.414:
	v_add_nc_u32_e32 v125, -14, v0
	s_movk_i32 s5, 0x230
	s_mov_b32 s0, 0
.LBB119_415:                            ; =>This Inner Loop Header: Depth=1
	scratch_load_b64 v[126:127], v124, off
	v_dual_mov_b32 v128, s5 :: v_dual_add_nc_u32 v125, -1, v125
	v_add_nc_u32_e32 v124, 8, v124
	s_add_i32 s5, s5, 8
	ds_load_b64 v[128:129], v128
	v_cmp_eq_u32_e32 vcc_lo, 0, v125
	s_or_b32 s0, vcc_lo, s0
	s_waitcnt vmcnt(0) lgkmcnt(0)
	v_fma_f64 v[113:114], v[126:127], v[128:129], v[113:114]
	s_and_not1_b32 exec_lo, exec_lo, s0
	s_cbranch_execnz .LBB119_415
; %bb.416:
	s_or_b32 exec_lo, exec_lo, s0
.LBB119_417:
	s_delay_alu instid0(SALU_CYCLE_1)
	s_or_b32 exec_lo, exec_lo, s4
	v_mov_b32_e32 v124, 0
	ds_load_b64 v[124:125], v124 offset:104
	s_waitcnt lgkmcnt(0)
	v_mul_f64 v[113:114], v[113:114], v[124:125]
	scratch_store_b64 off, v[113:114], off offset:104
.LBB119_418:
	s_or_b32 exec_lo, exec_lo, s3
	scratch_load_b64 v[113:114], off, off offset:96
	v_cmp_lt_u32_e64 s0, 12, v0
	s_waitcnt vmcnt(0)
	ds_store_b64 v116, v[113:114]
	s_waitcnt lgkmcnt(0)
	s_waitcnt_vscnt null, 0x0
	s_barrier
	buffer_gl0_inv
	s_and_saveexec_b32 s3, s0
	s_cbranch_execz .LBB119_428
; %bb.419:
	s_and_not1_b32 vcc_lo, exec_lo, s2
	s_cbranch_vccnz .LBB119_421
; %bb.420:
	scratch_load_b64 v[113:114], v117, off
	ds_load_b64 v[124:125], v116
	s_waitcnt vmcnt(0) lgkmcnt(0)
	v_mul_f64 v[113:114], v[113:114], v[124:125]
	s_cbranch_execz .LBB119_422
	s_branch .LBB119_423
.LBB119_421:
                                        ; implicit-def: $vgpr113_vgpr114
.LBB119_422:
	ds_load_b64 v[113:114], v116
.LBB119_423:
	s_and_saveexec_b32 s4, s1
	s_cbranch_execz .LBB119_427
; %bb.424:
	v_dual_mov_b32 v124, 0 :: v_dual_add_nc_u32 v125, -13, v0
	s_movk_i32 s5, 0x228
	s_mov_b32 s1, 0
	s_delay_alu instid0(VALU_DEP_1)
	v_add_nc_u32_e32 v124, 0x68, v124
.LBB119_425:                            ; =>This Inner Loop Header: Depth=1
	scratch_load_b64 v[126:127], v124, off
	v_dual_mov_b32 v128, s5 :: v_dual_add_nc_u32 v125, -1, v125
	v_add_nc_u32_e32 v124, 8, v124
	s_add_i32 s5, s5, 8
	ds_load_b64 v[128:129], v128
	v_cmp_eq_u32_e32 vcc_lo, 0, v125
	s_or_b32 s1, vcc_lo, s1
	s_waitcnt vmcnt(0) lgkmcnt(0)
	v_fma_f64 v[113:114], v[126:127], v[128:129], v[113:114]
	s_and_not1_b32 exec_lo, exec_lo, s1
	s_cbranch_execnz .LBB119_425
; %bb.426:
	s_or_b32 exec_lo, exec_lo, s1
.LBB119_427:
	s_delay_alu instid0(SALU_CYCLE_1)
	s_or_b32 exec_lo, exec_lo, s4
	v_mov_b32_e32 v124, 0
	ds_load_b64 v[124:125], v124 offset:96
	s_waitcnt lgkmcnt(0)
	v_mul_f64 v[113:114], v[113:114], v[124:125]
	scratch_store_b64 off, v[113:114], off offset:96
.LBB119_428:
	s_or_b32 exec_lo, exec_lo, s3
	scratch_load_b64 v[113:114], off, off offset:88
	v_cmp_lt_u32_e64 s1, 11, v0
	s_waitcnt vmcnt(0)
	ds_store_b64 v116, v[113:114]
	s_waitcnt lgkmcnt(0)
	s_waitcnt_vscnt null, 0x0
	s_barrier
	buffer_gl0_inv
	s_and_saveexec_b32 s3, s1
	s_cbranch_execz .LBB119_438
; %bb.429:
	s_and_not1_b32 vcc_lo, exec_lo, s2
	s_cbranch_vccnz .LBB119_431
; %bb.430:
	scratch_load_b64 v[113:114], v117, off
	ds_load_b64 v[124:125], v116
	s_waitcnt vmcnt(0) lgkmcnt(0)
	v_mul_f64 v[113:114], v[113:114], v[124:125]
	s_cbranch_execz .LBB119_432
	s_branch .LBB119_433
.LBB119_431:
                                        ; implicit-def: $vgpr113_vgpr114
.LBB119_432:
	ds_load_b64 v[113:114], v116
.LBB119_433:
	s_and_saveexec_b32 s4, s0
	s_cbranch_execz .LBB119_437
; %bb.434:
	v_add_nc_u32_e32 v124, -12, v0
	s_movk_i32 s5, 0x220
	s_mov_b32 s0, 0
.LBB119_435:                            ; =>This Inner Loop Header: Depth=1
	scratch_load_b64 v[125:126], v123, off
	v_dual_mov_b32 v127, s5 :: v_dual_add_nc_u32 v124, -1, v124
	v_add_nc_u32_e32 v123, 8, v123
	s_add_i32 s5, s5, 8
	ds_load_b64 v[127:128], v127
	v_cmp_eq_u32_e32 vcc_lo, 0, v124
	s_or_b32 s0, vcc_lo, s0
	s_waitcnt vmcnt(0) lgkmcnt(0)
	v_fma_f64 v[113:114], v[125:126], v[127:128], v[113:114]
	s_and_not1_b32 exec_lo, exec_lo, s0
	s_cbranch_execnz .LBB119_435
; %bb.436:
	s_or_b32 exec_lo, exec_lo, s0
.LBB119_437:
	s_delay_alu instid0(SALU_CYCLE_1)
	s_or_b32 exec_lo, exec_lo, s4
	v_mov_b32_e32 v123, 0
	ds_load_b64 v[123:124], v123 offset:88
	s_waitcnt lgkmcnt(0)
	v_mul_f64 v[113:114], v[113:114], v[123:124]
	scratch_store_b64 off, v[113:114], off offset:88
.LBB119_438:
	s_or_b32 exec_lo, exec_lo, s3
	scratch_load_b64 v[113:114], off, off offset:80
	v_cmp_lt_u32_e64 s0, 10, v0
	s_waitcnt vmcnt(0)
	ds_store_b64 v116, v[113:114]
	s_waitcnt lgkmcnt(0)
	s_waitcnt_vscnt null, 0x0
	s_barrier
	buffer_gl0_inv
	s_and_saveexec_b32 s3, s0
	s_cbranch_execz .LBB119_448
; %bb.439:
	s_and_not1_b32 vcc_lo, exec_lo, s2
	s_cbranch_vccnz .LBB119_441
; %bb.440:
	scratch_load_b64 v[113:114], v117, off
	ds_load_b64 v[123:124], v116
	s_waitcnt vmcnt(0) lgkmcnt(0)
	v_mul_f64 v[113:114], v[113:114], v[123:124]
	s_cbranch_execz .LBB119_442
	s_branch .LBB119_443
.LBB119_441:
                                        ; implicit-def: $vgpr113_vgpr114
.LBB119_442:
	ds_load_b64 v[113:114], v116
.LBB119_443:
	s_and_saveexec_b32 s4, s1
	s_cbranch_execz .LBB119_447
; %bb.444:
	v_dual_mov_b32 v123, 0 :: v_dual_add_nc_u32 v124, -11, v0
	s_movk_i32 s5, 0x218
	s_mov_b32 s1, 0
	s_delay_alu instid0(VALU_DEP_1)
	v_add_nc_u32_e32 v123, 0x58, v123
.LBB119_445:                            ; =>This Inner Loop Header: Depth=1
	scratch_load_b64 v[125:126], v123, off
	v_dual_mov_b32 v127, s5 :: v_dual_add_nc_u32 v124, -1, v124
	v_add_nc_u32_e32 v123, 8, v123
	s_add_i32 s5, s5, 8
	ds_load_b64 v[127:128], v127
	v_cmp_eq_u32_e32 vcc_lo, 0, v124
	s_or_b32 s1, vcc_lo, s1
	s_waitcnt vmcnt(0) lgkmcnt(0)
	v_fma_f64 v[113:114], v[125:126], v[127:128], v[113:114]
	s_and_not1_b32 exec_lo, exec_lo, s1
	s_cbranch_execnz .LBB119_445
; %bb.446:
	s_or_b32 exec_lo, exec_lo, s1
.LBB119_447:
	s_delay_alu instid0(SALU_CYCLE_1)
	s_or_b32 exec_lo, exec_lo, s4
	v_mov_b32_e32 v123, 0
	ds_load_b64 v[123:124], v123 offset:80
	s_waitcnt lgkmcnt(0)
	v_mul_f64 v[113:114], v[113:114], v[123:124]
	scratch_store_b64 off, v[113:114], off offset:80
.LBB119_448:
	s_or_b32 exec_lo, exec_lo, s3
	scratch_load_b64 v[113:114], off, off offset:72
	v_cmp_lt_u32_e64 s1, 9, v0
	s_waitcnt vmcnt(0)
	ds_store_b64 v116, v[113:114]
	s_waitcnt lgkmcnt(0)
	s_waitcnt_vscnt null, 0x0
	s_barrier
	buffer_gl0_inv
	s_and_saveexec_b32 s3, s1
	s_cbranch_execz .LBB119_458
; %bb.449:
	s_and_not1_b32 vcc_lo, exec_lo, s2
	s_cbranch_vccnz .LBB119_451
; %bb.450:
	scratch_load_b64 v[113:114], v117, off
	ds_load_b64 v[123:124], v116
	s_waitcnt vmcnt(0) lgkmcnt(0)
	v_mul_f64 v[113:114], v[113:114], v[123:124]
	s_cbranch_execz .LBB119_452
	s_branch .LBB119_453
.LBB119_451:
                                        ; implicit-def: $vgpr113_vgpr114
.LBB119_452:
	ds_load_b64 v[113:114], v116
.LBB119_453:
	s_and_saveexec_b32 s4, s0
	s_cbranch_execz .LBB119_457
; %bb.454:
	v_add_nc_u32_e32 v123, -10, v0
	s_movk_i32 s5, 0x210
	s_mov_b32 s0, 0
.LBB119_455:                            ; =>This Inner Loop Header: Depth=1
	scratch_load_b64 v[124:125], v122, off
	v_dual_mov_b32 v126, s5 :: v_dual_add_nc_u32 v123, -1, v123
	v_add_nc_u32_e32 v122, 8, v122
	s_add_i32 s5, s5, 8
	ds_load_b64 v[126:127], v126
	v_cmp_eq_u32_e32 vcc_lo, 0, v123
	s_or_b32 s0, vcc_lo, s0
	s_waitcnt vmcnt(0) lgkmcnt(0)
	v_fma_f64 v[113:114], v[124:125], v[126:127], v[113:114]
	s_and_not1_b32 exec_lo, exec_lo, s0
	s_cbranch_execnz .LBB119_455
; %bb.456:
	s_or_b32 exec_lo, exec_lo, s0
.LBB119_457:
	s_delay_alu instid0(SALU_CYCLE_1)
	s_or_b32 exec_lo, exec_lo, s4
	v_mov_b32_e32 v122, 0
	ds_load_b64 v[122:123], v122 offset:72
	s_waitcnt lgkmcnt(0)
	v_mul_f64 v[113:114], v[113:114], v[122:123]
	scratch_store_b64 off, v[113:114], off offset:72
.LBB119_458:
	s_or_b32 exec_lo, exec_lo, s3
	scratch_load_b64 v[113:114], off, off offset:64
	v_cmp_lt_u32_e64 s0, 8, v0
	s_waitcnt vmcnt(0)
	ds_store_b64 v116, v[113:114]
	s_waitcnt lgkmcnt(0)
	s_waitcnt_vscnt null, 0x0
	s_barrier
	buffer_gl0_inv
	s_and_saveexec_b32 s3, s0
	s_cbranch_execz .LBB119_468
; %bb.459:
	s_and_not1_b32 vcc_lo, exec_lo, s2
	s_cbranch_vccnz .LBB119_461
; %bb.460:
	scratch_load_b64 v[113:114], v117, off
	ds_load_b64 v[122:123], v116
	s_waitcnt vmcnt(0) lgkmcnt(0)
	v_mul_f64 v[113:114], v[113:114], v[122:123]
	s_cbranch_execz .LBB119_462
	s_branch .LBB119_463
.LBB119_461:
                                        ; implicit-def: $vgpr113_vgpr114
.LBB119_462:
	ds_load_b64 v[113:114], v116
.LBB119_463:
	s_and_saveexec_b32 s4, s1
	s_cbranch_execz .LBB119_467
; %bb.464:
	v_dual_mov_b32 v122, 0 :: v_dual_add_nc_u32 v123, -9, v0
	s_movk_i32 s5, 0x208
	s_mov_b32 s1, 0
	s_delay_alu instid0(VALU_DEP_1)
	v_add_nc_u32_e32 v122, 0x48, v122
.LBB119_465:                            ; =>This Inner Loop Header: Depth=1
	scratch_load_b64 v[124:125], v122, off
	v_dual_mov_b32 v126, s5 :: v_dual_add_nc_u32 v123, -1, v123
	v_add_nc_u32_e32 v122, 8, v122
	s_add_i32 s5, s5, 8
	ds_load_b64 v[126:127], v126
	v_cmp_eq_u32_e32 vcc_lo, 0, v123
	s_or_b32 s1, vcc_lo, s1
	s_waitcnt vmcnt(0) lgkmcnt(0)
	v_fma_f64 v[113:114], v[124:125], v[126:127], v[113:114]
	s_and_not1_b32 exec_lo, exec_lo, s1
	s_cbranch_execnz .LBB119_465
; %bb.466:
	s_or_b32 exec_lo, exec_lo, s1
.LBB119_467:
	s_delay_alu instid0(SALU_CYCLE_1)
	s_or_b32 exec_lo, exec_lo, s4
	v_mov_b32_e32 v122, 0
	ds_load_b64 v[122:123], v122 offset:64
	s_waitcnt lgkmcnt(0)
	v_mul_f64 v[113:114], v[113:114], v[122:123]
	scratch_store_b64 off, v[113:114], off offset:64
.LBB119_468:
	s_or_b32 exec_lo, exec_lo, s3
	scratch_load_b64 v[113:114], off, off offset:56
	v_cmp_lt_u32_e64 s1, 7, v0
	s_waitcnt vmcnt(0)
	ds_store_b64 v116, v[113:114]
	s_waitcnt lgkmcnt(0)
	s_waitcnt_vscnt null, 0x0
	s_barrier
	buffer_gl0_inv
	s_and_saveexec_b32 s3, s1
	s_cbranch_execz .LBB119_478
; %bb.469:
	s_and_not1_b32 vcc_lo, exec_lo, s2
	s_cbranch_vccnz .LBB119_471
; %bb.470:
	scratch_load_b64 v[113:114], v117, off
	ds_load_b64 v[122:123], v116
	s_waitcnt vmcnt(0) lgkmcnt(0)
	v_mul_f64 v[113:114], v[113:114], v[122:123]
	s_cbranch_execz .LBB119_472
	s_branch .LBB119_473
.LBB119_471:
                                        ; implicit-def: $vgpr113_vgpr114
.LBB119_472:
	ds_load_b64 v[113:114], v116
.LBB119_473:
	s_and_saveexec_b32 s4, s0
	s_cbranch_execz .LBB119_477
; %bb.474:
	v_add_nc_u32_e32 v122, -8, v0
	s_movk_i32 s5, 0x200
	s_mov_b32 s0, 0
.LBB119_475:                            ; =>This Inner Loop Header: Depth=1
	scratch_load_b64 v[123:124], v121, off
	v_dual_mov_b32 v125, s5 :: v_dual_add_nc_u32 v122, -1, v122
	v_add_nc_u32_e32 v121, 8, v121
	s_add_i32 s5, s5, 8
	ds_load_b64 v[125:126], v125
	v_cmp_eq_u32_e32 vcc_lo, 0, v122
	s_or_b32 s0, vcc_lo, s0
	s_waitcnt vmcnt(0) lgkmcnt(0)
	v_fma_f64 v[113:114], v[123:124], v[125:126], v[113:114]
	s_and_not1_b32 exec_lo, exec_lo, s0
	s_cbranch_execnz .LBB119_475
; %bb.476:
	s_or_b32 exec_lo, exec_lo, s0
.LBB119_477:
	s_delay_alu instid0(SALU_CYCLE_1)
	s_or_b32 exec_lo, exec_lo, s4
	v_mov_b32_e32 v121, 0
	ds_load_b64 v[121:122], v121 offset:56
	s_waitcnt lgkmcnt(0)
	v_mul_f64 v[113:114], v[113:114], v[121:122]
	scratch_store_b64 off, v[113:114], off offset:56
.LBB119_478:
	s_or_b32 exec_lo, exec_lo, s3
	scratch_load_b64 v[113:114], off, off offset:48
	v_cmp_lt_u32_e64 s0, 6, v0
	s_waitcnt vmcnt(0)
	ds_store_b64 v116, v[113:114]
	s_waitcnt lgkmcnt(0)
	s_waitcnt_vscnt null, 0x0
	s_barrier
	buffer_gl0_inv
	s_and_saveexec_b32 s3, s0
	s_cbranch_execz .LBB119_488
; %bb.479:
	s_and_not1_b32 vcc_lo, exec_lo, s2
	s_cbranch_vccnz .LBB119_481
; %bb.480:
	scratch_load_b64 v[113:114], v117, off
	ds_load_b64 v[121:122], v116
	s_waitcnt vmcnt(0) lgkmcnt(0)
	v_mul_f64 v[113:114], v[113:114], v[121:122]
	s_cbranch_execz .LBB119_482
	s_branch .LBB119_483
.LBB119_481:
                                        ; implicit-def: $vgpr113_vgpr114
.LBB119_482:
	ds_load_b64 v[113:114], v116
.LBB119_483:
	s_and_saveexec_b32 s4, s1
	s_cbranch_execz .LBB119_487
; %bb.484:
	v_add_nc_u32_e64 v121, 0, 56
	v_add_nc_u32_e32 v122, -7, v0
	s_movk_i32 s5, 0x1f8
	s_mov_b32 s1, 0
.LBB119_485:                            ; =>This Inner Loop Header: Depth=1
	scratch_load_b64 v[123:124], v121, off
	v_dual_mov_b32 v125, s5 :: v_dual_add_nc_u32 v122, -1, v122
	v_add_nc_u32_e32 v121, 8, v121
	s_add_i32 s5, s5, 8
	ds_load_b64 v[125:126], v125
	v_cmp_eq_u32_e32 vcc_lo, 0, v122
	s_or_b32 s1, vcc_lo, s1
	s_waitcnt vmcnt(0) lgkmcnt(0)
	v_fma_f64 v[113:114], v[123:124], v[125:126], v[113:114]
	s_and_not1_b32 exec_lo, exec_lo, s1
	s_cbranch_execnz .LBB119_485
; %bb.486:
	s_or_b32 exec_lo, exec_lo, s1
.LBB119_487:
	s_delay_alu instid0(SALU_CYCLE_1)
	s_or_b32 exec_lo, exec_lo, s4
	v_mov_b32_e32 v121, 0
	ds_load_b64 v[121:122], v121 offset:48
	s_waitcnt lgkmcnt(0)
	v_mul_f64 v[113:114], v[113:114], v[121:122]
	scratch_store_b64 off, v[113:114], off offset:48
.LBB119_488:
	s_or_b32 exec_lo, exec_lo, s3
	scratch_load_b64 v[113:114], off, off offset:40
	v_cmp_lt_u32_e64 s1, 5, v0
	s_waitcnt vmcnt(0)
	ds_store_b64 v116, v[113:114]
	s_waitcnt lgkmcnt(0)
	s_waitcnt_vscnt null, 0x0
	s_barrier
	buffer_gl0_inv
	s_and_saveexec_b32 s3, s1
	s_cbranch_execz .LBB119_498
; %bb.489:
	s_and_not1_b32 vcc_lo, exec_lo, s2
	s_cbranch_vccnz .LBB119_491
; %bb.490:
	scratch_load_b64 v[113:114], v117, off
	ds_load_b64 v[121:122], v116
	s_waitcnt vmcnt(0) lgkmcnt(0)
	v_mul_f64 v[113:114], v[113:114], v[121:122]
	s_cbranch_execz .LBB119_492
	s_branch .LBB119_493
.LBB119_491:
                                        ; implicit-def: $vgpr113_vgpr114
.LBB119_492:
	ds_load_b64 v[113:114], v116
.LBB119_493:
	s_and_saveexec_b32 s4, s0
	s_cbranch_execz .LBB119_497
; %bb.494:
	v_add_nc_u32_e32 v121, -6, v0
	s_movk_i32 s5, 0x1f0
	s_mov_b32 s0, 0
.LBB119_495:                            ; =>This Inner Loop Header: Depth=1
	scratch_load_b64 v[122:123], v120, off
	v_dual_mov_b32 v124, s5 :: v_dual_add_nc_u32 v121, -1, v121
	v_add_nc_u32_e32 v120, 8, v120
	s_add_i32 s5, s5, 8
	ds_load_b64 v[124:125], v124
	v_cmp_eq_u32_e32 vcc_lo, 0, v121
	s_or_b32 s0, vcc_lo, s0
	s_waitcnt vmcnt(0) lgkmcnt(0)
	v_fma_f64 v[113:114], v[122:123], v[124:125], v[113:114]
	s_and_not1_b32 exec_lo, exec_lo, s0
	s_cbranch_execnz .LBB119_495
; %bb.496:
	s_or_b32 exec_lo, exec_lo, s0
.LBB119_497:
	s_delay_alu instid0(SALU_CYCLE_1)
	s_or_b32 exec_lo, exec_lo, s4
	v_mov_b32_e32 v120, 0
	ds_load_b64 v[120:121], v120 offset:40
	s_waitcnt lgkmcnt(0)
	v_mul_f64 v[113:114], v[113:114], v[120:121]
	scratch_store_b64 off, v[113:114], off offset:40
.LBB119_498:
	s_or_b32 exec_lo, exec_lo, s3
	scratch_load_b64 v[113:114], off, off offset:32
	v_cmp_lt_u32_e64 s0, 4, v0
	s_waitcnt vmcnt(0)
	ds_store_b64 v116, v[113:114]
	s_waitcnt lgkmcnt(0)
	s_waitcnt_vscnt null, 0x0
	s_barrier
	buffer_gl0_inv
	s_and_saveexec_b32 s3, s0
	s_cbranch_execz .LBB119_508
; %bb.499:
	s_and_not1_b32 vcc_lo, exec_lo, s2
	s_cbranch_vccnz .LBB119_501
; %bb.500:
	scratch_load_b64 v[113:114], v117, off
	ds_load_b64 v[120:121], v116
	s_waitcnt vmcnt(0) lgkmcnt(0)
	v_mul_f64 v[113:114], v[113:114], v[120:121]
	s_cbranch_execz .LBB119_502
	s_branch .LBB119_503
.LBB119_501:
                                        ; implicit-def: $vgpr113_vgpr114
.LBB119_502:
	ds_load_b64 v[113:114], v116
.LBB119_503:
	s_and_saveexec_b32 s4, s1
	s_cbranch_execz .LBB119_507
; %bb.504:
	v_add_nc_u32_e64 v120, 0, 40
	v_add_nc_u32_e32 v121, -5, v0
	s_movk_i32 s5, 0x1e8
	s_mov_b32 s1, 0
.LBB119_505:                            ; =>This Inner Loop Header: Depth=1
	scratch_load_b64 v[122:123], v120, off
	v_dual_mov_b32 v124, s5 :: v_dual_add_nc_u32 v121, -1, v121
	v_add_nc_u32_e32 v120, 8, v120
	s_add_i32 s5, s5, 8
	ds_load_b64 v[124:125], v124
	v_cmp_eq_u32_e32 vcc_lo, 0, v121
	s_or_b32 s1, vcc_lo, s1
	s_waitcnt vmcnt(0) lgkmcnt(0)
	v_fma_f64 v[113:114], v[122:123], v[124:125], v[113:114]
	s_and_not1_b32 exec_lo, exec_lo, s1
	s_cbranch_execnz .LBB119_505
; %bb.506:
	s_or_b32 exec_lo, exec_lo, s1
.LBB119_507:
	s_delay_alu instid0(SALU_CYCLE_1)
	s_or_b32 exec_lo, exec_lo, s4
	v_mov_b32_e32 v120, 0
	ds_load_b64 v[120:121], v120 offset:32
	s_waitcnt lgkmcnt(0)
	v_mul_f64 v[113:114], v[113:114], v[120:121]
	scratch_store_b64 off, v[113:114], off offset:32
.LBB119_508:
	s_or_b32 exec_lo, exec_lo, s3
	scratch_load_b64 v[113:114], off, off offset:24
	v_cmp_lt_u32_e64 s1, 3, v0
	s_waitcnt vmcnt(0)
	ds_store_b64 v116, v[113:114]
	s_waitcnt lgkmcnt(0)
	s_waitcnt_vscnt null, 0x0
	s_barrier
	buffer_gl0_inv
	s_and_saveexec_b32 s3, s1
	s_cbranch_execz .LBB119_518
; %bb.509:
	s_and_not1_b32 vcc_lo, exec_lo, s2
	s_cbranch_vccnz .LBB119_511
; %bb.510:
	scratch_load_b64 v[113:114], v117, off
	ds_load_b64 v[120:121], v116
	s_waitcnt vmcnt(0) lgkmcnt(0)
	v_mul_f64 v[113:114], v[113:114], v[120:121]
	s_cbranch_execz .LBB119_512
	s_branch .LBB119_513
.LBB119_511:
                                        ; implicit-def: $vgpr113_vgpr114
.LBB119_512:
	ds_load_b64 v[113:114], v116
.LBB119_513:
	s_and_saveexec_b32 s4, s0
	s_cbranch_execz .LBB119_517
; %bb.514:
	v_add_nc_u32_e32 v120, -4, v0
	s_movk_i32 s5, 0x1e0
	s_mov_b32 s0, 0
.LBB119_515:                            ; =>This Inner Loop Header: Depth=1
	scratch_load_b64 v[121:122], v119, off
	v_dual_mov_b32 v123, s5 :: v_dual_add_nc_u32 v120, -1, v120
	v_add_nc_u32_e32 v119, 8, v119
	s_add_i32 s5, s5, 8
	ds_load_b64 v[123:124], v123
	v_cmp_eq_u32_e32 vcc_lo, 0, v120
	s_or_b32 s0, vcc_lo, s0
	s_waitcnt vmcnt(0) lgkmcnt(0)
	v_fma_f64 v[113:114], v[121:122], v[123:124], v[113:114]
	s_and_not1_b32 exec_lo, exec_lo, s0
	s_cbranch_execnz .LBB119_515
; %bb.516:
	s_or_b32 exec_lo, exec_lo, s0
.LBB119_517:
	s_delay_alu instid0(SALU_CYCLE_1)
	s_or_b32 exec_lo, exec_lo, s4
	v_mov_b32_e32 v119, 0
	ds_load_b64 v[119:120], v119 offset:24
	s_waitcnt lgkmcnt(0)
	v_mul_f64 v[113:114], v[113:114], v[119:120]
	scratch_store_b64 off, v[113:114], off offset:24
.LBB119_518:
	s_or_b32 exec_lo, exec_lo, s3
	scratch_load_b64 v[113:114], off, off offset:16
	v_cmp_lt_u32_e64 s0, 2, v0
	s_waitcnt vmcnt(0)
	ds_store_b64 v116, v[113:114]
	s_waitcnt lgkmcnt(0)
	s_waitcnt_vscnt null, 0x0
	s_barrier
	buffer_gl0_inv
	s_and_saveexec_b32 s3, s0
	s_cbranch_execz .LBB119_528
; %bb.519:
	s_and_not1_b32 vcc_lo, exec_lo, s2
	s_cbranch_vccnz .LBB119_521
; %bb.520:
	scratch_load_b64 v[113:114], v117, off
	ds_load_b64 v[119:120], v116
	s_waitcnt vmcnt(0) lgkmcnt(0)
	v_mul_f64 v[113:114], v[113:114], v[119:120]
	s_cbranch_execz .LBB119_522
	s_branch .LBB119_523
.LBB119_521:
                                        ; implicit-def: $vgpr113_vgpr114
.LBB119_522:
	ds_load_b64 v[113:114], v116
.LBB119_523:
	s_and_saveexec_b32 s4, s1
	s_cbranch_execz .LBB119_527
; %bb.524:
	v_add_nc_u32_e64 v119, 0, 24
	v_add_nc_u32_e32 v120, -3, v0
	s_movk_i32 s5, 0x1d8
	s_mov_b32 s1, 0
.LBB119_525:                            ; =>This Inner Loop Header: Depth=1
	scratch_load_b64 v[121:122], v119, off
	v_dual_mov_b32 v123, s5 :: v_dual_add_nc_u32 v120, -1, v120
	v_add_nc_u32_e32 v119, 8, v119
	s_add_i32 s5, s5, 8
	ds_load_b64 v[123:124], v123
	v_cmp_eq_u32_e32 vcc_lo, 0, v120
	s_or_b32 s1, vcc_lo, s1
	s_waitcnt vmcnt(0) lgkmcnt(0)
	v_fma_f64 v[113:114], v[121:122], v[123:124], v[113:114]
	s_and_not1_b32 exec_lo, exec_lo, s1
	s_cbranch_execnz .LBB119_525
; %bb.526:
	s_or_b32 exec_lo, exec_lo, s1
.LBB119_527:
	s_delay_alu instid0(SALU_CYCLE_1)
	s_or_b32 exec_lo, exec_lo, s4
	v_mov_b32_e32 v119, 0
	ds_load_b64 v[119:120], v119 offset:16
	s_waitcnt lgkmcnt(0)
	v_mul_f64 v[113:114], v[113:114], v[119:120]
	scratch_store_b64 off, v[113:114], off offset:16
.LBB119_528:
	s_or_b32 exec_lo, exec_lo, s3
	scratch_load_b64 v[113:114], off, off offset:8
	v_cmp_lt_u32_e64 s1, 1, v0
	s_waitcnt vmcnt(0)
	ds_store_b64 v116, v[113:114]
	s_waitcnt lgkmcnt(0)
	s_waitcnt_vscnt null, 0x0
	s_barrier
	buffer_gl0_inv
	s_and_saveexec_b32 s3, s1
	s_cbranch_execz .LBB119_538
; %bb.529:
	s_and_not1_b32 vcc_lo, exec_lo, s2
	s_cbranch_vccnz .LBB119_531
; %bb.530:
	scratch_load_b64 v[113:114], v117, off
	ds_load_b64 v[119:120], v116
	s_waitcnt vmcnt(0) lgkmcnt(0)
	v_mul_f64 v[113:114], v[113:114], v[119:120]
	s_cbranch_execz .LBB119_532
	s_branch .LBB119_533
.LBB119_531:
                                        ; implicit-def: $vgpr113_vgpr114
.LBB119_532:
	ds_load_b64 v[113:114], v116
.LBB119_533:
	s_and_saveexec_b32 s4, s0
	s_cbranch_execz .LBB119_537
; %bb.534:
	v_add_nc_u32_e32 v119, -2, v0
	s_movk_i32 s5, 0x1d0
	s_mov_b32 s0, 0
.LBB119_535:                            ; =>This Inner Loop Header: Depth=1
	scratch_load_b64 v[120:121], v118, off
	v_dual_mov_b32 v122, s5 :: v_dual_add_nc_u32 v119, -1, v119
	v_add_nc_u32_e32 v118, 8, v118
	s_add_i32 s5, s5, 8
	ds_load_b64 v[122:123], v122
	v_cmp_eq_u32_e32 vcc_lo, 0, v119
	s_or_b32 s0, vcc_lo, s0
	s_waitcnt vmcnt(0) lgkmcnt(0)
	v_fma_f64 v[113:114], v[120:121], v[122:123], v[113:114]
	s_and_not1_b32 exec_lo, exec_lo, s0
	s_cbranch_execnz .LBB119_535
; %bb.536:
	s_or_b32 exec_lo, exec_lo, s0
.LBB119_537:
	s_delay_alu instid0(SALU_CYCLE_1)
	s_or_b32 exec_lo, exec_lo, s4
	v_mov_b32_e32 v118, 0
	ds_load_b64 v[118:119], v118 offset:8
	s_waitcnt lgkmcnt(0)
	v_mul_f64 v[113:114], v[113:114], v[118:119]
	scratch_store_b64 off, v[113:114], off offset:8
.LBB119_538:
	s_or_b32 exec_lo, exec_lo, s3
	scratch_load_b64 v[113:114], off, off
	s_mov_b32 s0, 0
	s_mov_b32 s3, exec_lo
	s_waitcnt vmcnt(0)
	ds_store_b64 v116, v[113:114]
	s_waitcnt lgkmcnt(0)
	s_waitcnt_vscnt null, 0x0
	s_barrier
	buffer_gl0_inv
	v_cmpx_ne_u32_e32 0, v0
	s_cbranch_execz .LBB119_548
; %bb.539:
	s_and_not1_b32 vcc_lo, exec_lo, s2
	s_cbranch_vccnz .LBB119_541
; %bb.540:
	scratch_load_b64 v[113:114], v117, off
	ds_load_b64 v[118:119], v116
	s_waitcnt vmcnt(0) lgkmcnt(0)
	v_mul_f64 v[113:114], v[113:114], v[118:119]
	s_cbranch_execz .LBB119_542
	s_branch .LBB119_543
.LBB119_541:
                                        ; implicit-def: $vgpr113_vgpr114
.LBB119_542:
	ds_load_b64 v[113:114], v116
.LBB119_543:
	s_and_saveexec_b32 s4, s1
	s_cbranch_execz .LBB119_547
; %bb.544:
	v_or_b32_e64 v118, 0, 8
	v_add_nc_u32_e32 v119, -1, v0
	s_movk_i32 s5, 0x1c8
	s_mov_b32 s1, 0
.LBB119_545:                            ; =>This Inner Loop Header: Depth=1
	scratch_load_b64 v[120:121], v118, off
	v_dual_mov_b32 v122, s5 :: v_dual_add_nc_u32 v119, -1, v119
	v_add_nc_u32_e32 v118, 8, v118
	s_add_i32 s5, s5, 8
	ds_load_b64 v[122:123], v122
	v_cmp_eq_u32_e32 vcc_lo, 0, v119
	s_or_b32 s1, vcc_lo, s1
	s_waitcnt vmcnt(0) lgkmcnt(0)
	v_fma_f64 v[113:114], v[120:121], v[122:123], v[113:114]
	s_and_not1_b32 exec_lo, exec_lo, s1
	s_cbranch_execnz .LBB119_545
; %bb.546:
	s_or_b32 exec_lo, exec_lo, s1
.LBB119_547:
	s_delay_alu instid0(SALU_CYCLE_1)
	s_or_b32 exec_lo, exec_lo, s4
	v_mov_b32_e32 v118, 0
	ds_load_b64 v[118:119], v118
	s_waitcnt lgkmcnt(0)
	v_mul_f64 v[113:114], v[113:114], v[118:119]
	scratch_store_b64 off, v[113:114], off
.LBB119_548:
	s_or_b32 exec_lo, exec_lo, s3
.LBB119_549:
	s_delay_alu instid0(SALU_CYCLE_1)
	s_and_b32 vcc_lo, exec_lo, s0
	s_cbranch_vccz .LBB119_1095
; %bb.550:
	scratch_load_b64 v[113:114], off, off offset:8
	v_cmp_eq_u32_e64 s0, 0, v0
	s_waitcnt vmcnt(0)
	ds_store_b64 v116, v[113:114]
	s_waitcnt lgkmcnt(0)
	s_waitcnt_vscnt null, 0x0
	s_barrier
	buffer_gl0_inv
	s_and_saveexec_b32 s1, s0
	s_cbranch_execz .LBB119_556
; %bb.551:
	s_and_b32 vcc_lo, exec_lo, s2
	s_cbranch_vccz .LBB119_553
; %bb.552:
	scratch_load_b64 v[113:114], v117, off
	ds_load_b64 v[118:119], v116
	s_waitcnt vmcnt(0) lgkmcnt(0)
	v_mul_f64 v[113:114], v[113:114], v[118:119]
	s_cbranch_execz .LBB119_554
	s_branch .LBB119_555
.LBB119_553:
                                        ; implicit-def: $vgpr113_vgpr114
.LBB119_554:
	ds_load_b64 v[113:114], v116
.LBB119_555:
	v_mov_b32_e32 v118, 0
	ds_load_b64 v[118:119], v118 offset:8
	s_waitcnt lgkmcnt(0)
	v_mul_f64 v[113:114], v[113:114], v[118:119]
	scratch_store_b64 off, v[113:114], off offset:8
.LBB119_556:
	s_or_b32 exec_lo, exec_lo, s1
	scratch_load_b64 v[113:114], off, off offset:16
	v_cndmask_b32_e64 v118, 0, 1, s2
	s_mov_b32 s1, exec_lo
	s_waitcnt vmcnt(0)
	ds_store_b64 v116, v[113:114]
	s_waitcnt lgkmcnt(0)
	s_waitcnt_vscnt null, 0x0
	s_barrier
	buffer_gl0_inv
	v_cmpx_gt_u32_e32 2, v0
	s_cbranch_execz .LBB119_564
; %bb.557:
	s_and_not1_b32 vcc_lo, exec_lo, s2
	s_cbranch_vccnz .LBB119_559
; %bb.558:
	scratch_load_b64 v[113:114], v117, off
	ds_load_b64 v[119:120], v116
	s_waitcnt vmcnt(0) lgkmcnt(0)
	v_mul_f64 v[113:114], v[113:114], v[119:120]
	s_cbranch_execz .LBB119_560
	s_branch .LBB119_561
.LBB119_559:
                                        ; implicit-def: $vgpr113_vgpr114
.LBB119_560:
	ds_load_b64 v[113:114], v116
.LBB119_561:
	s_and_saveexec_b32 s2, s0
	s_cbranch_execz .LBB119_563
; %bb.562:
	scratch_load_b64 v[119:120], v117, off offset:8
	ds_load_b64 v[121:122], v116 offset:8
	s_waitcnt vmcnt(0) lgkmcnt(0)
	v_fma_f64 v[113:114], v[119:120], v[121:122], v[113:114]
.LBB119_563:
	s_or_b32 exec_lo, exec_lo, s2
	v_mov_b32_e32 v119, 0
	ds_load_b64 v[119:120], v119 offset:16
	s_waitcnt lgkmcnt(0)
	v_mul_f64 v[113:114], v[113:114], v[119:120]
	scratch_store_b64 off, v[113:114], off offset:16
.LBB119_564:
	s_or_b32 exec_lo, exec_lo, s1
	scratch_load_b64 v[113:114], off, off offset:24
	s_mov_b32 s1, exec_lo
	s_waitcnt vmcnt(0)
	ds_store_b64 v116, v[113:114]
	s_waitcnt lgkmcnt(0)
	s_waitcnt_vscnt null, 0x0
	s_barrier
	buffer_gl0_inv
	v_cmpx_gt_u32_e32 3, v0
	s_cbranch_execz .LBB119_574
; %bb.565:
	v_cmp_ne_u32_e32 vcc_lo, 1, v118
	s_cbranch_vccnz .LBB119_567
; %bb.566:
	scratch_load_b64 v[113:114], v117, off
	ds_load_b64 v[119:120], v116
	s_waitcnt vmcnt(0) lgkmcnt(0)
	v_mul_f64 v[113:114], v[113:114], v[119:120]
	s_cbranch_execz .LBB119_568
	s_branch .LBB119_569
.LBB119_567:
                                        ; implicit-def: $vgpr113_vgpr114
.LBB119_568:
	ds_load_b64 v[113:114], v116
.LBB119_569:
	s_mov_b32 s2, exec_lo
	v_cmpx_ne_u32_e32 2, v0
	s_cbranch_execz .LBB119_573
; %bb.570:
	scratch_load_b64 v[119:120], v117, off offset:8
	ds_load_b64 v[121:122], v116 offset:8
	s_waitcnt vmcnt(0) lgkmcnt(0)
	v_fma_f64 v[113:114], v[119:120], v[121:122], v[113:114]
	s_and_saveexec_b32 s3, s0
	s_cbranch_execz .LBB119_572
; %bb.571:
	scratch_load_b64 v[119:120], off, off offset:16
	v_mov_b32_e32 v121, 0
	ds_load_b64 v[121:122], v121 offset:464
	s_waitcnt vmcnt(0) lgkmcnt(0)
	v_fma_f64 v[113:114], v[119:120], v[121:122], v[113:114]
.LBB119_572:
	s_or_b32 exec_lo, exec_lo, s3
.LBB119_573:
	s_delay_alu instid0(SALU_CYCLE_1)
	s_or_b32 exec_lo, exec_lo, s2
	v_mov_b32_e32 v119, 0
	ds_load_b64 v[119:120], v119 offset:24
	s_waitcnt lgkmcnt(0)
	v_mul_f64 v[113:114], v[113:114], v[119:120]
	scratch_store_b64 off, v[113:114], off offset:24
.LBB119_574:
	s_or_b32 exec_lo, exec_lo, s1
	scratch_load_b64 v[113:114], off, off offset:32
	s_mov_b32 s0, exec_lo
	s_waitcnt vmcnt(0)
	ds_store_b64 v116, v[113:114]
	s_waitcnt lgkmcnt(0)
	s_waitcnt_vscnt null, 0x0
	s_barrier
	buffer_gl0_inv
	v_cmpx_gt_u32_e32 4, v0
	s_cbranch_execz .LBB119_584
; %bb.575:
	v_cmp_ne_u32_e32 vcc_lo, 1, v118
	s_cbranch_vccnz .LBB119_577
; %bb.576:
	scratch_load_b64 v[113:114], v117, off
	ds_load_b64 v[119:120], v116
	s_waitcnt vmcnt(0) lgkmcnt(0)
	v_mul_f64 v[113:114], v[113:114], v[119:120]
	s_cbranch_execz .LBB119_578
	s_branch .LBB119_579
.LBB119_577:
                                        ; implicit-def: $vgpr113_vgpr114
.LBB119_578:
	ds_load_b64 v[113:114], v116
.LBB119_579:
	s_mov_b32 s1, exec_lo
	v_cmpx_ne_u32_e32 3, v0
	s_cbranch_execz .LBB119_583
; %bb.580:
	v_add_nc_u32_e32 v119, 0x1c8, v115
	v_add3_u32 v120, 0, v115, 8
	v_mov_b32_e32 v121, v0
	s_mov_b32 s2, 0
.LBB119_581:                            ; =>This Inner Loop Header: Depth=1
	scratch_load_b64 v[122:123], v120, off
	ds_load_b64 v[124:125], v119
	v_add_nc_u32_e32 v121, 1, v121
	v_add_nc_u32_e32 v119, 8, v119
	v_add_nc_u32_e32 v120, 8, v120
	s_delay_alu instid0(VALU_DEP_3)
	v_cmp_lt_u32_e32 vcc_lo, 2, v121
	s_or_b32 s2, vcc_lo, s2
	s_waitcnt vmcnt(0) lgkmcnt(0)
	v_fma_f64 v[113:114], v[122:123], v[124:125], v[113:114]
	s_and_not1_b32 exec_lo, exec_lo, s2
	s_cbranch_execnz .LBB119_581
; %bb.582:
	s_or_b32 exec_lo, exec_lo, s2
.LBB119_583:
	s_delay_alu instid0(SALU_CYCLE_1)
	s_or_b32 exec_lo, exec_lo, s1
	v_mov_b32_e32 v119, 0
	ds_load_b64 v[119:120], v119 offset:32
	s_waitcnt lgkmcnt(0)
	v_mul_f64 v[113:114], v[113:114], v[119:120]
	scratch_store_b64 off, v[113:114], off offset:32
.LBB119_584:
	s_or_b32 exec_lo, exec_lo, s0
	scratch_load_b64 v[113:114], off, off offset:40
	s_mov_b32 s0, exec_lo
	s_waitcnt vmcnt(0)
	ds_store_b64 v116, v[113:114]
	s_waitcnt lgkmcnt(0)
	s_waitcnt_vscnt null, 0x0
	s_barrier
	buffer_gl0_inv
	v_cmpx_gt_u32_e32 5, v0
	s_cbranch_execz .LBB119_594
; %bb.585:
	v_cmp_ne_u32_e32 vcc_lo, 1, v118
	s_cbranch_vccnz .LBB119_587
; %bb.586:
	scratch_load_b64 v[113:114], v117, off
	ds_load_b64 v[119:120], v116
	s_waitcnt vmcnt(0) lgkmcnt(0)
	v_mul_f64 v[113:114], v[113:114], v[119:120]
	s_cbranch_execz .LBB119_588
	s_branch .LBB119_589
.LBB119_587:
                                        ; implicit-def: $vgpr113_vgpr114
.LBB119_588:
	ds_load_b64 v[113:114], v116
.LBB119_589:
	s_mov_b32 s1, exec_lo
	v_cmpx_ne_u32_e32 4, v0
	s_cbranch_execz .LBB119_593
; %bb.590:
	v_add_nc_u32_e32 v119, 0x1c8, v115
	v_add3_u32 v120, 0, v115, 8
	v_mov_b32_e32 v121, v0
	s_mov_b32 s2, 0
.LBB119_591:                            ; =>This Inner Loop Header: Depth=1
	scratch_load_b64 v[122:123], v120, off
	ds_load_b64 v[124:125], v119
	v_add_nc_u32_e32 v121, 1, v121
	v_add_nc_u32_e32 v119, 8, v119
	v_add_nc_u32_e32 v120, 8, v120
	s_delay_alu instid0(VALU_DEP_3)
	v_cmp_lt_u32_e32 vcc_lo, 3, v121
	s_or_b32 s2, vcc_lo, s2
	s_waitcnt vmcnt(0) lgkmcnt(0)
	v_fma_f64 v[113:114], v[122:123], v[124:125], v[113:114]
	s_and_not1_b32 exec_lo, exec_lo, s2
	s_cbranch_execnz .LBB119_591
; %bb.592:
	s_or_b32 exec_lo, exec_lo, s2
.LBB119_593:
	s_delay_alu instid0(SALU_CYCLE_1)
	s_or_b32 exec_lo, exec_lo, s1
	v_mov_b32_e32 v119, 0
	ds_load_b64 v[119:120], v119 offset:40
	s_waitcnt lgkmcnt(0)
	v_mul_f64 v[113:114], v[113:114], v[119:120]
	scratch_store_b64 off, v[113:114], off offset:40
.LBB119_594:
	;; [unrolled: 58-line block ×42, first 2 shown]
	s_or_b32 exec_lo, exec_lo, s0
	scratch_load_b64 v[113:114], off, off offset:368
	s_mov_b32 s0, exec_lo
	s_waitcnt vmcnt(0)
	ds_store_b64 v116, v[113:114]
	s_waitcnt lgkmcnt(0)
	s_waitcnt_vscnt null, 0x0
	s_barrier
	buffer_gl0_inv
	v_cmpx_gt_u32_e32 46, v0
	s_cbranch_execz .LBB119_1004
; %bb.995:
	v_cmp_ne_u32_e32 vcc_lo, 1, v118
	s_cbranch_vccnz .LBB119_997
; %bb.996:
	scratch_load_b64 v[113:114], v117, off
	ds_load_b64 v[119:120], v116
	s_waitcnt vmcnt(0) lgkmcnt(0)
	v_mul_f64 v[113:114], v[113:114], v[119:120]
	s_cbranch_execz .LBB119_998
	s_branch .LBB119_999
.LBB119_997:
                                        ; implicit-def: $vgpr113_vgpr114
.LBB119_998:
	ds_load_b64 v[113:114], v116
.LBB119_999:
	s_mov_b32 s1, exec_lo
	v_cmpx_ne_u32_e32 45, v0
	s_cbranch_execz .LBB119_1003
; %bb.1000:
	v_add_nc_u32_e32 v119, 0x1c8, v115
	v_add3_u32 v120, 0, v115, 8
	v_mov_b32_e32 v121, v0
	s_mov_b32 s2, 0
.LBB119_1001:                           ; =>This Inner Loop Header: Depth=1
	scratch_load_b64 v[122:123], v120, off
	ds_load_b64 v[124:125], v119
	v_add_nc_u32_e32 v121, 1, v121
	v_add_nc_u32_e32 v119, 8, v119
	v_add_nc_u32_e32 v120, 8, v120
	s_delay_alu instid0(VALU_DEP_3)
	v_cmp_lt_u32_e32 vcc_lo, 44, v121
	s_or_b32 s2, vcc_lo, s2
	s_waitcnt vmcnt(0) lgkmcnt(0)
	v_fma_f64 v[113:114], v[122:123], v[124:125], v[113:114]
	s_and_not1_b32 exec_lo, exec_lo, s2
	s_cbranch_execnz .LBB119_1001
; %bb.1002:
	s_or_b32 exec_lo, exec_lo, s2
.LBB119_1003:
	s_delay_alu instid0(SALU_CYCLE_1)
	s_or_b32 exec_lo, exec_lo, s1
	v_mov_b32_e32 v119, 0
	ds_load_b64 v[119:120], v119 offset:368
	s_waitcnt lgkmcnt(0)
	v_mul_f64 v[113:114], v[113:114], v[119:120]
	scratch_store_b64 off, v[113:114], off offset:368
.LBB119_1004:
	s_or_b32 exec_lo, exec_lo, s0
	scratch_load_b64 v[113:114], off, off offset:376
	s_mov_b32 s0, exec_lo
	s_waitcnt vmcnt(0)
	ds_store_b64 v116, v[113:114]
	s_waitcnt lgkmcnt(0)
	s_waitcnt_vscnt null, 0x0
	s_barrier
	buffer_gl0_inv
	v_cmpx_gt_u32_e32 47, v0
	s_cbranch_execz .LBB119_1014
; %bb.1005:
	v_cmp_ne_u32_e32 vcc_lo, 1, v118
	s_cbranch_vccnz .LBB119_1007
; %bb.1006:
	scratch_load_b64 v[113:114], v117, off
	ds_load_b64 v[119:120], v116
	s_waitcnt vmcnt(0) lgkmcnt(0)
	v_mul_f64 v[113:114], v[113:114], v[119:120]
	s_cbranch_execz .LBB119_1008
	s_branch .LBB119_1009
.LBB119_1007:
                                        ; implicit-def: $vgpr113_vgpr114
.LBB119_1008:
	ds_load_b64 v[113:114], v116
.LBB119_1009:
	s_mov_b32 s1, exec_lo
	v_cmpx_ne_u32_e32 46, v0
	s_cbranch_execz .LBB119_1013
; %bb.1010:
	v_add_nc_u32_e32 v119, 0x1c8, v115
	v_add3_u32 v120, 0, v115, 8
	v_mov_b32_e32 v121, v0
	s_mov_b32 s2, 0
.LBB119_1011:                           ; =>This Inner Loop Header: Depth=1
	scratch_load_b64 v[122:123], v120, off
	ds_load_b64 v[124:125], v119
	v_add_nc_u32_e32 v121, 1, v121
	v_add_nc_u32_e32 v119, 8, v119
	v_add_nc_u32_e32 v120, 8, v120
	s_delay_alu instid0(VALU_DEP_3)
	v_cmp_lt_u32_e32 vcc_lo, 45, v121
	s_or_b32 s2, vcc_lo, s2
	s_waitcnt vmcnt(0) lgkmcnt(0)
	v_fma_f64 v[113:114], v[122:123], v[124:125], v[113:114]
	s_and_not1_b32 exec_lo, exec_lo, s2
	s_cbranch_execnz .LBB119_1011
; %bb.1012:
	s_or_b32 exec_lo, exec_lo, s2
.LBB119_1013:
	s_delay_alu instid0(SALU_CYCLE_1)
	s_or_b32 exec_lo, exec_lo, s1
	v_mov_b32_e32 v119, 0
	ds_load_b64 v[119:120], v119 offset:376
	s_waitcnt lgkmcnt(0)
	v_mul_f64 v[113:114], v[113:114], v[119:120]
	scratch_store_b64 off, v[113:114], off offset:376
.LBB119_1014:
	;; [unrolled: 58-line block ×8, first 2 shown]
	s_or_b32 exec_lo, exec_lo, s0
	scratch_load_b64 v[113:114], off, off offset:432
	v_cmp_gt_u32_e64 s0, 54, v0
	s_waitcnt vmcnt(0)
	ds_store_b64 v116, v[113:114]
	s_waitcnt lgkmcnt(0)
	s_waitcnt_vscnt null, 0x0
	s_barrier
	buffer_gl0_inv
	s_and_saveexec_b32 s1, s0
	s_cbranch_execz .LBB119_1084
; %bb.1075:
	v_cmp_ne_u32_e32 vcc_lo, 1, v118
	s_cbranch_vccnz .LBB119_1077
; %bb.1076:
	scratch_load_b64 v[113:114], v117, off
	ds_load_b64 v[119:120], v116
	s_waitcnt vmcnt(0) lgkmcnt(0)
	v_mul_f64 v[113:114], v[113:114], v[119:120]
	s_cbranch_execz .LBB119_1078
	s_branch .LBB119_1079
.LBB119_1077:
                                        ; implicit-def: $vgpr113_vgpr114
.LBB119_1078:
	ds_load_b64 v[113:114], v116
.LBB119_1079:
	s_mov_b32 s2, exec_lo
	v_cmpx_ne_u32_e32 53, v0
	s_cbranch_execz .LBB119_1083
; %bb.1080:
	v_add_nc_u32_e32 v119, 0x1c8, v115
	v_add3_u32 v120, 0, v115, 8
	v_mov_b32_e32 v121, v0
	s_mov_b32 s3, 0
.LBB119_1081:                           ; =>This Inner Loop Header: Depth=1
	scratch_load_b64 v[122:123], v120, off
	ds_load_b64 v[124:125], v119
	v_add_nc_u32_e32 v121, 1, v121
	v_add_nc_u32_e32 v119, 8, v119
	;; [unrolled: 1-line block ×3, first 2 shown]
	s_delay_alu instid0(VALU_DEP_3)
	v_cmp_lt_u32_e32 vcc_lo, 52, v121
	s_or_b32 s3, vcc_lo, s3
	s_waitcnt vmcnt(0) lgkmcnt(0)
	v_fma_f64 v[113:114], v[122:123], v[124:125], v[113:114]
	s_and_not1_b32 exec_lo, exec_lo, s3
	s_cbranch_execnz .LBB119_1081
; %bb.1082:
	s_or_b32 exec_lo, exec_lo, s3
.LBB119_1083:
	s_delay_alu instid0(SALU_CYCLE_1)
	s_or_b32 exec_lo, exec_lo, s2
	v_mov_b32_e32 v119, 0
	ds_load_b64 v[119:120], v119 offset:432
	s_waitcnt lgkmcnt(0)
	v_mul_f64 v[113:114], v[113:114], v[119:120]
	scratch_store_b64 off, v[113:114], off offset:432
.LBB119_1084:
	s_or_b32 exec_lo, exec_lo, s1
	scratch_load_b64 v[113:114], off, off offset:440
	s_mov_b32 s1, exec_lo
	s_waitcnt vmcnt(0)
	ds_store_b64 v116, v[113:114]
	s_waitcnt lgkmcnt(0)
	s_waitcnt_vscnt null, 0x0
	s_barrier
	buffer_gl0_inv
	v_cmpx_ne_u32_e32 55, v0
	s_cbranch_execz .LBB119_1094
; %bb.1085:
	v_cmp_ne_u32_e32 vcc_lo, 1, v118
	s_cbranch_vccnz .LBB119_1087
; %bb.1086:
	scratch_load_b64 v[113:114], v117, off
	ds_load_b64 v[117:118], v116
	s_waitcnt vmcnt(0) lgkmcnt(0)
	v_mul_f64 v[113:114], v[113:114], v[117:118]
	s_cbranch_execz .LBB119_1088
	s_branch .LBB119_1089
.LBB119_1087:
                                        ; implicit-def: $vgpr113_vgpr114
.LBB119_1088:
	ds_load_b64 v[113:114], v116
.LBB119_1089:
	s_and_saveexec_b32 s2, s0
	s_cbranch_execz .LBB119_1093
; %bb.1090:
	v_add_nc_u32_e32 v116, 0x1c8, v115
	v_add3_u32 v115, 0, v115, 8
	s_mov_b32 s0, 0
.LBB119_1091:                           ; =>This Inner Loop Header: Depth=1
	scratch_load_b64 v[117:118], v115, off
	ds_load_b64 v[119:120], v116
	v_add_nc_u32_e32 v0, 1, v0
	v_add_nc_u32_e32 v116, 8, v116
	;; [unrolled: 1-line block ×3, first 2 shown]
	s_delay_alu instid0(VALU_DEP_3)
	v_cmp_lt_u32_e32 vcc_lo, 53, v0
	s_or_b32 s0, vcc_lo, s0
	s_waitcnt vmcnt(0) lgkmcnt(0)
	v_fma_f64 v[113:114], v[117:118], v[119:120], v[113:114]
	s_and_not1_b32 exec_lo, exec_lo, s0
	s_cbranch_execnz .LBB119_1091
; %bb.1092:
	s_or_b32 exec_lo, exec_lo, s0
.LBB119_1093:
	s_delay_alu instid0(SALU_CYCLE_1)
	s_or_b32 exec_lo, exec_lo, s2
	v_mov_b32_e32 v0, 0
	ds_load_b64 v[115:116], v0 offset:440
	s_waitcnt lgkmcnt(0)
	v_mul_f64 v[113:114], v[113:114], v[115:116]
	scratch_store_b64 off, v[113:114], off offset:440
.LBB119_1094:
	s_or_b32 exec_lo, exec_lo, s1
.LBB119_1095:
	s_clause 0xd
	scratch_load_b128 v[113:116], off, off
	scratch_load_b128 v[117:120], off, off offset:16
	scratch_load_b128 v[121:124], off, off offset:32
	;; [unrolled: 1-line block ×13, first 2 shown]
	s_waitcnt vmcnt(13)
	s_clause 0x1
	global_store_b64 v[25:26], v[113:114], off
	global_store_b64 v[15:16], v[115:116], off
	scratch_load_b128 v[113:116], off, off offset:208
	s_waitcnt vmcnt(13)
	s_clause 0x1
	global_store_b64 v[29:30], v[117:118], off
	global_store_b64 v[17:18], v[119:120], off
	s_clause 0x1
	scratch_load_b128 v[15:18], off, off offset:240
	scratch_load_b128 v[117:120], off, off offset:256
	s_waitcnt vmcnt(14)
	s_clause 0x1
	global_store_b64 v[9:10], v[121:122], off
	global_store_b64 v[1:2], v[123:124], off
	scratch_load_b128 v[121:124], off, off offset:272
	s_waitcnt vmcnt(14)
	global_store_b64 v[11:12], v[125:126], off
	scratch_load_b128 v[9:12], off, off offset:288
	global_store_b64 v[5:6], v[127:128], off
	scratch_load_b128 v[125:128], off, off offset:304
	s_waitcnt vmcnt(15)
	global_store_b64 v[7:8], v[129:130], off
	scratch_load_b128 v[5:8], off, off offset:320
	global_store_b64 v[3:4], v[131:132], off
	s_clause 0x1
	scratch_load_b128 v[0:3], off, off offset:336
	scratch_load_b128 v[129:132], off, off offset:352
	s_waitcnt vmcnt(17)
	s_clause 0x1
	global_store_b64 v[35:36], v[133:134], off
	global_store_b64 v[33:34], v[135:136], off
	scratch_load_b128 v[33:36], off, off offset:368
	s_waitcnt vmcnt(17)
	global_store_b64 v[27:28], v[137:138], off
	s_clause 0x1
	scratch_load_b128 v[25:28], off, off offset:384
	scratch_load_b128 v[133:136], off, off offset:400
	global_store_b64 v[23:24], v[139:140], off
	scratch_load_b128 v[137:140], off, off offset:416
	s_waitcnt vmcnt(19)
	s_clause 0x1
	global_store_b64 v[19:20], v[141:142], off
	global_store_b64 v[21:22], v[143:144], off
	scratch_load_b128 v[19:22], off, off offset:432
	s_waitcnt vmcnt(19)
	s_clause 0x1
	global_store_b64 v[13:14], v[145:146], off
	global_store_b64 v[31:32], v[147:148], off
	s_waitcnt vmcnt(18)
	s_clause 0x1
	global_store_b64 v[37:38], v[149:150], off
	global_store_b64 v[41:42], v[151:152], off
	;; [unrolled: 4-line block ×6, first 2 shown]
	global_store_b64 v[59:60], v[165:166], off
	global_store_b64 v[61:62], v[167:168], off
	s_waitcnt vmcnt(12)
	s_clause 0x1
	global_store_b64 v[63:64], v[15:16], off
	global_store_b64 v[65:66], v[17:18], off
	s_waitcnt vmcnt(11)
	s_clause 0x1
	;; [unrolled: 4-line block ×13, first 2 shown]
	global_store_b64 v[107:108], v[19:20], off
	global_store_b64 v[39:40], v[21:22], off
.LBB119_1096:
	s_endpgm
	.section	.rodata,"a",@progbits
	.p2align	6, 0x0
	.amdhsa_kernel _ZN9rocsolver6v33100L18trti2_kernel_smallILi56EdPKPdEEv13rocblas_fill_17rocblas_diagonal_T1_iil
		.amdhsa_group_segment_fixed_size 896
		.amdhsa_private_segment_fixed_size 464
		.amdhsa_kernarg_size 32
		.amdhsa_user_sgpr_count 15
		.amdhsa_user_sgpr_dispatch_ptr 0
		.amdhsa_user_sgpr_queue_ptr 0
		.amdhsa_user_sgpr_kernarg_segment_ptr 1
		.amdhsa_user_sgpr_dispatch_id 0
		.amdhsa_user_sgpr_private_segment_size 0
		.amdhsa_wavefront_size32 1
		.amdhsa_uses_dynamic_stack 0
		.amdhsa_enable_private_segment 1
		.amdhsa_system_sgpr_workgroup_id_x 1
		.amdhsa_system_sgpr_workgroup_id_y 0
		.amdhsa_system_sgpr_workgroup_id_z 0
		.amdhsa_system_sgpr_workgroup_info 0
		.amdhsa_system_vgpr_workitem_id 0
		.amdhsa_next_free_vgpr 174
		.amdhsa_next_free_sgpr 25
		.amdhsa_reserve_vcc 1
		.amdhsa_float_round_mode_32 0
		.amdhsa_float_round_mode_16_64 0
		.amdhsa_float_denorm_mode_32 3
		.amdhsa_float_denorm_mode_16_64 3
		.amdhsa_dx10_clamp 1
		.amdhsa_ieee_mode 1
		.amdhsa_fp16_overflow 0
		.amdhsa_workgroup_processor_mode 1
		.amdhsa_memory_ordered 1
		.amdhsa_forward_progress 0
		.amdhsa_shared_vgpr_count 0
		.amdhsa_exception_fp_ieee_invalid_op 0
		.amdhsa_exception_fp_denorm_src 0
		.amdhsa_exception_fp_ieee_div_zero 0
		.amdhsa_exception_fp_ieee_overflow 0
		.amdhsa_exception_fp_ieee_underflow 0
		.amdhsa_exception_fp_ieee_inexact 0
		.amdhsa_exception_int_div_zero 0
	.end_amdhsa_kernel
	.section	.text._ZN9rocsolver6v33100L18trti2_kernel_smallILi56EdPKPdEEv13rocblas_fill_17rocblas_diagonal_T1_iil,"axG",@progbits,_ZN9rocsolver6v33100L18trti2_kernel_smallILi56EdPKPdEEv13rocblas_fill_17rocblas_diagonal_T1_iil,comdat
.Lfunc_end119:
	.size	_ZN9rocsolver6v33100L18trti2_kernel_smallILi56EdPKPdEEv13rocblas_fill_17rocblas_diagonal_T1_iil, .Lfunc_end119-_ZN9rocsolver6v33100L18trti2_kernel_smallILi56EdPKPdEEv13rocblas_fill_17rocblas_diagonal_T1_iil
                                        ; -- End function
	.section	.AMDGPU.csdata,"",@progbits
; Kernel info:
; codeLenInByte = 30728
; NumSgprs: 27
; NumVgprs: 174
; ScratchSize: 464
; MemoryBound: 0
; FloatMode: 240
; IeeeMode: 1
; LDSByteSize: 896 bytes/workgroup (compile time only)
; SGPRBlocks: 3
; VGPRBlocks: 21
; NumSGPRsForWavesPerEU: 27
; NumVGPRsForWavesPerEU: 174
; Occupancy: 8
; WaveLimiterHint : 1
; COMPUTE_PGM_RSRC2:SCRATCH_EN: 1
; COMPUTE_PGM_RSRC2:USER_SGPR: 15
; COMPUTE_PGM_RSRC2:TRAP_HANDLER: 0
; COMPUTE_PGM_RSRC2:TGID_X_EN: 1
; COMPUTE_PGM_RSRC2:TGID_Y_EN: 0
; COMPUTE_PGM_RSRC2:TGID_Z_EN: 0
; COMPUTE_PGM_RSRC2:TIDIG_COMP_CNT: 0
	.section	.text._ZN9rocsolver6v33100L18trti2_kernel_smallILi57EdPKPdEEv13rocblas_fill_17rocblas_diagonal_T1_iil,"axG",@progbits,_ZN9rocsolver6v33100L18trti2_kernel_smallILi57EdPKPdEEv13rocblas_fill_17rocblas_diagonal_T1_iil,comdat
	.globl	_ZN9rocsolver6v33100L18trti2_kernel_smallILi57EdPKPdEEv13rocblas_fill_17rocblas_diagonal_T1_iil ; -- Begin function _ZN9rocsolver6v33100L18trti2_kernel_smallILi57EdPKPdEEv13rocblas_fill_17rocblas_diagonal_T1_iil
	.p2align	8
	.type	_ZN9rocsolver6v33100L18trti2_kernel_smallILi57EdPKPdEEv13rocblas_fill_17rocblas_diagonal_T1_iil,@function
_ZN9rocsolver6v33100L18trti2_kernel_smallILi57EdPKPdEEv13rocblas_fill_17rocblas_diagonal_T1_iil: ; @_ZN9rocsolver6v33100L18trti2_kernel_smallILi57EdPKPdEEv13rocblas_fill_17rocblas_diagonal_T1_iil
; %bb.0:
	s_mov_b32 s2, exec_lo
	v_cmpx_gt_u32_e32 57, v0
	s_cbranch_execz .LBB120_1116
; %bb.1:
	s_clause 0x1
	s_load_b64 s[4:5], s[0:1], 0x10
	s_load_b128 s[0:3], s[0:1], 0x0
	s_mov_b32 s6, s15
	s_ashr_i32 s7, s15, 31
	v_lshlrev_b32_e32 v139, 3, v0
	s_lshl_b64 s[6:7], s[6:7], 3
	s_waitcnt lgkmcnt(0)
	s_ashr_i32 s9, s4, 31
	v_add3_u32 v1, s5, s5, v0
	s_add_u32 s2, s2, s6
	s_addc_u32 s3, s3, s7
	s_mov_b32 s8, s4
	s_load_b64 s[2:3], s[2:3], 0x0
	v_add_nc_u32_e32 v3, s5, v1
	v_ashrrev_i32_e32 v2, 31, v1
	s_lshl_b64 s[8:9], s[8:9], 3
	s_mov_b32 s6, s5
	s_delay_alu instid0(VALU_DEP_2) | instskip(SKIP_2) | instid1(VALU_DEP_3)
	v_add_nc_u32_e32 v5, s5, v3
	v_ashrrev_i32_e32 v4, 31, v3
	v_lshlrev_b64 v[9:10], 3, v[1:2]
	v_add_nc_u32_e32 v7, s5, v5
	v_ashrrev_i32_e32 v6, 31, v5
	s_delay_alu instid0(VALU_DEP_4) | instskip(NEXT) | instid1(VALU_DEP_3)
	v_lshlrev_b64 v[3:4], 3, v[3:4]
	v_add_nc_u32_e32 v11, s5, v7
	s_delay_alu instid0(VALU_DEP_3)
	v_lshlrev_b64 v[5:6], 3, v[5:6]
	v_ashrrev_i32_e32 v8, 31, v7
	s_waitcnt lgkmcnt(0)
	s_add_u32 s2, s2, s8
	s_addc_u32 s3, s3, s9
	v_add_nc_u32_e32 v13, s5, v11
	v_add_co_u32 v45, vcc_lo, s2, v9
	v_add_co_ci_u32_e32 v46, vcc_lo, s3, v10, vcc_lo
	v_add_co_u32 v39, vcc_lo, s2, v3
	v_ashrrev_i32_e32 v12, 31, v11
	v_add_co_u32 v55, s4, s2, v139
	s_ashr_i32 s7, s5, 31
	v_add_co_ci_u32_e32 v40, vcc_lo, s3, v4, vcc_lo
	v_ashrrev_i32_e32 v14, 31, v13
	v_add_nc_u32_e32 v15, s5, v13
	v_lshlrev_b64 v[7:8], 3, v[7:8]
	v_add_co_ci_u32_e64 v56, null, s3, 0, s4
	v_add_co_u32 v37, vcc_lo, s2, v5
	s_lshl_b64 s[6:7], s[6:7], 3
	v_add_co_ci_u32_e32 v38, vcc_lo, s3, v6, vcc_lo
	v_add_co_u32 v51, vcc_lo, v55, s6
	v_lshlrev_b64 v[3:4], 3, v[11:12]
	v_lshlrev_b64 v[11:12], 3, v[13:14]
	v_add_nc_u32_e32 v13, s5, v15
	v_add_co_ci_u32_e32 v52, vcc_lo, s7, v56, vcc_lo
	v_add_co_u32 v41, vcc_lo, s2, v7
	v_ashrrev_i32_e32 v16, 31, v15
	v_add_co_ci_u32_e32 v42, vcc_lo, s3, v8, vcc_lo
	v_add_co_u32 v43, vcc_lo, s2, v3
	v_ashrrev_i32_e32 v14, 31, v13
	v_add_co_ci_u32_e32 v44, vcc_lo, s3, v4, vcc_lo
	v_lshlrev_b64 v[15:16], 3, v[15:16]
	v_add_co_u32 v47, vcc_lo, s2, v11
	v_add_co_ci_u32_e32 v48, vcc_lo, s3, v12, vcc_lo
	v_lshlrev_b64 v[11:12], 3, v[13:14]
	global_load_b64 v[1:2], v139, s[2:3]
	v_add_co_u32 v49, vcc_lo, s2, v15
	s_clause 0x3
	global_load_b64 v[3:4], v[51:52], off
	global_load_b64 v[5:6], v[45:46], off
	;; [unrolled: 1-line block ×4, first 2 shown]
	v_add_co_ci_u32_e32 v50, vcc_lo, s3, v16, vcc_lo
	v_add_co_u32 v53, vcc_lo, s2, v11
	v_add_co_ci_u32_e32 v54, vcc_lo, s3, v12, vcc_lo
	s_clause 0x4
	global_load_b64 v[11:12], v[41:42], off
	global_load_b64 v[133:134], v[43:44], off
	;; [unrolled: 1-line block ×5, first 2 shown]
	v_add_nc_u32_e32 v13, s5, v13
	s_cmpk_lg_i32 s1, 0x84
	s_delay_alu instid0(VALU_DEP_1) | instskip(SKIP_1) | instid1(VALU_DEP_2)
	v_add_nc_u32_e32 v15, s5, v13
	v_ashrrev_i32_e32 v14, 31, v13
	v_add_nc_u32_e32 v17, s5, v15
	v_ashrrev_i32_e32 v16, 31, v15
	s_delay_alu instid0(VALU_DEP_3) | instskip(NEXT) | instid1(VALU_DEP_3)
	v_lshlrev_b64 v[13:14], 3, v[13:14]
	v_ashrrev_i32_e32 v18, 31, v17
	v_add_nc_u32_e32 v19, s5, v17
	s_delay_alu instid0(VALU_DEP_4) | instskip(NEXT) | instid1(VALU_DEP_4)
	v_lshlrev_b64 v[15:16], 3, v[15:16]
	v_add_co_u32 v85, vcc_lo, s2, v13
	v_add_co_ci_u32_e32 v86, vcc_lo, s3, v14, vcc_lo
	v_lshlrev_b64 v[13:14], 3, v[17:18]
	v_ashrrev_i32_e32 v20, 31, v19
	v_add_nc_u32_e32 v17, s5, v19
	v_add_co_u32 v81, vcc_lo, s2, v15
	v_add_co_ci_u32_e32 v82, vcc_lo, s3, v16, vcc_lo
	s_delay_alu instid0(VALU_DEP_4) | instskip(NEXT) | instid1(VALU_DEP_4)
	v_lshlrev_b64 v[15:16], 3, v[19:20]
	v_add_nc_u32_e32 v19, s5, v17
	v_ashrrev_i32_e32 v18, 31, v17
	v_add_co_u32 v75, vcc_lo, s2, v13
	v_add_co_ci_u32_e32 v76, vcc_lo, s3, v14, vcc_lo
	s_delay_alu instid0(VALU_DEP_4) | instskip(NEXT) | instid1(VALU_DEP_4)
	v_add_nc_u32_e32 v23, s5, v19
	v_lshlrev_b64 v[21:22], 3, v[17:18]
	v_add_co_u32 v73, vcc_lo, s2, v15
	v_ashrrev_i32_e32 v20, 31, v19
	s_delay_alu instid0(VALU_DEP_4)
	v_ashrrev_i32_e32 v24, 31, v23
	v_add_nc_u32_e32 v25, s5, v23
	v_add_co_ci_u32_e32 v74, vcc_lo, s3, v16, vcc_lo
	v_add_co_u32 v69, vcc_lo, s2, v21
	v_add_co_ci_u32_e32 v70, vcc_lo, s3, v22, vcc_lo
	v_lshlrev_b64 v[21:22], 3, v[23:24]
	v_add_nc_u32_e32 v23, s5, v25
	v_lshlrev_b64 v[19:20], 3, v[19:20]
	v_ashrrev_i32_e32 v26, 31, v25
	s_clause 0x2
	global_load_b64 v[13:14], v[85:86], off
	global_load_b64 v[15:16], v[81:82], off
	;; [unrolled: 1-line block ×3, first 2 shown]
	v_add_nc_u32_e32 v27, s5, v23
	v_ashrrev_i32_e32 v24, 31, v23
	v_add_co_u32 v63, vcc_lo, s2, v19
	v_add_co_ci_u32_e32 v64, vcc_lo, s3, v20, vcc_lo
	v_lshlrev_b64 v[19:20], 3, v[25:26]
	v_add_nc_u32_e32 v31, s5, v27
	v_add_co_u32 v57, vcc_lo, s2, v21
	v_lshlrev_b64 v[29:30], 3, v[23:24]
	v_add_co_ci_u32_e32 v58, vcc_lo, s3, v22, vcc_lo
	v_add_co_u32 v59, vcc_lo, s2, v19
	v_ashrrev_i32_e32 v32, 31, v31
	v_add_nc_u32_e32 v33, s5, v31
	v_add_co_ci_u32_e32 v60, vcc_lo, s3, v20, vcc_lo
	v_add_co_u32 v61, vcc_lo, s2, v29
	v_add_co_ci_u32_e32 v62, vcc_lo, s3, v30, vcc_lo
	v_lshlrev_b64 v[29:30], 3, v[31:32]
	v_add_nc_u32_e32 v31, s5, v33
	v_ashrrev_i32_e32 v28, 31, v27
	v_ashrrev_i32_e32 v34, 31, v33
	s_clause 0x3
	global_load_b64 v[19:20], v[73:74], off
	global_load_b64 v[21:22], v[69:70], off
	global_load_b64 v[23:24], v[63:64], off
	global_load_b64 v[25:26], v[57:58], off
	v_add_nc_u32_e32 v35, s5, v31
	v_lshlrev_b64 v[27:28], 3, v[27:28]
	v_ashrrev_i32_e32 v32, 31, v31
	s_delay_alu instid0(VALU_DEP_3) | instskip(SKIP_1) | instid1(VALU_DEP_4)
	v_add_nc_u32_e32 v79, s5, v35
	v_ashrrev_i32_e32 v36, 31, v35
	v_add_co_u32 v65, vcc_lo, s2, v27
	v_add_co_ci_u32_e32 v66, vcc_lo, s3, v28, vcc_lo
	s_delay_alu instid0(VALU_DEP_4) | instskip(SKIP_3) | instid1(VALU_DEP_4)
	v_add_nc_u32_e32 v83, s5, v79
	v_lshlrev_b64 v[27:28], 3, v[33:34]
	v_add_co_u32 v67, vcc_lo, s2, v29
	v_lshlrev_b64 v[77:78], 3, v[31:32]
	v_add_nc_u32_e32 v89, s5, v83
	v_add_co_ci_u32_e32 v68, vcc_lo, s3, v30, vcc_lo
	v_add_co_u32 v71, vcc_lo, s2, v27
	s_delay_alu instid0(VALU_DEP_3) | instskip(SKIP_3) | instid1(VALU_DEP_4)
	v_add_nc_u32_e32 v91, s5, v89
	v_lshlrev_b64 v[35:36], 3, v[35:36]
	v_ashrrev_i32_e32 v80, 31, v79
	v_add_co_ci_u32_e32 v72, vcc_lo, s3, v28, vcc_lo
	v_add_nc_u32_e32 v93, s5, v91
	v_add_co_u32 v77, vcc_lo, s2, v77
	v_ashrrev_i32_e32 v84, 31, v83
	v_add_co_ci_u32_e32 v78, vcc_lo, s3, v78, vcc_lo
	s_delay_alu instid0(VALU_DEP_4) | instskip(SKIP_3) | instid1(VALU_DEP_4)
	v_add_nc_u32_e32 v95, s5, v93
	v_lshlrev_b64 v[87:88], 3, v[79:80]
	v_add_co_u32 v79, vcc_lo, s2, v35
	v_ashrrev_i32_e32 v90, 31, v89
	v_add_nc_u32_e32 v97, s5, v95
	v_add_co_ci_u32_e32 v80, vcc_lo, s3, v36, vcc_lo
	v_lshlrev_b64 v[35:36], 3, v[83:84]
	v_ashrrev_i32_e32 v92, 31, v91
	s_delay_alu instid0(VALU_DEP_4) | instskip(SKIP_3) | instid1(VALU_DEP_4)
	v_add_nc_u32_e32 v99, s5, v97
	v_add_co_u32 v83, vcc_lo, s2, v87
	v_lshlrev_b64 v[89:90], 3, v[89:90]
	v_ashrrev_i32_e32 v94, 31, v93
	v_add_nc_u32_e32 v101, s5, v99
	v_add_co_ci_u32_e32 v84, vcc_lo, s3, v88, vcc_lo
	v_add_co_u32 v87, vcc_lo, s2, v35
	s_delay_alu instid0(VALU_DEP_3) | instskip(SKIP_3) | instid1(VALU_DEP_4)
	v_add_nc_u32_e32 v103, s5, v101
	v_lshlrev_b64 v[91:92], 3, v[91:92]
	v_ashrrev_i32_e32 v96, 31, v95
	v_add_co_ci_u32_e32 v88, vcc_lo, s3, v36, vcc_lo
	v_add_nc_u32_e32 v105, s5, v103
	v_add_co_u32 v89, vcc_lo, s2, v89
	v_lshlrev_b64 v[93:94], 3, v[93:94]
	v_ashrrev_i32_e32 v98, 31, v97
	s_delay_alu instid0(VALU_DEP_4) | instskip(SKIP_2) | instid1(VALU_DEP_3)
	v_add_nc_u32_e32 v107, s5, v105
	v_add_co_ci_u32_e32 v90, vcc_lo, s3, v90, vcc_lo
	v_add_co_u32 v91, vcc_lo, s2, v91
	v_add_nc_u32_e32 v109, s5, v107
	v_lshlrev_b64 v[95:96], 3, v[95:96]
	v_ashrrev_i32_e32 v100, 31, v99
	v_add_co_ci_u32_e32 v92, vcc_lo, s3, v92, vcc_lo
	s_delay_alu instid0(VALU_DEP_4) | instskip(SKIP_3) | instid1(VALU_DEP_4)
	v_add_nc_u32_e32 v111, s5, v109
	v_add_co_u32 v93, vcc_lo, s2, v93
	v_lshlrev_b64 v[97:98], 3, v[97:98]
	v_ashrrev_i32_e32 v102, 31, v101
	v_add_nc_u32_e32 v113, s5, v111
	v_add_co_ci_u32_e32 v94, vcc_lo, s3, v94, vcc_lo
	v_add_co_u32 v95, vcc_lo, s2, v95
	s_delay_alu instid0(VALU_DEP_3) | instskip(SKIP_3) | instid1(VALU_DEP_4)
	v_add_nc_u32_e32 v115, s5, v113
	v_lshlrev_b64 v[99:100], 3, v[99:100]
	v_ashrrev_i32_e32 v104, 31, v103
	v_add_co_ci_u32_e32 v96, vcc_lo, s3, v96, vcc_lo
	v_add_nc_u32_e32 v117, s5, v115
	v_add_co_u32 v97, vcc_lo, s2, v97
	v_lshlrev_b64 v[101:102], 3, v[101:102]
	v_ashrrev_i32_e32 v106, 31, v105
	s_delay_alu instid0(VALU_DEP_4)
	v_add_nc_u32_e32 v119, s5, v117
	v_add_co_ci_u32_e32 v98, vcc_lo, s3, v98, vcc_lo
	v_add_co_u32 v99, vcc_lo, s2, v99
	v_lshlrev_b64 v[103:104], 3, v[103:104]
	v_ashrrev_i32_e32 v108, 31, v107
	v_add_co_ci_u32_e32 v100, vcc_lo, s3, v100, vcc_lo
	v_add_co_u32 v101, vcc_lo, s2, v101
	v_lshlrev_b64 v[105:106], 3, v[105:106]
	v_add_nc_u32_e32 v121, s5, v119
	v_ashrrev_i32_e32 v110, 31, v109
	v_add_co_ci_u32_e32 v102, vcc_lo, s3, v102, vcc_lo
	v_add_co_u32 v103, vcc_lo, s2, v103
	v_lshlrev_b64 v[107:108], 3, v[107:108]
	v_ashrrev_i32_e32 v112, 31, v111
	v_add_co_ci_u32_e32 v104, vcc_lo, s3, v104, vcc_lo
	v_add_nc_u32_e32 v123, s5, v121
	v_add_co_u32 v105, vcc_lo, s2, v105
	v_lshlrev_b64 v[109:110], 3, v[109:110]
	v_ashrrev_i32_e32 v114, 31, v113
	v_add_co_ci_u32_e32 v106, vcc_lo, s3, v106, vcc_lo
	v_add_co_u32 v107, vcc_lo, s2, v107
	v_lshlrev_b64 v[111:112], 3, v[111:112]
	v_ashrrev_i32_e32 v116, 31, v115
	v_add_nc_u32_e32 v125, s5, v123
	v_add_co_ci_u32_e32 v108, vcc_lo, s3, v108, vcc_lo
	v_add_co_u32 v109, vcc_lo, s2, v109
	v_lshlrev_b64 v[113:114], 3, v[113:114]
	v_ashrrev_i32_e32 v118, 31, v117
	v_add_co_ci_u32_e32 v110, vcc_lo, s3, v110, vcc_lo
	v_add_co_u32 v111, vcc_lo, s2, v111
	v_lshlrev_b64 v[115:116], 3, v[115:116]
	v_add_nc_u32_e32 v127, s5, v125
	v_ashrrev_i32_e32 v120, 31, v119
	v_add_co_ci_u32_e32 v112, vcc_lo, s3, v112, vcc_lo
	v_add_co_u32 v113, vcc_lo, s2, v113
	v_lshlrev_b64 v[117:118], 3, v[117:118]
	v_ashrrev_i32_e32 v122, 31, v121
	v_add_co_ci_u32_e32 v114, vcc_lo, s3, v114, vcc_lo
	v_add_nc_u32_e32 v129, s5, v127
	v_add_co_u32 v115, vcc_lo, s2, v115
	v_lshlrev_b64 v[119:120], 3, v[119:120]
	v_ashrrev_i32_e32 v124, 31, v123
	v_add_co_ci_u32_e32 v116, vcc_lo, s3, v116, vcc_lo
	v_add_co_u32 v117, vcc_lo, s2, v117
	v_lshlrev_b64 v[121:122], 3, v[121:122]
	v_ashrrev_i32_e32 v126, 31, v125
	v_add_nc_u32_e32 v131, s5, v129
	v_add_co_ci_u32_e32 v118, vcc_lo, s3, v118, vcc_lo
	v_add_co_u32 v119, vcc_lo, s2, v119
	v_lshlrev_b64 v[123:124], 3, v[123:124]
	v_ashrrev_i32_e32 v128, 31, v127
	v_add_co_ci_u32_e32 v120, vcc_lo, s3, v120, vcc_lo
	v_add_co_u32 v121, vcc_lo, s2, v121
	v_lshlrev_b64 v[125:126], 3, v[125:126]
	v_add_nc_u32_e32 v137, s5, v131
	v_ashrrev_i32_e32 v130, 31, v129
	v_add_co_ci_u32_e32 v122, vcc_lo, s3, v122, vcc_lo
	v_add_co_u32 v123, vcc_lo, s2, v123
	v_lshlrev_b64 v[127:128], 3, v[127:128]
	v_ashrrev_i32_e32 v132, 31, v131
	v_add_co_ci_u32_e32 v124, vcc_lo, s3, v124, vcc_lo
	v_add_nc_u32_e32 v160, s5, v137
	v_add_co_u32 v125, vcc_lo, s2, v125
	v_lshlrev_b64 v[129:130], 3, v[129:130]
	v_ashrrev_i32_e32 v138, 31, v137
	v_add_co_ci_u32_e32 v126, vcc_lo, s3, v126, vcc_lo
	v_add_co_u32 v127, vcc_lo, s2, v127
	v_lshlrev_b64 v[131:132], 3, v[131:132]
	v_add_nc_u32_e32 v162, s5, v160
	v_add_co_ci_u32_e32 v128, vcc_lo, s3, v128, vcc_lo
	v_add_co_u32 v129, vcc_lo, s2, v129
	v_lshlrev_b64 v[137:138], 3, v[137:138]
	v_add_co_ci_u32_e32 v130, vcc_lo, s3, v130, vcc_lo
	v_add_co_u32 v131, vcc_lo, s2, v131
	v_ashrrev_i32_e32 v163, 31, v162
	v_add_nc_u32_e32 v164, s5, v162
	v_add_co_ci_u32_e32 v132, vcc_lo, s3, v132, vcc_lo
	s_clause 0xc
	global_load_b64 v[27:28], v[59:60], off
	global_load_b64 v[29:30], v[61:62], off
	;; [unrolled: 1-line block ×13, first 2 shown]
	v_ashrrev_i32_e32 v161, 31, v160
	v_ashrrev_i32_e32 v165, 31, v164
	s_delay_alu instid0(VALU_DEP_2)
	v_lshlrev_b64 v[160:161], 3, v[160:161]
	s_waitcnt vmcnt(28)
	scratch_store_b128 off, v[1:4], off
	v_add_co_u32 v1, vcc_lo, s2, v137
	v_add_co_ci_u32_e32 v2, vcc_lo, s3, v138, vcc_lo
	v_lshlrev_b64 v[137:138], 3, v[162:163]
	v_add_nc_u32_e32 v162, s5, v164
	s_waitcnt vmcnt(26)
	scratch_store_b128 off, v[5:8], off offset:16
	s_waitcnt vmcnt(24)
	scratch_store_b128 off, v[9:12], off offset:32
	;; [unrolled: 2-line block ×4, first 2 shown]
	v_add_nc_u32_e32 v9, s5, v162
	v_add_co_u32 v3, vcc_lo, s2, v160
	v_add_co_ci_u32_e32 v4, vcc_lo, s3, v161, vcc_lo
	s_delay_alu instid0(VALU_DEP_3) | instskip(SKIP_3) | instid1(VALU_DEP_4)
	v_add_nc_u32_e32 v133, s5, v9
	v_ashrrev_i32_e32 v163, 31, v162
	v_add_co_u32 v5, vcc_lo, s2, v137
	v_lshlrev_b64 v[7:8], 3, v[164:165]
	v_add_nc_u32_e32 v137, s5, v133
	v_ashrrev_i32_e32 v10, 31, v9
	v_lshlrev_b64 v[11:12], 3, v[162:163]
	v_add_co_ci_u32_e32 v6, vcc_lo, s3, v138, vcc_lo
	s_delay_alu instid0(VALU_DEP_4)
	v_add_nc_u32_e32 v140, s5, v137
	v_add_co_u32 v7, vcc_lo, s2, v7
	v_lshlrev_b64 v[135:136], 3, v[9:10]
	v_add_co_ci_u32_e32 v8, vcc_lo, s3, v8, vcc_lo
	v_add_co_u32 v9, vcc_lo, s2, v11
	v_ashrrev_i32_e32 v138, 31, v137
	v_ashrrev_i32_e32 v141, 31, v140
	v_add_co_ci_u32_e32 v10, vcc_lo, s3, v12, vcc_lo
	v_add_co_u32 v11, vcc_lo, s2, v135
	v_add_co_ci_u32_e32 v12, vcc_lo, s3, v136, vcc_lo
	v_lshlrev_b64 v[135:136], 3, v[137:138]
	v_lshlrev_b64 v[137:138], 3, v[140:141]
	s_clause 0x3
	global_load_b64 v[140:141], v[97:98], off
	global_load_b64 v[142:143], v[99:100], off
	;; [unrolled: 1-line block ×4, first 2 shown]
	v_ashrrev_i32_e32 v134, 31, v133
	s_waitcnt vmcnt(22)
	scratch_store_b128 off, v[13:16], off offset:80
	s_waitcnt vmcnt(20)
	scratch_store_b128 off, v[17:20], off offset:96
	v_lshlrev_b64 v[133:134], 3, v[133:134]
	s_clause 0x2
	global_load_b64 v[13:14], v[105:106], off
	global_load_b64 v[15:16], v[107:108], off
	;; [unrolled: 1-line block ×3, first 2 shown]
	s_waitcnt vmcnt(21)
	scratch_store_b128 off, v[21:24], off offset:112
	s_waitcnt vmcnt(19)
	scratch_store_b128 off, v[25:28], off offset:128
	v_add_co_u32 v133, vcc_lo, s2, v133
	v_add_co_ci_u32_e32 v134, vcc_lo, s3, v134, vcc_lo
	s_clause 0x3
	global_load_b64 v[19:20], v[111:112], off
	global_load_b64 v[21:22], v[113:114], off
	;; [unrolled: 1-line block ×4, first 2 shown]
	s_waitcnt vmcnt(21)
	scratch_store_b128 off, v[29:32], off offset:144
	s_waitcnt vmcnt(19)
	scratch_store_b128 off, v[33:36], off offset:160
	v_add_co_u32 v135, vcc_lo, s2, v135
	s_clause 0x3
	global_load_b64 v[27:28], v[119:120], off
	global_load_b64 v[29:30], v[121:122], off
	;; [unrolled: 1-line block ×4, first 2 shown]
	s_waitcnt vmcnt(21)
	scratch_store_b128 off, v[144:147], off offset:176
	s_waitcnt vmcnt(19)
	scratch_store_b128 off, v[148:151], off offset:192
	s_clause 0x3
	global_load_b64 v[35:36], v[127:128], off
	global_load_b64 v[144:145], v[129:130], off
	;; [unrolled: 1-line block ×4, first 2 shown]
	s_waitcnt vmcnt(21)
	scratch_store_b128 off, v[152:155], off offset:208
	s_waitcnt vmcnt(19)
	scratch_store_b128 off, v[156:159], off offset:224
	v_add_co_ci_u32_e32 v136, vcc_lo, s3, v136, vcc_lo
	s_clause 0x3
	global_load_b64 v[150:151], v[3:4], off
	global_load_b64 v[152:153], v[5:6], off
	;; [unrolled: 1-line block ×4, first 2 shown]
	v_add_co_u32 v137, vcc_lo, s2, v137
	v_add_co_ci_u32_e32 v138, vcc_lo, s3, v138, vcc_lo
	s_cselect_b32 s3, -1, 0
	s_cmpk_eq_i32 s1, 0x84
	s_waitcnt vmcnt(21)
	scratch_store_b128 off, v[140:143], off offset:240
	s_waitcnt vmcnt(19)
	scratch_store_b128 off, v[160:163], off offset:256
	s_clause 0x3
	global_load_b64 v[158:159], v[11:12], off
	global_load_b64 v[140:141], v[133:134], off
	;; [unrolled: 1-line block ×4, first 2 shown]
	s_waitcnt vmcnt(21)
	scratch_store_b128 off, v[13:16], off offset:272
	s_waitcnt vmcnt(19)
	scratch_store_b128 off, v[17:20], off offset:288
	;; [unrolled: 2-line block ×9, first 2 shown]
	v_mov_b32_e32 v13, 0
	v_mov_b32_e32 v14, 0xbff00000
	s_waitcnt vmcnt(3)
	scratch_store_b128 off, v[156:159], off offset:416
	s_waitcnt vmcnt(1)
	scratch_store_b128 off, v[140:143], off offset:432
	s_waitcnt vmcnt(0)
	scratch_store_b64 off, v[160:161], off offset:448
	s_cbranch_scc1 .LBB120_3
; %bb.2:
	scratch_load_b64 v[13:14], v139, off
	s_waitcnt vmcnt(0)
	v_div_scale_f64 v[15:16], null, v[13:14], v[13:14], 1.0
	v_div_scale_f64 v[21:22], vcc_lo, 1.0, v[13:14], 1.0
	s_delay_alu instid0(VALU_DEP_2) | instskip(SKIP_2) | instid1(VALU_DEP_1)
	v_rcp_f64_e32 v[17:18], v[15:16]
	s_waitcnt_depctr 0xfff
	v_fma_f64 v[19:20], -v[15:16], v[17:18], 1.0
	v_fma_f64 v[17:18], v[17:18], v[19:20], v[17:18]
	s_delay_alu instid0(VALU_DEP_1) | instskip(NEXT) | instid1(VALU_DEP_1)
	v_fma_f64 v[19:20], -v[15:16], v[17:18], 1.0
	v_fma_f64 v[17:18], v[17:18], v[19:20], v[17:18]
	s_delay_alu instid0(VALU_DEP_1) | instskip(NEXT) | instid1(VALU_DEP_1)
	v_mul_f64 v[19:20], v[21:22], v[17:18]
	v_fma_f64 v[15:16], -v[15:16], v[19:20], v[21:22]
	s_delay_alu instid0(VALU_DEP_1) | instskip(NEXT) | instid1(VALU_DEP_1)
	v_div_fmas_f64 v[15:16], v[15:16], v[17:18], v[19:20]
	v_div_fixup_f64 v[13:14], v[15:16], v[13:14], 1.0
	scratch_store_b64 v139, v[13:14], off
	v_xor_b32_e32 v14, 0x80000000, v14
.LBB120_3:
	v_add_nc_u32_e32 v15, 0x1d0, v139
	v_add_nc_u32_e32 v16, 0, v139
	s_cmpk_eq_i32 s0, 0x79
	s_mov_b32 s0, -1
	ds_store_b64 v139, v[13:14]
	s_cbranch_scc1 .LBB120_559
; %bb.4:
	scratch_load_b64 v[13:14], off, off offset:440
	v_cmp_eq_u32_e64 s0, 56, v0
	s_movk_i32 s1, 0x50
	s_movk_i32 s2, 0x60
	;; [unrolled: 1-line block ×23, first 2 shown]
	s_waitcnt vmcnt(0)
	ds_store_b64 v15, v[13:14]
	s_waitcnt lgkmcnt(0)
	s_waitcnt_vscnt null, 0x0
	s_barrier
	buffer_gl0_inv
	s_and_saveexec_b32 s25, s0
	s_cbranch_execz .LBB120_10
; %bb.5:
	s_and_b32 vcc_lo, exec_lo, s3
	s_cbranch_vccz .LBB120_7
; %bb.6:
	scratch_load_b64 v[13:14], v16, off
	ds_load_b64 v[17:18], v15
	s_waitcnt vmcnt(0) lgkmcnt(0)
	v_mul_f64 v[13:14], v[13:14], v[17:18]
	s_cbranch_execz .LBB120_8
	s_branch .LBB120_9
.LBB120_7:
                                        ; implicit-def: $vgpr13_vgpr14
.LBB120_8:
	ds_load_b64 v[13:14], v15
.LBB120_9:
	v_mov_b32_e32 v17, 0
	ds_load_b64 v[17:18], v17 offset:440
	s_waitcnt lgkmcnt(0)
	v_mul_f64 v[13:14], v[13:14], v[17:18]
	scratch_store_b64 off, v[13:14], off offset:440
.LBB120_10:
	s_or_b32 exec_lo, exec_lo, s25
	scratch_load_b64 v[13:14], off, off offset:432
	v_add_nc_u32_e64 v17, 0, 16
	v_add_nc_u32_e64 v18, 0, 32
	;; [unrolled: 1-line block ×27, first 2 shown]
	v_cmp_lt_u32_e64 s2, 54, v0
	s_waitcnt vmcnt(0)
	ds_store_b64 v15, v[13:14]
	s_waitcnt lgkmcnt(0)
	s_waitcnt_vscnt null, 0x0
	s_barrier
	buffer_gl0_inv
	s_and_saveexec_b32 s1, s2
	s_cbranch_execz .LBB120_18
; %bb.11:
	s_and_not1_b32 vcc_lo, exec_lo, s3
	s_cbranch_vccnz .LBB120_13
; %bb.12:
	scratch_load_b64 v[13:14], v16, off
	ds_load_b64 v[147:148], v15
	s_waitcnt vmcnt(0) lgkmcnt(0)
	v_mul_f64 v[13:14], v[13:14], v[147:148]
	s_cbranch_execz .LBB120_14
	s_branch .LBB120_15
.LBB120_13:
                                        ; implicit-def: $vgpr13_vgpr14
.LBB120_14:
	ds_load_b64 v[13:14], v15
.LBB120_15:
	s_and_saveexec_b32 s4, s0
	s_cbranch_execz .LBB120_17
; %bb.16:
	scratch_load_b64 v[147:148], off, off offset:440
	v_mov_b32_e32 v149, 0
	ds_load_b64 v[149:150], v149 offset:904
	s_waitcnt vmcnt(0) lgkmcnt(0)
	v_fma_f64 v[13:14], v[147:148], v[149:150], v[13:14]
.LBB120_17:
	s_or_b32 exec_lo, exec_lo, s4
	v_mov_b32_e32 v147, 0
	ds_load_b64 v[147:148], v147 offset:432
	s_waitcnt lgkmcnt(0)
	v_mul_f64 v[13:14], v[13:14], v[147:148]
	scratch_store_b64 off, v[13:14], off offset:432
.LBB120_18:
	s_or_b32 exec_lo, exec_lo, s1
	scratch_load_b64 v[13:14], off, off offset:424
	v_cmp_lt_u32_e64 s1, 53, v0
	s_waitcnt vmcnt(0)
	ds_store_b64 v15, v[13:14]
	s_waitcnt lgkmcnt(0)
	s_waitcnt_vscnt null, 0x0
	s_barrier
	buffer_gl0_inv
	s_and_saveexec_b32 s0, s1
	s_cbranch_execz .LBB120_28
; %bb.19:
	s_and_not1_b32 vcc_lo, exec_lo, s3
	s_cbranch_vccnz .LBB120_21
; %bb.20:
	scratch_load_b64 v[13:14], v16, off
	ds_load_b64 v[147:148], v15
	s_waitcnt vmcnt(0) lgkmcnt(0)
	v_mul_f64 v[13:14], v[13:14], v[147:148]
	s_cbranch_execz .LBB120_22
	s_branch .LBB120_23
.LBB120_21:
                                        ; implicit-def: $vgpr13_vgpr14
.LBB120_22:
	ds_load_b64 v[13:14], v15
.LBB120_23:
	s_and_saveexec_b32 s4, s2
	s_cbranch_execz .LBB120_27
; %bb.24:
	v_subrev_nc_u32_e32 v147, 54, v0
	s_movk_i32 s5, 0x380
	s_mov_b32 s2, 0
.LBB120_25:                             ; =>This Inner Loop Header: Depth=1
	scratch_load_b64 v[148:149], v146, off
	v_dual_mov_b32 v150, s5 :: v_dual_add_nc_u32 v147, -1, v147
	v_add_nc_u32_e32 v146, 8, v146
	s_add_i32 s5, s5, 8
	ds_load_b64 v[150:151], v150
	v_cmp_eq_u32_e32 vcc_lo, 0, v147
	s_or_b32 s2, vcc_lo, s2
	s_waitcnt vmcnt(0) lgkmcnt(0)
	v_fma_f64 v[13:14], v[148:149], v[150:151], v[13:14]
	s_and_not1_b32 exec_lo, exec_lo, s2
	s_cbranch_execnz .LBB120_25
; %bb.26:
	s_or_b32 exec_lo, exec_lo, s2
.LBB120_27:
	s_delay_alu instid0(SALU_CYCLE_1)
	s_or_b32 exec_lo, exec_lo, s4
	v_mov_b32_e32 v146, 0
	ds_load_b64 v[146:147], v146 offset:424
	s_waitcnt lgkmcnt(0)
	v_mul_f64 v[13:14], v[13:14], v[146:147]
	scratch_store_b64 off, v[13:14], off offset:424
.LBB120_28:
	s_or_b32 exec_lo, exec_lo, s0
	scratch_load_b64 v[13:14], off, off offset:416
	v_cmp_lt_u32_e64 s0, 52, v0
	s_waitcnt vmcnt(0)
	ds_store_b64 v15, v[13:14]
	s_waitcnt lgkmcnt(0)
	s_waitcnt_vscnt null, 0x0
	s_barrier
	buffer_gl0_inv
	s_and_saveexec_b32 s2, s0
	s_cbranch_execz .LBB120_38
; %bb.29:
	s_and_not1_b32 vcc_lo, exec_lo, s3
	s_cbranch_vccnz .LBB120_31
; %bb.30:
	scratch_load_b64 v[13:14], v16, off
	ds_load_b64 v[146:147], v15
	s_waitcnt vmcnt(0) lgkmcnt(0)
	v_mul_f64 v[13:14], v[13:14], v[146:147]
	s_cbranch_execz .LBB120_32
	s_branch .LBB120_33
.LBB120_31:
                                        ; implicit-def: $vgpr13_vgpr14
.LBB120_32:
	ds_load_b64 v[13:14], v15
.LBB120_33:
	s_and_saveexec_b32 s4, s1
	s_cbranch_execz .LBB120_37
; %bb.34:
	v_mov_b32_e32 v146, 0
	v_subrev_nc_u32_e32 v147, 53, v0
	s_movk_i32 s5, 0x378
	s_mov_b32 s1, 0
	s_delay_alu instid0(VALU_DEP_2)
	v_add_nc_u32_e32 v146, 0x1a8, v146
.LBB120_35:                             ; =>This Inner Loop Header: Depth=1
	scratch_load_b64 v[148:149], v146, off
	v_dual_mov_b32 v150, s5 :: v_dual_add_nc_u32 v147, -1, v147
	v_add_nc_u32_e32 v146, 8, v146
	s_add_i32 s5, s5, 8
	ds_load_b64 v[150:151], v150
	v_cmp_eq_u32_e32 vcc_lo, 0, v147
	s_or_b32 s1, vcc_lo, s1
	s_waitcnt vmcnt(0) lgkmcnt(0)
	v_fma_f64 v[13:14], v[148:149], v[150:151], v[13:14]
	s_and_not1_b32 exec_lo, exec_lo, s1
	s_cbranch_execnz .LBB120_35
; %bb.36:
	s_or_b32 exec_lo, exec_lo, s1
.LBB120_37:
	s_delay_alu instid0(SALU_CYCLE_1)
	s_or_b32 exec_lo, exec_lo, s4
	v_mov_b32_e32 v146, 0
	ds_load_b64 v[146:147], v146 offset:416
	s_waitcnt lgkmcnt(0)
	v_mul_f64 v[13:14], v[13:14], v[146:147]
	scratch_store_b64 off, v[13:14], off offset:416
.LBB120_38:
	s_or_b32 exec_lo, exec_lo, s2
	scratch_load_b64 v[13:14], off, off offset:408
	v_cmp_lt_u32_e64 s1, 51, v0
	s_waitcnt vmcnt(0)
	ds_store_b64 v15, v[13:14]
	s_waitcnt lgkmcnt(0)
	s_waitcnt_vscnt null, 0x0
	s_barrier
	buffer_gl0_inv
	s_and_saveexec_b32 s2, s1
	s_cbranch_execz .LBB120_48
; %bb.39:
	s_and_not1_b32 vcc_lo, exec_lo, s3
	s_cbranch_vccnz .LBB120_41
; %bb.40:
	scratch_load_b64 v[13:14], v16, off
	ds_load_b64 v[146:147], v15
	s_waitcnt vmcnt(0) lgkmcnt(0)
	v_mul_f64 v[13:14], v[13:14], v[146:147]
	s_cbranch_execz .LBB120_42
	s_branch .LBB120_43
.LBB120_41:
                                        ; implicit-def: $vgpr13_vgpr14
.LBB120_42:
	ds_load_b64 v[13:14], v15
.LBB120_43:
	s_and_saveexec_b32 s4, s0
	s_cbranch_execz .LBB120_47
; %bb.44:
	v_subrev_nc_u32_e32 v146, 52, v0
	s_movk_i32 s5, 0x370
	s_mov_b32 s0, 0
.LBB120_45:                             ; =>This Inner Loop Header: Depth=1
	scratch_load_b64 v[147:148], v145, off
	v_dual_mov_b32 v149, s5 :: v_dual_add_nc_u32 v146, -1, v146
	v_add_nc_u32_e32 v145, 8, v145
	s_add_i32 s5, s5, 8
	ds_load_b64 v[149:150], v149
	v_cmp_eq_u32_e32 vcc_lo, 0, v146
	s_or_b32 s0, vcc_lo, s0
	s_waitcnt vmcnt(0) lgkmcnt(0)
	v_fma_f64 v[13:14], v[147:148], v[149:150], v[13:14]
	s_and_not1_b32 exec_lo, exec_lo, s0
	s_cbranch_execnz .LBB120_45
; %bb.46:
	s_or_b32 exec_lo, exec_lo, s0
.LBB120_47:
	s_delay_alu instid0(SALU_CYCLE_1)
	s_or_b32 exec_lo, exec_lo, s4
	v_mov_b32_e32 v145, 0
	ds_load_b64 v[145:146], v145 offset:408
	s_waitcnt lgkmcnt(0)
	v_mul_f64 v[13:14], v[13:14], v[145:146]
	scratch_store_b64 off, v[13:14], off offset:408
.LBB120_48:
	s_or_b32 exec_lo, exec_lo, s2
	scratch_load_b64 v[13:14], off, off offset:400
	v_cmp_lt_u32_e64 s0, 50, v0
	s_waitcnt vmcnt(0)
	ds_store_b64 v15, v[13:14]
	s_waitcnt lgkmcnt(0)
	s_waitcnt_vscnt null, 0x0
	s_barrier
	buffer_gl0_inv
	s_and_saveexec_b32 s2, s0
	s_cbranch_execz .LBB120_58
; %bb.49:
	s_and_not1_b32 vcc_lo, exec_lo, s3
	s_cbranch_vccnz .LBB120_51
; %bb.50:
	scratch_load_b64 v[13:14], v16, off
	ds_load_b64 v[145:146], v15
	s_waitcnt vmcnt(0) lgkmcnt(0)
	v_mul_f64 v[13:14], v[13:14], v[145:146]
	s_cbranch_execz .LBB120_52
	s_branch .LBB120_53
.LBB120_51:
                                        ; implicit-def: $vgpr13_vgpr14
.LBB120_52:
	ds_load_b64 v[13:14], v15
.LBB120_53:
	s_and_saveexec_b32 s4, s1
	s_cbranch_execz .LBB120_57
; %bb.54:
	v_mov_b32_e32 v145, 0
	v_subrev_nc_u32_e32 v146, 51, v0
	s_movk_i32 s5, 0x368
	s_mov_b32 s1, 0
	s_delay_alu instid0(VALU_DEP_2)
	v_add_nc_u32_e32 v145, 0x198, v145
.LBB120_55:                             ; =>This Inner Loop Header: Depth=1
	scratch_load_b64 v[147:148], v145, off
	v_dual_mov_b32 v149, s5 :: v_dual_add_nc_u32 v146, -1, v146
	v_add_nc_u32_e32 v145, 8, v145
	s_add_i32 s5, s5, 8
	ds_load_b64 v[149:150], v149
	v_cmp_eq_u32_e32 vcc_lo, 0, v146
	s_or_b32 s1, vcc_lo, s1
	s_waitcnt vmcnt(0) lgkmcnt(0)
	v_fma_f64 v[13:14], v[147:148], v[149:150], v[13:14]
	s_and_not1_b32 exec_lo, exec_lo, s1
	s_cbranch_execnz .LBB120_55
; %bb.56:
	s_or_b32 exec_lo, exec_lo, s1
.LBB120_57:
	s_delay_alu instid0(SALU_CYCLE_1)
	s_or_b32 exec_lo, exec_lo, s4
	v_mov_b32_e32 v145, 0
	ds_load_b64 v[145:146], v145 offset:400
	s_waitcnt lgkmcnt(0)
	v_mul_f64 v[13:14], v[13:14], v[145:146]
	scratch_store_b64 off, v[13:14], off offset:400
.LBB120_58:
	s_or_b32 exec_lo, exec_lo, s2
	scratch_load_b64 v[13:14], off, off offset:392
	v_cmp_lt_u32_e64 s1, 49, v0
	s_waitcnt vmcnt(0)
	ds_store_b64 v15, v[13:14]
	s_waitcnt lgkmcnt(0)
	s_waitcnt_vscnt null, 0x0
	s_barrier
	buffer_gl0_inv
	s_and_saveexec_b32 s2, s1
	s_cbranch_execz .LBB120_68
; %bb.59:
	s_and_not1_b32 vcc_lo, exec_lo, s3
	s_cbranch_vccnz .LBB120_61
; %bb.60:
	scratch_load_b64 v[13:14], v16, off
	ds_load_b64 v[145:146], v15
	s_waitcnt vmcnt(0) lgkmcnt(0)
	v_mul_f64 v[13:14], v[13:14], v[145:146]
	s_cbranch_execz .LBB120_62
	s_branch .LBB120_63
.LBB120_61:
                                        ; implicit-def: $vgpr13_vgpr14
.LBB120_62:
	ds_load_b64 v[13:14], v15
.LBB120_63:
	s_and_saveexec_b32 s4, s0
	s_cbranch_execz .LBB120_67
; %bb.64:
	v_subrev_nc_u32_e32 v145, 50, v0
	s_movk_i32 s5, 0x360
	s_mov_b32 s0, 0
.LBB120_65:                             ; =>This Inner Loop Header: Depth=1
	scratch_load_b64 v[146:147], v144, off
	v_dual_mov_b32 v148, s5 :: v_dual_add_nc_u32 v145, -1, v145
	v_add_nc_u32_e32 v144, 8, v144
	s_add_i32 s5, s5, 8
	ds_load_b64 v[148:149], v148
	v_cmp_eq_u32_e32 vcc_lo, 0, v145
	s_or_b32 s0, vcc_lo, s0
	s_waitcnt vmcnt(0) lgkmcnt(0)
	v_fma_f64 v[13:14], v[146:147], v[148:149], v[13:14]
	s_and_not1_b32 exec_lo, exec_lo, s0
	s_cbranch_execnz .LBB120_65
; %bb.66:
	s_or_b32 exec_lo, exec_lo, s0
.LBB120_67:
	s_delay_alu instid0(SALU_CYCLE_1)
	s_or_b32 exec_lo, exec_lo, s4
	v_mov_b32_e32 v144, 0
	ds_load_b64 v[144:145], v144 offset:392
	s_waitcnt lgkmcnt(0)
	v_mul_f64 v[13:14], v[13:14], v[144:145]
	scratch_store_b64 off, v[13:14], off offset:392
.LBB120_68:
	s_or_b32 exec_lo, exec_lo, s2
	scratch_load_b64 v[13:14], off, off offset:384
	v_cmp_lt_u32_e64 s0, 48, v0
	s_waitcnt vmcnt(0)
	ds_store_b64 v15, v[13:14]
	s_waitcnt lgkmcnt(0)
	s_waitcnt_vscnt null, 0x0
	s_barrier
	buffer_gl0_inv
	s_and_saveexec_b32 s2, s0
	s_cbranch_execz .LBB120_78
; %bb.69:
	s_and_not1_b32 vcc_lo, exec_lo, s3
	s_cbranch_vccnz .LBB120_71
; %bb.70:
	scratch_load_b64 v[13:14], v16, off
	ds_load_b64 v[144:145], v15
	s_waitcnt vmcnt(0) lgkmcnt(0)
	v_mul_f64 v[13:14], v[13:14], v[144:145]
	s_cbranch_execz .LBB120_72
	s_branch .LBB120_73
.LBB120_71:
                                        ; implicit-def: $vgpr13_vgpr14
.LBB120_72:
	ds_load_b64 v[13:14], v15
.LBB120_73:
	s_and_saveexec_b32 s4, s1
	s_cbranch_execz .LBB120_77
; %bb.74:
	v_mov_b32_e32 v144, 0
	v_subrev_nc_u32_e32 v145, 49, v0
	s_movk_i32 s5, 0x358
	s_mov_b32 s1, 0
	s_delay_alu instid0(VALU_DEP_2)
	v_add_nc_u32_e32 v144, 0x188, v144
.LBB120_75:                             ; =>This Inner Loop Header: Depth=1
	scratch_load_b64 v[146:147], v144, off
	v_dual_mov_b32 v148, s5 :: v_dual_add_nc_u32 v145, -1, v145
	v_add_nc_u32_e32 v144, 8, v144
	s_add_i32 s5, s5, 8
	ds_load_b64 v[148:149], v148
	v_cmp_eq_u32_e32 vcc_lo, 0, v145
	s_or_b32 s1, vcc_lo, s1
	s_waitcnt vmcnt(0) lgkmcnt(0)
	v_fma_f64 v[13:14], v[146:147], v[148:149], v[13:14]
	s_and_not1_b32 exec_lo, exec_lo, s1
	s_cbranch_execnz .LBB120_75
; %bb.76:
	s_or_b32 exec_lo, exec_lo, s1
.LBB120_77:
	s_delay_alu instid0(SALU_CYCLE_1)
	s_or_b32 exec_lo, exec_lo, s4
	v_mov_b32_e32 v144, 0
	ds_load_b64 v[144:145], v144 offset:384
	s_waitcnt lgkmcnt(0)
	v_mul_f64 v[13:14], v[13:14], v[144:145]
	scratch_store_b64 off, v[13:14], off offset:384
.LBB120_78:
	s_or_b32 exec_lo, exec_lo, s2
	scratch_load_b64 v[13:14], off, off offset:376
	v_cmp_lt_u32_e64 s1, 47, v0
	s_waitcnt vmcnt(0)
	ds_store_b64 v15, v[13:14]
	s_waitcnt lgkmcnt(0)
	s_waitcnt_vscnt null, 0x0
	s_barrier
	buffer_gl0_inv
	s_and_saveexec_b32 s2, s1
	s_cbranch_execz .LBB120_88
; %bb.79:
	s_and_not1_b32 vcc_lo, exec_lo, s3
	s_cbranch_vccnz .LBB120_81
; %bb.80:
	scratch_load_b64 v[13:14], v16, off
	ds_load_b64 v[144:145], v15
	s_waitcnt vmcnt(0) lgkmcnt(0)
	v_mul_f64 v[13:14], v[13:14], v[144:145]
	s_cbranch_execz .LBB120_82
	s_branch .LBB120_83
.LBB120_81:
                                        ; implicit-def: $vgpr13_vgpr14
.LBB120_82:
	ds_load_b64 v[13:14], v15
.LBB120_83:
	s_and_saveexec_b32 s4, s0
	s_cbranch_execz .LBB120_87
; %bb.84:
	v_subrev_nc_u32_e32 v144, 48, v0
	s_movk_i32 s5, 0x350
	s_mov_b32 s0, 0
.LBB120_85:                             ; =>This Inner Loop Header: Depth=1
	scratch_load_b64 v[145:146], v143, off
	v_dual_mov_b32 v147, s5 :: v_dual_add_nc_u32 v144, -1, v144
	v_add_nc_u32_e32 v143, 8, v143
	s_add_i32 s5, s5, 8
	ds_load_b64 v[147:148], v147
	v_cmp_eq_u32_e32 vcc_lo, 0, v144
	s_or_b32 s0, vcc_lo, s0
	s_waitcnt vmcnt(0) lgkmcnt(0)
	v_fma_f64 v[13:14], v[145:146], v[147:148], v[13:14]
	s_and_not1_b32 exec_lo, exec_lo, s0
	s_cbranch_execnz .LBB120_85
; %bb.86:
	s_or_b32 exec_lo, exec_lo, s0
.LBB120_87:
	s_delay_alu instid0(SALU_CYCLE_1)
	s_or_b32 exec_lo, exec_lo, s4
	v_mov_b32_e32 v143, 0
	ds_load_b64 v[143:144], v143 offset:376
	s_waitcnt lgkmcnt(0)
	v_mul_f64 v[13:14], v[13:14], v[143:144]
	scratch_store_b64 off, v[13:14], off offset:376
.LBB120_88:
	s_or_b32 exec_lo, exec_lo, s2
	scratch_load_b64 v[13:14], off, off offset:368
	v_cmp_lt_u32_e64 s0, 46, v0
	s_waitcnt vmcnt(0)
	ds_store_b64 v15, v[13:14]
	s_waitcnt lgkmcnt(0)
	s_waitcnt_vscnt null, 0x0
	s_barrier
	buffer_gl0_inv
	s_and_saveexec_b32 s2, s0
	s_cbranch_execz .LBB120_98
; %bb.89:
	s_and_not1_b32 vcc_lo, exec_lo, s3
	s_cbranch_vccnz .LBB120_91
; %bb.90:
	scratch_load_b64 v[13:14], v16, off
	ds_load_b64 v[143:144], v15
	s_waitcnt vmcnt(0) lgkmcnt(0)
	v_mul_f64 v[13:14], v[13:14], v[143:144]
	s_cbranch_execz .LBB120_92
	s_branch .LBB120_93
.LBB120_91:
                                        ; implicit-def: $vgpr13_vgpr14
.LBB120_92:
	ds_load_b64 v[13:14], v15
.LBB120_93:
	s_and_saveexec_b32 s4, s1
	s_cbranch_execz .LBB120_97
; %bb.94:
	v_mov_b32_e32 v143, 0
	v_subrev_nc_u32_e32 v144, 47, v0
	s_movk_i32 s5, 0x348
	s_mov_b32 s1, 0
	s_delay_alu instid0(VALU_DEP_2)
	v_add_nc_u32_e32 v143, 0x178, v143
.LBB120_95:                             ; =>This Inner Loop Header: Depth=1
	scratch_load_b64 v[145:146], v143, off
	v_dual_mov_b32 v147, s5 :: v_dual_add_nc_u32 v144, -1, v144
	v_add_nc_u32_e32 v143, 8, v143
	s_add_i32 s5, s5, 8
	ds_load_b64 v[147:148], v147
	v_cmp_eq_u32_e32 vcc_lo, 0, v144
	s_or_b32 s1, vcc_lo, s1
	s_waitcnt vmcnt(0) lgkmcnt(0)
	v_fma_f64 v[13:14], v[145:146], v[147:148], v[13:14]
	s_and_not1_b32 exec_lo, exec_lo, s1
	s_cbranch_execnz .LBB120_95
; %bb.96:
	s_or_b32 exec_lo, exec_lo, s1
.LBB120_97:
	s_delay_alu instid0(SALU_CYCLE_1)
	s_or_b32 exec_lo, exec_lo, s4
	v_mov_b32_e32 v143, 0
	ds_load_b64 v[143:144], v143 offset:368
	s_waitcnt lgkmcnt(0)
	v_mul_f64 v[13:14], v[13:14], v[143:144]
	scratch_store_b64 off, v[13:14], off offset:368
.LBB120_98:
	s_or_b32 exec_lo, exec_lo, s2
	scratch_load_b64 v[13:14], off, off offset:360
	v_cmp_lt_u32_e64 s1, 45, v0
	s_waitcnt vmcnt(0)
	ds_store_b64 v15, v[13:14]
	s_waitcnt lgkmcnt(0)
	s_waitcnt_vscnt null, 0x0
	s_barrier
	buffer_gl0_inv
	s_and_saveexec_b32 s2, s1
	s_cbranch_execz .LBB120_108
; %bb.99:
	s_and_not1_b32 vcc_lo, exec_lo, s3
	s_cbranch_vccnz .LBB120_101
; %bb.100:
	scratch_load_b64 v[13:14], v16, off
	ds_load_b64 v[143:144], v15
	s_waitcnt vmcnt(0) lgkmcnt(0)
	v_mul_f64 v[13:14], v[13:14], v[143:144]
	s_cbranch_execz .LBB120_102
	s_branch .LBB120_103
.LBB120_101:
                                        ; implicit-def: $vgpr13_vgpr14
.LBB120_102:
	ds_load_b64 v[13:14], v15
.LBB120_103:
	s_and_saveexec_b32 s4, s0
	s_cbranch_execz .LBB120_107
; %bb.104:
	v_subrev_nc_u32_e32 v143, 46, v0
	s_movk_i32 s5, 0x340
	s_mov_b32 s0, 0
.LBB120_105:                            ; =>This Inner Loop Header: Depth=1
	scratch_load_b64 v[144:145], v142, off
	v_dual_mov_b32 v146, s5 :: v_dual_add_nc_u32 v143, -1, v143
	v_add_nc_u32_e32 v142, 8, v142
	s_add_i32 s5, s5, 8
	ds_load_b64 v[146:147], v146
	v_cmp_eq_u32_e32 vcc_lo, 0, v143
	s_or_b32 s0, vcc_lo, s0
	s_waitcnt vmcnt(0) lgkmcnt(0)
	v_fma_f64 v[13:14], v[144:145], v[146:147], v[13:14]
	s_and_not1_b32 exec_lo, exec_lo, s0
	s_cbranch_execnz .LBB120_105
; %bb.106:
	s_or_b32 exec_lo, exec_lo, s0
.LBB120_107:
	s_delay_alu instid0(SALU_CYCLE_1)
	s_or_b32 exec_lo, exec_lo, s4
	v_mov_b32_e32 v142, 0
	ds_load_b64 v[142:143], v142 offset:360
	s_waitcnt lgkmcnt(0)
	v_mul_f64 v[13:14], v[13:14], v[142:143]
	scratch_store_b64 off, v[13:14], off offset:360
.LBB120_108:
	s_or_b32 exec_lo, exec_lo, s2
	scratch_load_b64 v[13:14], off, off offset:352
	v_cmp_lt_u32_e64 s0, 44, v0
	s_waitcnt vmcnt(0)
	ds_store_b64 v15, v[13:14]
	s_waitcnt lgkmcnt(0)
	s_waitcnt_vscnt null, 0x0
	s_barrier
	buffer_gl0_inv
	s_and_saveexec_b32 s2, s0
	s_cbranch_execz .LBB120_118
; %bb.109:
	s_and_not1_b32 vcc_lo, exec_lo, s3
	s_cbranch_vccnz .LBB120_111
; %bb.110:
	scratch_load_b64 v[13:14], v16, off
	ds_load_b64 v[142:143], v15
	s_waitcnt vmcnt(0) lgkmcnt(0)
	v_mul_f64 v[13:14], v[13:14], v[142:143]
	s_cbranch_execz .LBB120_112
	s_branch .LBB120_113
.LBB120_111:
                                        ; implicit-def: $vgpr13_vgpr14
.LBB120_112:
	ds_load_b64 v[13:14], v15
.LBB120_113:
	s_and_saveexec_b32 s4, s1
	s_cbranch_execz .LBB120_117
; %bb.114:
	v_mov_b32_e32 v142, 0
	v_subrev_nc_u32_e32 v143, 45, v0
	s_movk_i32 s5, 0x338
	s_mov_b32 s1, 0
	s_delay_alu instid0(VALU_DEP_2)
	v_add_nc_u32_e32 v142, 0x168, v142
.LBB120_115:                            ; =>This Inner Loop Header: Depth=1
	scratch_load_b64 v[144:145], v142, off
	v_dual_mov_b32 v146, s5 :: v_dual_add_nc_u32 v143, -1, v143
	v_add_nc_u32_e32 v142, 8, v142
	s_add_i32 s5, s5, 8
	ds_load_b64 v[146:147], v146
	v_cmp_eq_u32_e32 vcc_lo, 0, v143
	s_or_b32 s1, vcc_lo, s1
	s_waitcnt vmcnt(0) lgkmcnt(0)
	v_fma_f64 v[13:14], v[144:145], v[146:147], v[13:14]
	s_and_not1_b32 exec_lo, exec_lo, s1
	s_cbranch_execnz .LBB120_115
; %bb.116:
	s_or_b32 exec_lo, exec_lo, s1
.LBB120_117:
	s_delay_alu instid0(SALU_CYCLE_1)
	s_or_b32 exec_lo, exec_lo, s4
	v_mov_b32_e32 v142, 0
	ds_load_b64 v[142:143], v142 offset:352
	s_waitcnt lgkmcnt(0)
	v_mul_f64 v[13:14], v[13:14], v[142:143]
	scratch_store_b64 off, v[13:14], off offset:352
.LBB120_118:
	s_or_b32 exec_lo, exec_lo, s2
	scratch_load_b64 v[13:14], off, off offset:344
	v_cmp_lt_u32_e64 s1, 43, v0
	s_waitcnt vmcnt(0)
	ds_store_b64 v15, v[13:14]
	s_waitcnt lgkmcnt(0)
	s_waitcnt_vscnt null, 0x0
	s_barrier
	buffer_gl0_inv
	s_and_saveexec_b32 s2, s1
	s_cbranch_execz .LBB120_128
; %bb.119:
	s_and_not1_b32 vcc_lo, exec_lo, s3
	s_cbranch_vccnz .LBB120_121
; %bb.120:
	scratch_load_b64 v[13:14], v16, off
	ds_load_b64 v[142:143], v15
	s_waitcnt vmcnt(0) lgkmcnt(0)
	v_mul_f64 v[13:14], v[13:14], v[142:143]
	s_cbranch_execz .LBB120_122
	s_branch .LBB120_123
.LBB120_121:
                                        ; implicit-def: $vgpr13_vgpr14
.LBB120_122:
	ds_load_b64 v[13:14], v15
.LBB120_123:
	s_and_saveexec_b32 s4, s0
	s_cbranch_execz .LBB120_127
; %bb.124:
	v_subrev_nc_u32_e32 v142, 44, v0
	s_movk_i32 s5, 0x330
	s_mov_b32 s0, 0
.LBB120_125:                            ; =>This Inner Loop Header: Depth=1
	scratch_load_b64 v[143:144], v141, off
	v_dual_mov_b32 v145, s5 :: v_dual_add_nc_u32 v142, -1, v142
	v_add_nc_u32_e32 v141, 8, v141
	s_add_i32 s5, s5, 8
	ds_load_b64 v[145:146], v145
	v_cmp_eq_u32_e32 vcc_lo, 0, v142
	s_or_b32 s0, vcc_lo, s0
	s_waitcnt vmcnt(0) lgkmcnt(0)
	v_fma_f64 v[13:14], v[143:144], v[145:146], v[13:14]
	s_and_not1_b32 exec_lo, exec_lo, s0
	s_cbranch_execnz .LBB120_125
; %bb.126:
	s_or_b32 exec_lo, exec_lo, s0
.LBB120_127:
	s_delay_alu instid0(SALU_CYCLE_1)
	s_or_b32 exec_lo, exec_lo, s4
	v_mov_b32_e32 v141, 0
	ds_load_b64 v[141:142], v141 offset:344
	s_waitcnt lgkmcnt(0)
	v_mul_f64 v[13:14], v[13:14], v[141:142]
	scratch_store_b64 off, v[13:14], off offset:344
.LBB120_128:
	s_or_b32 exec_lo, exec_lo, s2
	scratch_load_b64 v[13:14], off, off offset:336
	v_cmp_lt_u32_e64 s0, 42, v0
	s_waitcnt vmcnt(0)
	ds_store_b64 v15, v[13:14]
	s_waitcnt lgkmcnt(0)
	s_waitcnt_vscnt null, 0x0
	s_barrier
	buffer_gl0_inv
	s_and_saveexec_b32 s2, s0
	s_cbranch_execz .LBB120_138
; %bb.129:
	s_and_not1_b32 vcc_lo, exec_lo, s3
	s_cbranch_vccnz .LBB120_131
; %bb.130:
	scratch_load_b64 v[13:14], v16, off
	ds_load_b64 v[141:142], v15
	s_waitcnt vmcnt(0) lgkmcnt(0)
	v_mul_f64 v[13:14], v[13:14], v[141:142]
	s_cbranch_execz .LBB120_132
	s_branch .LBB120_133
.LBB120_131:
                                        ; implicit-def: $vgpr13_vgpr14
.LBB120_132:
	ds_load_b64 v[13:14], v15
.LBB120_133:
	s_and_saveexec_b32 s4, s1
	s_cbranch_execz .LBB120_137
; %bb.134:
	v_mov_b32_e32 v141, 0
	v_subrev_nc_u32_e32 v142, 43, v0
	s_movk_i32 s5, 0x328
	s_mov_b32 s1, 0
	s_delay_alu instid0(VALU_DEP_2)
	v_add_nc_u32_e32 v141, 0x158, v141
.LBB120_135:                            ; =>This Inner Loop Header: Depth=1
	scratch_load_b64 v[143:144], v141, off
	v_dual_mov_b32 v145, s5 :: v_dual_add_nc_u32 v142, -1, v142
	v_add_nc_u32_e32 v141, 8, v141
	s_add_i32 s5, s5, 8
	ds_load_b64 v[145:146], v145
	v_cmp_eq_u32_e32 vcc_lo, 0, v142
	s_or_b32 s1, vcc_lo, s1
	s_waitcnt vmcnt(0) lgkmcnt(0)
	v_fma_f64 v[13:14], v[143:144], v[145:146], v[13:14]
	s_and_not1_b32 exec_lo, exec_lo, s1
	s_cbranch_execnz .LBB120_135
; %bb.136:
	s_or_b32 exec_lo, exec_lo, s1
.LBB120_137:
	s_delay_alu instid0(SALU_CYCLE_1)
	s_or_b32 exec_lo, exec_lo, s4
	v_mov_b32_e32 v141, 0
	ds_load_b64 v[141:142], v141 offset:336
	s_waitcnt lgkmcnt(0)
	v_mul_f64 v[13:14], v[13:14], v[141:142]
	scratch_store_b64 off, v[13:14], off offset:336
.LBB120_138:
	s_or_b32 exec_lo, exec_lo, s2
	scratch_load_b64 v[13:14], off, off offset:328
	v_cmp_lt_u32_e64 s1, 41, v0
	s_waitcnt vmcnt(0)
	ds_store_b64 v15, v[13:14]
	s_waitcnt lgkmcnt(0)
	s_waitcnt_vscnt null, 0x0
	s_barrier
	buffer_gl0_inv
	s_and_saveexec_b32 s2, s1
	s_cbranch_execz .LBB120_148
; %bb.139:
	s_and_not1_b32 vcc_lo, exec_lo, s3
	s_cbranch_vccnz .LBB120_141
; %bb.140:
	scratch_load_b64 v[13:14], v16, off
	ds_load_b64 v[141:142], v15
	s_waitcnt vmcnt(0) lgkmcnt(0)
	v_mul_f64 v[13:14], v[13:14], v[141:142]
	s_cbranch_execz .LBB120_142
	s_branch .LBB120_143
.LBB120_141:
                                        ; implicit-def: $vgpr13_vgpr14
.LBB120_142:
	ds_load_b64 v[13:14], v15
.LBB120_143:
	s_and_saveexec_b32 s4, s0
	s_cbranch_execz .LBB120_147
; %bb.144:
	v_subrev_nc_u32_e32 v141, 42, v0
	s_movk_i32 s5, 0x320
	s_mov_b32 s0, 0
.LBB120_145:                            ; =>This Inner Loop Header: Depth=1
	scratch_load_b64 v[142:143], v140, off
	v_dual_mov_b32 v144, s5 :: v_dual_add_nc_u32 v141, -1, v141
	v_add_nc_u32_e32 v140, 8, v140
	s_add_i32 s5, s5, 8
	ds_load_b64 v[144:145], v144
	v_cmp_eq_u32_e32 vcc_lo, 0, v141
	s_or_b32 s0, vcc_lo, s0
	s_waitcnt vmcnt(0) lgkmcnt(0)
	v_fma_f64 v[13:14], v[142:143], v[144:145], v[13:14]
	s_and_not1_b32 exec_lo, exec_lo, s0
	s_cbranch_execnz .LBB120_145
; %bb.146:
	s_or_b32 exec_lo, exec_lo, s0
.LBB120_147:
	s_delay_alu instid0(SALU_CYCLE_1)
	s_or_b32 exec_lo, exec_lo, s4
	v_mov_b32_e32 v140, 0
	ds_load_b64 v[140:141], v140 offset:328
	s_waitcnt lgkmcnt(0)
	v_mul_f64 v[13:14], v[13:14], v[140:141]
	scratch_store_b64 off, v[13:14], off offset:328
.LBB120_148:
	s_or_b32 exec_lo, exec_lo, s2
	scratch_load_b64 v[13:14], off, off offset:320
	v_cmp_lt_u32_e64 s0, 40, v0
	s_waitcnt vmcnt(0)
	ds_store_b64 v15, v[13:14]
	s_waitcnt lgkmcnt(0)
	s_waitcnt_vscnt null, 0x0
	s_barrier
	buffer_gl0_inv
	s_and_saveexec_b32 s2, s0
	s_cbranch_execz .LBB120_158
; %bb.149:
	s_and_not1_b32 vcc_lo, exec_lo, s3
	s_cbranch_vccnz .LBB120_151
; %bb.150:
	scratch_load_b64 v[13:14], v16, off
	ds_load_b64 v[140:141], v15
	s_waitcnt vmcnt(0) lgkmcnt(0)
	v_mul_f64 v[13:14], v[13:14], v[140:141]
	s_cbranch_execz .LBB120_152
	s_branch .LBB120_153
.LBB120_151:
                                        ; implicit-def: $vgpr13_vgpr14
.LBB120_152:
	ds_load_b64 v[13:14], v15
.LBB120_153:
	s_and_saveexec_b32 s4, s1
	s_cbranch_execz .LBB120_157
; %bb.154:
	v_mov_b32_e32 v140, 0
	v_subrev_nc_u32_e32 v141, 41, v0
	s_movk_i32 s5, 0x318
	s_mov_b32 s1, 0
	s_delay_alu instid0(VALU_DEP_2)
	v_add_nc_u32_e32 v140, 0x148, v140
.LBB120_155:                            ; =>This Inner Loop Header: Depth=1
	scratch_load_b64 v[142:143], v140, off
	v_dual_mov_b32 v144, s5 :: v_dual_add_nc_u32 v141, -1, v141
	v_add_nc_u32_e32 v140, 8, v140
	s_add_i32 s5, s5, 8
	ds_load_b64 v[144:145], v144
	v_cmp_eq_u32_e32 vcc_lo, 0, v141
	s_or_b32 s1, vcc_lo, s1
	s_waitcnt vmcnt(0) lgkmcnt(0)
	v_fma_f64 v[13:14], v[142:143], v[144:145], v[13:14]
	s_and_not1_b32 exec_lo, exec_lo, s1
	s_cbranch_execnz .LBB120_155
; %bb.156:
	s_or_b32 exec_lo, exec_lo, s1
.LBB120_157:
	s_delay_alu instid0(SALU_CYCLE_1)
	s_or_b32 exec_lo, exec_lo, s4
	v_mov_b32_e32 v140, 0
	ds_load_b64 v[140:141], v140 offset:320
	s_waitcnt lgkmcnt(0)
	v_mul_f64 v[13:14], v[13:14], v[140:141]
	scratch_store_b64 off, v[13:14], off offset:320
.LBB120_158:
	s_or_b32 exec_lo, exec_lo, s2
	scratch_load_b64 v[13:14], off, off offset:312
	v_cmp_lt_u32_e64 s1, 39, v0
	s_waitcnt vmcnt(0)
	ds_store_b64 v15, v[13:14]
	s_waitcnt lgkmcnt(0)
	s_waitcnt_vscnt null, 0x0
	s_barrier
	buffer_gl0_inv
	s_and_saveexec_b32 s2, s1
	s_cbranch_execz .LBB120_168
; %bb.159:
	s_and_not1_b32 vcc_lo, exec_lo, s3
	s_cbranch_vccnz .LBB120_161
; %bb.160:
	scratch_load_b64 v[13:14], v16, off
	ds_load_b64 v[140:141], v15
	s_waitcnt vmcnt(0) lgkmcnt(0)
	v_mul_f64 v[13:14], v[13:14], v[140:141]
	s_cbranch_execz .LBB120_162
	s_branch .LBB120_163
.LBB120_161:
                                        ; implicit-def: $vgpr13_vgpr14
.LBB120_162:
	ds_load_b64 v[13:14], v15
.LBB120_163:
	s_and_saveexec_b32 s4, s0
	s_cbranch_execz .LBB120_167
; %bb.164:
	v_subrev_nc_u32_e32 v140, 40, v0
	s_movk_i32 s5, 0x310
	s_mov_b32 s0, 0
.LBB120_165:                            ; =>This Inner Loop Header: Depth=1
	scratch_load_b64 v[141:142], v36, off
	v_dual_mov_b32 v143, s5 :: v_dual_add_nc_u32 v140, -1, v140
	v_add_nc_u32_e32 v36, 8, v36
	s_add_i32 s5, s5, 8
	ds_load_b64 v[143:144], v143
	v_cmp_eq_u32_e32 vcc_lo, 0, v140
	s_or_b32 s0, vcc_lo, s0
	s_waitcnt vmcnt(0) lgkmcnt(0)
	v_fma_f64 v[13:14], v[141:142], v[143:144], v[13:14]
	s_and_not1_b32 exec_lo, exec_lo, s0
	s_cbranch_execnz .LBB120_165
; %bb.166:
	s_or_b32 exec_lo, exec_lo, s0
.LBB120_167:
	s_delay_alu instid0(SALU_CYCLE_1)
	s_or_b32 exec_lo, exec_lo, s4
	v_mov_b32_e32 v36, 0
	ds_load_b64 v[140:141], v36 offset:312
	s_waitcnt lgkmcnt(0)
	v_mul_f64 v[13:14], v[13:14], v[140:141]
	scratch_store_b64 off, v[13:14], off offset:312
.LBB120_168:
	s_or_b32 exec_lo, exec_lo, s2
	scratch_load_b64 v[13:14], off, off offset:304
	v_cmp_lt_u32_e64 s0, 38, v0
	s_waitcnt vmcnt(0)
	ds_store_b64 v15, v[13:14]
	s_waitcnt lgkmcnt(0)
	s_waitcnt_vscnt null, 0x0
	s_barrier
	buffer_gl0_inv
	s_and_saveexec_b32 s2, s0
	s_cbranch_execz .LBB120_178
; %bb.169:
	s_and_not1_b32 vcc_lo, exec_lo, s3
	s_cbranch_vccnz .LBB120_171
; %bb.170:
	scratch_load_b64 v[13:14], v16, off
	ds_load_b64 v[140:141], v15
	s_waitcnt vmcnt(0) lgkmcnt(0)
	v_mul_f64 v[13:14], v[13:14], v[140:141]
	s_cbranch_execz .LBB120_172
	s_branch .LBB120_173
.LBB120_171:
                                        ; implicit-def: $vgpr13_vgpr14
.LBB120_172:
	ds_load_b64 v[13:14], v15
.LBB120_173:
	s_and_saveexec_b32 s4, s1
	s_cbranch_execz .LBB120_177
; %bb.174:
	v_mov_b32_e32 v36, 0
	v_subrev_nc_u32_e32 v140, 39, v0
	s_movk_i32 s5, 0x308
	s_mov_b32 s1, 0
	s_delay_alu instid0(VALU_DEP_2)
	v_add_nc_u32_e32 v36, 0x138, v36
.LBB120_175:                            ; =>This Inner Loop Header: Depth=1
	scratch_load_b64 v[141:142], v36, off
	v_dual_mov_b32 v143, s5 :: v_dual_add_nc_u32 v140, -1, v140
	v_add_nc_u32_e32 v36, 8, v36
	s_add_i32 s5, s5, 8
	ds_load_b64 v[143:144], v143
	v_cmp_eq_u32_e32 vcc_lo, 0, v140
	s_or_b32 s1, vcc_lo, s1
	s_waitcnt vmcnt(0) lgkmcnt(0)
	v_fma_f64 v[13:14], v[141:142], v[143:144], v[13:14]
	s_and_not1_b32 exec_lo, exec_lo, s1
	s_cbranch_execnz .LBB120_175
; %bb.176:
	s_or_b32 exec_lo, exec_lo, s1
.LBB120_177:
	s_delay_alu instid0(SALU_CYCLE_1)
	s_or_b32 exec_lo, exec_lo, s4
	v_mov_b32_e32 v36, 0
	ds_load_b64 v[140:141], v36 offset:304
	s_waitcnt lgkmcnt(0)
	v_mul_f64 v[13:14], v[13:14], v[140:141]
	scratch_store_b64 off, v[13:14], off offset:304
.LBB120_178:
	s_or_b32 exec_lo, exec_lo, s2
	scratch_load_b64 v[13:14], off, off offset:296
	v_cmp_lt_u32_e64 s1, 37, v0
	s_waitcnt vmcnt(0)
	ds_store_b64 v15, v[13:14]
	s_waitcnt lgkmcnt(0)
	s_waitcnt_vscnt null, 0x0
	s_barrier
	buffer_gl0_inv
	s_and_saveexec_b32 s2, s1
	s_cbranch_execz .LBB120_188
; %bb.179:
	s_and_not1_b32 vcc_lo, exec_lo, s3
	s_cbranch_vccnz .LBB120_181
; %bb.180:
	scratch_load_b64 v[13:14], v16, off
	ds_load_b64 v[140:141], v15
	s_waitcnt vmcnt(0) lgkmcnt(0)
	v_mul_f64 v[13:14], v[13:14], v[140:141]
	s_cbranch_execz .LBB120_182
	s_branch .LBB120_183
.LBB120_181:
                                        ; implicit-def: $vgpr13_vgpr14
.LBB120_182:
	ds_load_b64 v[13:14], v15
.LBB120_183:
	s_and_saveexec_b32 s4, s0
	s_cbranch_execz .LBB120_187
; %bb.184:
	v_subrev_nc_u32_e32 v36, 38, v0
	s_movk_i32 s5, 0x300
	s_mov_b32 s0, 0
.LBB120_185:                            ; =>This Inner Loop Header: Depth=1
	scratch_load_b64 v[140:141], v35, off
	v_dual_mov_b32 v142, s5 :: v_dual_add_nc_u32 v35, 8, v35
	v_add_nc_u32_e32 v36, -1, v36
	s_add_i32 s5, s5, 8
	ds_load_b64 v[142:143], v142
	v_cmp_eq_u32_e32 vcc_lo, 0, v36
	s_or_b32 s0, vcc_lo, s0
	s_waitcnt vmcnt(0) lgkmcnt(0)
	v_fma_f64 v[13:14], v[140:141], v[142:143], v[13:14]
	s_and_not1_b32 exec_lo, exec_lo, s0
	s_cbranch_execnz .LBB120_185
; %bb.186:
	s_or_b32 exec_lo, exec_lo, s0
.LBB120_187:
	s_delay_alu instid0(SALU_CYCLE_1)
	s_or_b32 exec_lo, exec_lo, s4
	v_mov_b32_e32 v35, 0
	ds_load_b64 v[35:36], v35 offset:296
	s_waitcnt lgkmcnt(0)
	v_mul_f64 v[13:14], v[13:14], v[35:36]
	scratch_store_b64 off, v[13:14], off offset:296
.LBB120_188:
	s_or_b32 exec_lo, exec_lo, s2
	scratch_load_b64 v[13:14], off, off offset:288
	v_cmp_lt_u32_e64 s0, 36, v0
	s_waitcnt vmcnt(0)
	ds_store_b64 v15, v[13:14]
	s_waitcnt lgkmcnt(0)
	s_waitcnt_vscnt null, 0x0
	s_barrier
	buffer_gl0_inv
	s_and_saveexec_b32 s2, s0
	s_cbranch_execz .LBB120_198
; %bb.189:
	s_and_not1_b32 vcc_lo, exec_lo, s3
	s_cbranch_vccnz .LBB120_191
; %bb.190:
	scratch_load_b64 v[13:14], v16, off
	ds_load_b64 v[35:36], v15
	s_waitcnt vmcnt(0) lgkmcnt(0)
	v_mul_f64 v[13:14], v[13:14], v[35:36]
	s_cbranch_execz .LBB120_192
	s_branch .LBB120_193
.LBB120_191:
                                        ; implicit-def: $vgpr13_vgpr14
.LBB120_192:
	ds_load_b64 v[13:14], v15
.LBB120_193:
	s_and_saveexec_b32 s4, s1
	s_cbranch_execz .LBB120_197
; %bb.194:
	v_mov_b32_e32 v35, 0
	v_subrev_nc_u32_e32 v36, 37, v0
	s_movk_i32 s5, 0x2f8
	s_mov_b32 s1, 0
	s_delay_alu instid0(VALU_DEP_2)
	v_add_nc_u32_e32 v35, 0x128, v35
.LBB120_195:                            ; =>This Inner Loop Header: Depth=1
	scratch_load_b64 v[140:141], v35, off
	v_dual_mov_b32 v142, s5 :: v_dual_add_nc_u32 v35, 8, v35
	v_add_nc_u32_e32 v36, -1, v36
	s_add_i32 s5, s5, 8
	ds_load_b64 v[142:143], v142
	v_cmp_eq_u32_e32 vcc_lo, 0, v36
	s_or_b32 s1, vcc_lo, s1
	s_waitcnt vmcnt(0) lgkmcnt(0)
	v_fma_f64 v[13:14], v[140:141], v[142:143], v[13:14]
	s_and_not1_b32 exec_lo, exec_lo, s1
	s_cbranch_execnz .LBB120_195
; %bb.196:
	s_or_b32 exec_lo, exec_lo, s1
.LBB120_197:
	s_delay_alu instid0(SALU_CYCLE_1)
	s_or_b32 exec_lo, exec_lo, s4
	v_mov_b32_e32 v35, 0
	ds_load_b64 v[35:36], v35 offset:288
	s_waitcnt lgkmcnt(0)
	v_mul_f64 v[13:14], v[13:14], v[35:36]
	scratch_store_b64 off, v[13:14], off offset:288
.LBB120_198:
	s_or_b32 exec_lo, exec_lo, s2
	scratch_load_b64 v[13:14], off, off offset:280
	v_cmp_lt_u32_e64 s1, 35, v0
	s_waitcnt vmcnt(0)
	ds_store_b64 v15, v[13:14]
	s_waitcnt lgkmcnt(0)
	s_waitcnt_vscnt null, 0x0
	s_barrier
	buffer_gl0_inv
	s_and_saveexec_b32 s2, s1
	s_cbranch_execz .LBB120_208
; %bb.199:
	s_and_not1_b32 vcc_lo, exec_lo, s3
	s_cbranch_vccnz .LBB120_201
; %bb.200:
	scratch_load_b64 v[13:14], v16, off
	ds_load_b64 v[35:36], v15
	s_waitcnt vmcnt(0) lgkmcnt(0)
	v_mul_f64 v[13:14], v[13:14], v[35:36]
	s_cbranch_execz .LBB120_202
	s_branch .LBB120_203
.LBB120_201:
                                        ; implicit-def: $vgpr13_vgpr14
.LBB120_202:
	ds_load_b64 v[13:14], v15
.LBB120_203:
	s_and_saveexec_b32 s4, s0
	s_cbranch_execz .LBB120_207
; %bb.204:
	v_subrev_nc_u32_e32 v35, 36, v0
	s_movk_i32 s5, 0x2f0
	s_mov_b32 s0, 0
.LBB120_205:                            ; =>This Inner Loop Header: Depth=1
	scratch_load_b64 v[140:141], v34, off
	v_dual_mov_b32 v36, s5 :: v_dual_add_nc_u32 v35, -1, v35
	v_add_nc_u32_e32 v34, 8, v34
	s_add_i32 s5, s5, 8
	ds_load_b64 v[142:143], v36
	v_cmp_eq_u32_e32 vcc_lo, 0, v35
	s_or_b32 s0, vcc_lo, s0
	s_waitcnt vmcnt(0) lgkmcnt(0)
	v_fma_f64 v[13:14], v[140:141], v[142:143], v[13:14]
	s_and_not1_b32 exec_lo, exec_lo, s0
	s_cbranch_execnz .LBB120_205
; %bb.206:
	s_or_b32 exec_lo, exec_lo, s0
.LBB120_207:
	s_delay_alu instid0(SALU_CYCLE_1)
	s_or_b32 exec_lo, exec_lo, s4
	v_mov_b32_e32 v34, 0
	ds_load_b64 v[34:35], v34 offset:280
	s_waitcnt lgkmcnt(0)
	v_mul_f64 v[13:14], v[13:14], v[34:35]
	scratch_store_b64 off, v[13:14], off offset:280
.LBB120_208:
	s_or_b32 exec_lo, exec_lo, s2
	scratch_load_b64 v[13:14], off, off offset:272
	v_cmp_lt_u32_e64 s0, 34, v0
	s_waitcnt vmcnt(0)
	ds_store_b64 v15, v[13:14]
	s_waitcnt lgkmcnt(0)
	s_waitcnt_vscnt null, 0x0
	s_barrier
	buffer_gl0_inv
	s_and_saveexec_b32 s2, s0
	s_cbranch_execz .LBB120_218
; %bb.209:
	s_and_not1_b32 vcc_lo, exec_lo, s3
	s_cbranch_vccnz .LBB120_211
; %bb.210:
	scratch_load_b64 v[13:14], v16, off
	ds_load_b64 v[34:35], v15
	s_waitcnt vmcnt(0) lgkmcnt(0)
	v_mul_f64 v[13:14], v[13:14], v[34:35]
	s_cbranch_execz .LBB120_212
	s_branch .LBB120_213
.LBB120_211:
                                        ; implicit-def: $vgpr13_vgpr14
.LBB120_212:
	ds_load_b64 v[13:14], v15
.LBB120_213:
	s_and_saveexec_b32 s4, s1
	s_cbranch_execz .LBB120_217
; %bb.214:
	v_mov_b32_e32 v34, 0
	v_subrev_nc_u32_e32 v35, 35, v0
	s_movk_i32 s5, 0x2e8
	s_mov_b32 s1, 0
	s_delay_alu instid0(VALU_DEP_2)
	v_add_nc_u32_e32 v34, 0x118, v34
.LBB120_215:                            ; =>This Inner Loop Header: Depth=1
	scratch_load_b64 v[140:141], v34, off
	v_dual_mov_b32 v36, s5 :: v_dual_add_nc_u32 v35, -1, v35
	v_add_nc_u32_e32 v34, 8, v34
	s_add_i32 s5, s5, 8
	ds_load_b64 v[142:143], v36
	v_cmp_eq_u32_e32 vcc_lo, 0, v35
	s_or_b32 s1, vcc_lo, s1
	s_waitcnt vmcnt(0) lgkmcnt(0)
	v_fma_f64 v[13:14], v[140:141], v[142:143], v[13:14]
	s_and_not1_b32 exec_lo, exec_lo, s1
	s_cbranch_execnz .LBB120_215
; %bb.216:
	s_or_b32 exec_lo, exec_lo, s1
.LBB120_217:
	s_delay_alu instid0(SALU_CYCLE_1)
	s_or_b32 exec_lo, exec_lo, s4
	v_mov_b32_e32 v34, 0
	ds_load_b64 v[34:35], v34 offset:272
	s_waitcnt lgkmcnt(0)
	v_mul_f64 v[13:14], v[13:14], v[34:35]
	scratch_store_b64 off, v[13:14], off offset:272
.LBB120_218:
	s_or_b32 exec_lo, exec_lo, s2
	scratch_load_b64 v[13:14], off, off offset:264
	v_cmp_lt_u32_e64 s1, 33, v0
	s_waitcnt vmcnt(0)
	ds_store_b64 v15, v[13:14]
	s_waitcnt lgkmcnt(0)
	s_waitcnt_vscnt null, 0x0
	s_barrier
	buffer_gl0_inv
	s_and_saveexec_b32 s2, s1
	s_cbranch_execz .LBB120_228
; %bb.219:
	s_and_not1_b32 vcc_lo, exec_lo, s3
	s_cbranch_vccnz .LBB120_221
; %bb.220:
	scratch_load_b64 v[13:14], v16, off
	ds_load_b64 v[34:35], v15
	s_waitcnt vmcnt(0) lgkmcnt(0)
	v_mul_f64 v[13:14], v[13:14], v[34:35]
	s_cbranch_execz .LBB120_222
	s_branch .LBB120_223
.LBB120_221:
                                        ; implicit-def: $vgpr13_vgpr14
.LBB120_222:
	ds_load_b64 v[13:14], v15
.LBB120_223:
	s_and_saveexec_b32 s4, s0
	s_cbranch_execz .LBB120_227
; %bb.224:
	v_subrev_nc_u32_e32 v34, 34, v0
	s_movk_i32 s5, 0x2e0
	s_mov_b32 s0, 0
.LBB120_225:                            ; =>This Inner Loop Header: Depth=1
	scratch_load_b64 v[35:36], v33, off
	v_dual_mov_b32 v140, s5 :: v_dual_add_nc_u32 v33, 8, v33
	v_add_nc_u32_e32 v34, -1, v34
	s_add_i32 s5, s5, 8
	ds_load_b64 v[140:141], v140
	v_cmp_eq_u32_e32 vcc_lo, 0, v34
	s_or_b32 s0, vcc_lo, s0
	s_waitcnt vmcnt(0) lgkmcnt(0)
	v_fma_f64 v[13:14], v[35:36], v[140:141], v[13:14]
	s_and_not1_b32 exec_lo, exec_lo, s0
	s_cbranch_execnz .LBB120_225
; %bb.226:
	s_or_b32 exec_lo, exec_lo, s0
.LBB120_227:
	s_delay_alu instid0(SALU_CYCLE_1)
	s_or_b32 exec_lo, exec_lo, s4
	v_mov_b32_e32 v33, 0
	ds_load_b64 v[33:34], v33 offset:264
	s_waitcnt lgkmcnt(0)
	v_mul_f64 v[13:14], v[13:14], v[33:34]
	scratch_store_b64 off, v[13:14], off offset:264
.LBB120_228:
	s_or_b32 exec_lo, exec_lo, s2
	scratch_load_b64 v[13:14], off, off offset:256
	v_cmp_lt_u32_e64 s0, 32, v0
	s_waitcnt vmcnt(0)
	ds_store_b64 v15, v[13:14]
	s_waitcnt lgkmcnt(0)
	s_waitcnt_vscnt null, 0x0
	s_barrier
	buffer_gl0_inv
	s_and_saveexec_b32 s2, s0
	s_cbranch_execz .LBB120_238
; %bb.229:
	s_and_not1_b32 vcc_lo, exec_lo, s3
	s_cbranch_vccnz .LBB120_231
; %bb.230:
	scratch_load_b64 v[13:14], v16, off
	ds_load_b64 v[33:34], v15
	s_waitcnt vmcnt(0) lgkmcnt(0)
	v_mul_f64 v[13:14], v[13:14], v[33:34]
	s_cbranch_execz .LBB120_232
	s_branch .LBB120_233
.LBB120_231:
                                        ; implicit-def: $vgpr13_vgpr14
.LBB120_232:
	ds_load_b64 v[13:14], v15
.LBB120_233:
	s_and_saveexec_b32 s4, s1
	s_cbranch_execz .LBB120_237
; %bb.234:
	v_mov_b32_e32 v33, 0
	v_subrev_nc_u32_e32 v34, 33, v0
	s_movk_i32 s5, 0x2d8
	s_mov_b32 s1, 0
	s_delay_alu instid0(VALU_DEP_2)
	v_add_nc_u32_e32 v33, 0x108, v33
.LBB120_235:                            ; =>This Inner Loop Header: Depth=1
	scratch_load_b64 v[35:36], v33, off
	v_dual_mov_b32 v140, s5 :: v_dual_add_nc_u32 v33, 8, v33
	v_add_nc_u32_e32 v34, -1, v34
	s_add_i32 s5, s5, 8
	ds_load_b64 v[140:141], v140
	v_cmp_eq_u32_e32 vcc_lo, 0, v34
	s_or_b32 s1, vcc_lo, s1
	s_waitcnt vmcnt(0) lgkmcnt(0)
	v_fma_f64 v[13:14], v[35:36], v[140:141], v[13:14]
	s_and_not1_b32 exec_lo, exec_lo, s1
	s_cbranch_execnz .LBB120_235
; %bb.236:
	s_or_b32 exec_lo, exec_lo, s1
.LBB120_237:
	s_delay_alu instid0(SALU_CYCLE_1)
	s_or_b32 exec_lo, exec_lo, s4
	v_mov_b32_e32 v33, 0
	ds_load_b64 v[33:34], v33 offset:256
	s_waitcnt lgkmcnt(0)
	v_mul_f64 v[13:14], v[13:14], v[33:34]
	scratch_store_b64 off, v[13:14], off offset:256
.LBB120_238:
	s_or_b32 exec_lo, exec_lo, s2
	scratch_load_b64 v[13:14], off, off offset:248
	v_cmp_lt_u32_e64 s1, 31, v0
	s_waitcnt vmcnt(0)
	ds_store_b64 v15, v[13:14]
	s_waitcnt lgkmcnt(0)
	s_waitcnt_vscnt null, 0x0
	s_barrier
	buffer_gl0_inv
	s_and_saveexec_b32 s2, s1
	s_cbranch_execz .LBB120_248
; %bb.239:
	s_and_not1_b32 vcc_lo, exec_lo, s3
	s_cbranch_vccnz .LBB120_241
; %bb.240:
	scratch_load_b64 v[13:14], v16, off
	ds_load_b64 v[33:34], v15
	s_waitcnt vmcnt(0) lgkmcnt(0)
	v_mul_f64 v[13:14], v[13:14], v[33:34]
	s_cbranch_execz .LBB120_242
	s_branch .LBB120_243
.LBB120_241:
                                        ; implicit-def: $vgpr13_vgpr14
.LBB120_242:
	ds_load_b64 v[13:14], v15
.LBB120_243:
	s_and_saveexec_b32 s4, s0
	s_cbranch_execz .LBB120_247
; %bb.244:
	v_subrev_nc_u32_e32 v33, 32, v0
	s_movk_i32 s5, 0x2d0
	s_mov_b32 s0, 0
.LBB120_245:                            ; =>This Inner Loop Header: Depth=1
	scratch_load_b64 v[34:35], v32, off
	v_dual_mov_b32 v36, s5 :: v_dual_add_nc_u32 v33, -1, v33
	v_add_nc_u32_e32 v32, 8, v32
	s_add_i32 s5, s5, 8
	ds_load_b64 v[140:141], v36
	v_cmp_eq_u32_e32 vcc_lo, 0, v33
	s_or_b32 s0, vcc_lo, s0
	s_waitcnt vmcnt(0) lgkmcnt(0)
	v_fma_f64 v[13:14], v[34:35], v[140:141], v[13:14]
	s_and_not1_b32 exec_lo, exec_lo, s0
	s_cbranch_execnz .LBB120_245
; %bb.246:
	s_or_b32 exec_lo, exec_lo, s0
.LBB120_247:
	s_delay_alu instid0(SALU_CYCLE_1)
	s_or_b32 exec_lo, exec_lo, s4
	v_mov_b32_e32 v32, 0
	ds_load_b64 v[32:33], v32 offset:248
	s_waitcnt lgkmcnt(0)
	v_mul_f64 v[13:14], v[13:14], v[32:33]
	scratch_store_b64 off, v[13:14], off offset:248
.LBB120_248:
	s_or_b32 exec_lo, exec_lo, s2
	scratch_load_b64 v[13:14], off, off offset:240
	v_cmp_lt_u32_e64 s0, 30, v0
	s_waitcnt vmcnt(0)
	ds_store_b64 v15, v[13:14]
	s_waitcnt lgkmcnt(0)
	s_waitcnt_vscnt null, 0x0
	s_barrier
	buffer_gl0_inv
	s_and_saveexec_b32 s2, s0
	s_cbranch_execz .LBB120_258
; %bb.249:
	s_and_not1_b32 vcc_lo, exec_lo, s3
	s_cbranch_vccnz .LBB120_251
; %bb.250:
	scratch_load_b64 v[13:14], v16, off
	ds_load_b64 v[32:33], v15
	s_waitcnt vmcnt(0) lgkmcnt(0)
	v_mul_f64 v[13:14], v[13:14], v[32:33]
	s_cbranch_execz .LBB120_252
	s_branch .LBB120_253
.LBB120_251:
                                        ; implicit-def: $vgpr13_vgpr14
.LBB120_252:
	ds_load_b64 v[13:14], v15
.LBB120_253:
	s_and_saveexec_b32 s4, s1
	s_cbranch_execz .LBB120_257
; %bb.254:
	v_mov_b32_e32 v32, 0
	v_subrev_nc_u32_e32 v33, 31, v0
	s_movk_i32 s5, 0x2c8
	s_mov_b32 s1, 0
	s_delay_alu instid0(VALU_DEP_2)
	v_add_nc_u32_e32 v32, 0xf8, v32
.LBB120_255:                            ; =>This Inner Loop Header: Depth=1
	scratch_load_b64 v[34:35], v32, off
	v_dual_mov_b32 v36, s5 :: v_dual_add_nc_u32 v33, -1, v33
	v_add_nc_u32_e32 v32, 8, v32
	s_add_i32 s5, s5, 8
	ds_load_b64 v[140:141], v36
	v_cmp_eq_u32_e32 vcc_lo, 0, v33
	s_or_b32 s1, vcc_lo, s1
	s_waitcnt vmcnt(0) lgkmcnt(0)
	v_fma_f64 v[13:14], v[34:35], v[140:141], v[13:14]
	s_and_not1_b32 exec_lo, exec_lo, s1
	s_cbranch_execnz .LBB120_255
; %bb.256:
	s_or_b32 exec_lo, exec_lo, s1
.LBB120_257:
	s_delay_alu instid0(SALU_CYCLE_1)
	s_or_b32 exec_lo, exec_lo, s4
	v_mov_b32_e32 v32, 0
	ds_load_b64 v[32:33], v32 offset:240
	s_waitcnt lgkmcnt(0)
	v_mul_f64 v[13:14], v[13:14], v[32:33]
	scratch_store_b64 off, v[13:14], off offset:240
.LBB120_258:
	s_or_b32 exec_lo, exec_lo, s2
	scratch_load_b64 v[13:14], off, off offset:232
	v_cmp_lt_u32_e64 s1, 29, v0
	s_waitcnt vmcnt(0)
	ds_store_b64 v15, v[13:14]
	s_waitcnt lgkmcnt(0)
	s_waitcnt_vscnt null, 0x0
	s_barrier
	buffer_gl0_inv
	s_and_saveexec_b32 s2, s1
	s_cbranch_execz .LBB120_268
; %bb.259:
	s_and_not1_b32 vcc_lo, exec_lo, s3
	s_cbranch_vccnz .LBB120_261
; %bb.260:
	scratch_load_b64 v[13:14], v16, off
	ds_load_b64 v[32:33], v15
	s_waitcnt vmcnt(0) lgkmcnt(0)
	v_mul_f64 v[13:14], v[13:14], v[32:33]
	s_cbranch_execz .LBB120_262
	s_branch .LBB120_263
.LBB120_261:
                                        ; implicit-def: $vgpr13_vgpr14
.LBB120_262:
	ds_load_b64 v[13:14], v15
.LBB120_263:
	s_and_saveexec_b32 s4, s0
	s_cbranch_execz .LBB120_267
; %bb.264:
	v_subrev_nc_u32_e32 v32, 30, v0
	s_movk_i32 s5, 0x2c0
	s_mov_b32 s0, 0
.LBB120_265:                            ; =>This Inner Loop Header: Depth=1
	scratch_load_b64 v[33:34], v31, off
	v_dual_mov_b32 v35, s5 :: v_dual_add_nc_u32 v32, -1, v32
	v_add_nc_u32_e32 v31, 8, v31
	s_add_i32 s5, s5, 8
	ds_load_b64 v[35:36], v35
	v_cmp_eq_u32_e32 vcc_lo, 0, v32
	s_or_b32 s0, vcc_lo, s0
	s_waitcnt vmcnt(0) lgkmcnt(0)
	v_fma_f64 v[13:14], v[33:34], v[35:36], v[13:14]
	s_and_not1_b32 exec_lo, exec_lo, s0
	s_cbranch_execnz .LBB120_265
; %bb.266:
	s_or_b32 exec_lo, exec_lo, s0
.LBB120_267:
	s_delay_alu instid0(SALU_CYCLE_1)
	s_or_b32 exec_lo, exec_lo, s4
	v_mov_b32_e32 v31, 0
	ds_load_b64 v[31:32], v31 offset:232
	s_waitcnt lgkmcnt(0)
	v_mul_f64 v[13:14], v[13:14], v[31:32]
	scratch_store_b64 off, v[13:14], off offset:232
.LBB120_268:
	s_or_b32 exec_lo, exec_lo, s2
	scratch_load_b64 v[13:14], off, off offset:224
	v_cmp_lt_u32_e64 s0, 28, v0
	s_waitcnt vmcnt(0)
	ds_store_b64 v15, v[13:14]
	s_waitcnt lgkmcnt(0)
	s_waitcnt_vscnt null, 0x0
	s_barrier
	buffer_gl0_inv
	s_and_saveexec_b32 s2, s0
	s_cbranch_execz .LBB120_278
; %bb.269:
	s_and_not1_b32 vcc_lo, exec_lo, s3
	s_cbranch_vccnz .LBB120_271
; %bb.270:
	scratch_load_b64 v[13:14], v16, off
	ds_load_b64 v[31:32], v15
	s_waitcnt vmcnt(0) lgkmcnt(0)
	v_mul_f64 v[13:14], v[13:14], v[31:32]
	s_cbranch_execz .LBB120_272
	s_branch .LBB120_273
.LBB120_271:
                                        ; implicit-def: $vgpr13_vgpr14
.LBB120_272:
	ds_load_b64 v[13:14], v15
.LBB120_273:
	s_and_saveexec_b32 s4, s1
	s_cbranch_execz .LBB120_277
; %bb.274:
	v_mov_b32_e32 v31, 0
	v_subrev_nc_u32_e32 v32, 29, v0
	s_movk_i32 s5, 0x2b8
	s_mov_b32 s1, 0
	s_delay_alu instid0(VALU_DEP_2)
	v_add_nc_u32_e32 v31, 0xe8, v31
.LBB120_275:                            ; =>This Inner Loop Header: Depth=1
	scratch_load_b64 v[33:34], v31, off
	v_dual_mov_b32 v35, s5 :: v_dual_add_nc_u32 v32, -1, v32
	v_add_nc_u32_e32 v31, 8, v31
	s_add_i32 s5, s5, 8
	ds_load_b64 v[35:36], v35
	v_cmp_eq_u32_e32 vcc_lo, 0, v32
	s_or_b32 s1, vcc_lo, s1
	s_waitcnt vmcnt(0) lgkmcnt(0)
	v_fma_f64 v[13:14], v[33:34], v[35:36], v[13:14]
	s_and_not1_b32 exec_lo, exec_lo, s1
	s_cbranch_execnz .LBB120_275
; %bb.276:
	s_or_b32 exec_lo, exec_lo, s1
.LBB120_277:
	s_delay_alu instid0(SALU_CYCLE_1)
	s_or_b32 exec_lo, exec_lo, s4
	v_mov_b32_e32 v31, 0
	ds_load_b64 v[31:32], v31 offset:224
	s_waitcnt lgkmcnt(0)
	v_mul_f64 v[13:14], v[13:14], v[31:32]
	scratch_store_b64 off, v[13:14], off offset:224
.LBB120_278:
	s_or_b32 exec_lo, exec_lo, s2
	scratch_load_b64 v[13:14], off, off offset:216
	v_cmp_lt_u32_e64 s1, 27, v0
	s_waitcnt vmcnt(0)
	ds_store_b64 v15, v[13:14]
	s_waitcnt lgkmcnt(0)
	s_waitcnt_vscnt null, 0x0
	s_barrier
	buffer_gl0_inv
	s_and_saveexec_b32 s2, s1
	s_cbranch_execz .LBB120_288
; %bb.279:
	s_and_not1_b32 vcc_lo, exec_lo, s3
	s_cbranch_vccnz .LBB120_281
; %bb.280:
	scratch_load_b64 v[13:14], v16, off
	ds_load_b64 v[31:32], v15
	s_waitcnt vmcnt(0) lgkmcnt(0)
	v_mul_f64 v[13:14], v[13:14], v[31:32]
	s_cbranch_execz .LBB120_282
	s_branch .LBB120_283
.LBB120_281:
                                        ; implicit-def: $vgpr13_vgpr14
.LBB120_282:
	ds_load_b64 v[13:14], v15
.LBB120_283:
	s_and_saveexec_b32 s4, s0
	s_cbranch_execz .LBB120_287
; %bb.284:
	v_subrev_nc_u32_e32 v31, 28, v0
	s_movk_i32 s5, 0x2b0
	s_mov_b32 s0, 0
.LBB120_285:                            ; =>This Inner Loop Header: Depth=1
	scratch_load_b64 v[32:33], v30, off
	v_dual_mov_b32 v34, s5 :: v_dual_add_nc_u32 v31, -1, v31
	v_add_nc_u32_e32 v30, 8, v30
	s_add_i32 s5, s5, 8
	ds_load_b64 v[34:35], v34
	v_cmp_eq_u32_e32 vcc_lo, 0, v31
	s_or_b32 s0, vcc_lo, s0
	s_waitcnt vmcnt(0) lgkmcnt(0)
	v_fma_f64 v[13:14], v[32:33], v[34:35], v[13:14]
	s_and_not1_b32 exec_lo, exec_lo, s0
	s_cbranch_execnz .LBB120_285
; %bb.286:
	s_or_b32 exec_lo, exec_lo, s0
.LBB120_287:
	s_delay_alu instid0(SALU_CYCLE_1)
	s_or_b32 exec_lo, exec_lo, s4
	v_mov_b32_e32 v30, 0
	ds_load_b64 v[30:31], v30 offset:216
	s_waitcnt lgkmcnt(0)
	v_mul_f64 v[13:14], v[13:14], v[30:31]
	scratch_store_b64 off, v[13:14], off offset:216
.LBB120_288:
	s_or_b32 exec_lo, exec_lo, s2
	scratch_load_b64 v[13:14], off, off offset:208
	v_cmp_lt_u32_e64 s0, 26, v0
	s_waitcnt vmcnt(0)
	ds_store_b64 v15, v[13:14]
	s_waitcnt lgkmcnt(0)
	s_waitcnt_vscnt null, 0x0
	s_barrier
	buffer_gl0_inv
	s_and_saveexec_b32 s2, s0
	s_cbranch_execz .LBB120_298
; %bb.289:
	s_and_not1_b32 vcc_lo, exec_lo, s3
	s_cbranch_vccnz .LBB120_291
; %bb.290:
	scratch_load_b64 v[13:14], v16, off
	ds_load_b64 v[30:31], v15
	s_waitcnt vmcnt(0) lgkmcnt(0)
	v_mul_f64 v[13:14], v[13:14], v[30:31]
	s_cbranch_execz .LBB120_292
	s_branch .LBB120_293
.LBB120_291:
                                        ; implicit-def: $vgpr13_vgpr14
.LBB120_292:
	ds_load_b64 v[13:14], v15
.LBB120_293:
	s_and_saveexec_b32 s4, s1
	s_cbranch_execz .LBB120_297
; %bb.294:
	v_mov_b32_e32 v30, 0
	v_subrev_nc_u32_e32 v31, 27, v0
	s_movk_i32 s5, 0x2a8
	s_mov_b32 s1, 0
	s_delay_alu instid0(VALU_DEP_2)
	v_add_nc_u32_e32 v30, 0xd8, v30
.LBB120_295:                            ; =>This Inner Loop Header: Depth=1
	scratch_load_b64 v[32:33], v30, off
	v_dual_mov_b32 v34, s5 :: v_dual_add_nc_u32 v31, -1, v31
	v_add_nc_u32_e32 v30, 8, v30
	s_add_i32 s5, s5, 8
	ds_load_b64 v[34:35], v34
	v_cmp_eq_u32_e32 vcc_lo, 0, v31
	s_or_b32 s1, vcc_lo, s1
	s_waitcnt vmcnt(0) lgkmcnt(0)
	v_fma_f64 v[13:14], v[32:33], v[34:35], v[13:14]
	s_and_not1_b32 exec_lo, exec_lo, s1
	s_cbranch_execnz .LBB120_295
; %bb.296:
	s_or_b32 exec_lo, exec_lo, s1
.LBB120_297:
	s_delay_alu instid0(SALU_CYCLE_1)
	s_or_b32 exec_lo, exec_lo, s4
	v_mov_b32_e32 v30, 0
	ds_load_b64 v[30:31], v30 offset:208
	s_waitcnt lgkmcnt(0)
	v_mul_f64 v[13:14], v[13:14], v[30:31]
	scratch_store_b64 off, v[13:14], off offset:208
.LBB120_298:
	s_or_b32 exec_lo, exec_lo, s2
	scratch_load_b64 v[13:14], off, off offset:200
	v_cmp_lt_u32_e64 s1, 25, v0
	s_waitcnt vmcnt(0)
	ds_store_b64 v15, v[13:14]
	s_waitcnt lgkmcnt(0)
	s_waitcnt_vscnt null, 0x0
	s_barrier
	buffer_gl0_inv
	s_and_saveexec_b32 s2, s1
	s_cbranch_execz .LBB120_308
; %bb.299:
	s_and_not1_b32 vcc_lo, exec_lo, s3
	s_cbranch_vccnz .LBB120_301
; %bb.300:
	scratch_load_b64 v[13:14], v16, off
	ds_load_b64 v[30:31], v15
	s_waitcnt vmcnt(0) lgkmcnt(0)
	v_mul_f64 v[13:14], v[13:14], v[30:31]
	s_cbranch_execz .LBB120_302
	s_branch .LBB120_303
.LBB120_301:
                                        ; implicit-def: $vgpr13_vgpr14
.LBB120_302:
	ds_load_b64 v[13:14], v15
.LBB120_303:
	s_and_saveexec_b32 s4, s0
	s_cbranch_execz .LBB120_307
; %bb.304:
	v_subrev_nc_u32_e32 v30, 26, v0
	s_movk_i32 s5, 0x2a0
	s_mov_b32 s0, 0
.LBB120_305:                            ; =>This Inner Loop Header: Depth=1
	scratch_load_b64 v[31:32], v29, off
	v_dual_mov_b32 v33, s5 :: v_dual_add_nc_u32 v30, -1, v30
	v_add_nc_u32_e32 v29, 8, v29
	s_add_i32 s5, s5, 8
	ds_load_b64 v[33:34], v33
	v_cmp_eq_u32_e32 vcc_lo, 0, v30
	s_or_b32 s0, vcc_lo, s0
	s_waitcnt vmcnt(0) lgkmcnt(0)
	v_fma_f64 v[13:14], v[31:32], v[33:34], v[13:14]
	s_and_not1_b32 exec_lo, exec_lo, s0
	s_cbranch_execnz .LBB120_305
; %bb.306:
	s_or_b32 exec_lo, exec_lo, s0
.LBB120_307:
	s_delay_alu instid0(SALU_CYCLE_1)
	s_or_b32 exec_lo, exec_lo, s4
	v_mov_b32_e32 v29, 0
	ds_load_b64 v[29:30], v29 offset:200
	s_waitcnt lgkmcnt(0)
	v_mul_f64 v[13:14], v[13:14], v[29:30]
	scratch_store_b64 off, v[13:14], off offset:200
.LBB120_308:
	s_or_b32 exec_lo, exec_lo, s2
	scratch_load_b64 v[13:14], off, off offset:192
	v_cmp_lt_u32_e64 s0, 24, v0
	s_waitcnt vmcnt(0)
	ds_store_b64 v15, v[13:14]
	s_waitcnt lgkmcnt(0)
	s_waitcnt_vscnt null, 0x0
	s_barrier
	buffer_gl0_inv
	s_and_saveexec_b32 s2, s0
	s_cbranch_execz .LBB120_318
; %bb.309:
	s_and_not1_b32 vcc_lo, exec_lo, s3
	s_cbranch_vccnz .LBB120_311
; %bb.310:
	scratch_load_b64 v[13:14], v16, off
	ds_load_b64 v[29:30], v15
	s_waitcnt vmcnt(0) lgkmcnt(0)
	v_mul_f64 v[13:14], v[13:14], v[29:30]
	s_cbranch_execz .LBB120_312
	s_branch .LBB120_313
.LBB120_311:
                                        ; implicit-def: $vgpr13_vgpr14
.LBB120_312:
	ds_load_b64 v[13:14], v15
.LBB120_313:
	s_and_saveexec_b32 s4, s1
	s_cbranch_execz .LBB120_317
; %bb.314:
	v_mov_b32_e32 v29, 0
	v_subrev_nc_u32_e32 v30, 25, v0
	s_movk_i32 s5, 0x298
	s_mov_b32 s1, 0
	s_delay_alu instid0(VALU_DEP_2)
	v_add_nc_u32_e32 v29, 0xc8, v29
.LBB120_315:                            ; =>This Inner Loop Header: Depth=1
	scratch_load_b64 v[31:32], v29, off
	v_dual_mov_b32 v33, s5 :: v_dual_add_nc_u32 v30, -1, v30
	v_add_nc_u32_e32 v29, 8, v29
	s_add_i32 s5, s5, 8
	ds_load_b64 v[33:34], v33
	v_cmp_eq_u32_e32 vcc_lo, 0, v30
	s_or_b32 s1, vcc_lo, s1
	s_waitcnt vmcnt(0) lgkmcnt(0)
	v_fma_f64 v[13:14], v[31:32], v[33:34], v[13:14]
	s_and_not1_b32 exec_lo, exec_lo, s1
	s_cbranch_execnz .LBB120_315
; %bb.316:
	s_or_b32 exec_lo, exec_lo, s1
.LBB120_317:
	s_delay_alu instid0(SALU_CYCLE_1)
	s_or_b32 exec_lo, exec_lo, s4
	v_mov_b32_e32 v29, 0
	ds_load_b64 v[29:30], v29 offset:192
	s_waitcnt lgkmcnt(0)
	v_mul_f64 v[13:14], v[13:14], v[29:30]
	scratch_store_b64 off, v[13:14], off offset:192
.LBB120_318:
	s_or_b32 exec_lo, exec_lo, s2
	scratch_load_b64 v[13:14], off, off offset:184
	v_cmp_lt_u32_e64 s1, 23, v0
	s_waitcnt vmcnt(0)
	ds_store_b64 v15, v[13:14]
	s_waitcnt lgkmcnt(0)
	s_waitcnt_vscnt null, 0x0
	s_barrier
	buffer_gl0_inv
	s_and_saveexec_b32 s2, s1
	s_cbranch_execz .LBB120_328
; %bb.319:
	s_and_not1_b32 vcc_lo, exec_lo, s3
	s_cbranch_vccnz .LBB120_321
; %bb.320:
	scratch_load_b64 v[13:14], v16, off
	ds_load_b64 v[29:30], v15
	s_waitcnt vmcnt(0) lgkmcnt(0)
	v_mul_f64 v[13:14], v[13:14], v[29:30]
	s_cbranch_execz .LBB120_322
	s_branch .LBB120_323
.LBB120_321:
                                        ; implicit-def: $vgpr13_vgpr14
.LBB120_322:
	ds_load_b64 v[13:14], v15
.LBB120_323:
	s_and_saveexec_b32 s4, s0
	s_cbranch_execz .LBB120_327
; %bb.324:
	v_subrev_nc_u32_e32 v29, 24, v0
	s_movk_i32 s5, 0x290
	s_mov_b32 s0, 0
.LBB120_325:                            ; =>This Inner Loop Header: Depth=1
	scratch_load_b64 v[30:31], v28, off
	v_dual_mov_b32 v32, s5 :: v_dual_add_nc_u32 v29, -1, v29
	v_add_nc_u32_e32 v28, 8, v28
	s_add_i32 s5, s5, 8
	ds_load_b64 v[32:33], v32
	v_cmp_eq_u32_e32 vcc_lo, 0, v29
	s_or_b32 s0, vcc_lo, s0
	s_waitcnt vmcnt(0) lgkmcnt(0)
	v_fma_f64 v[13:14], v[30:31], v[32:33], v[13:14]
	s_and_not1_b32 exec_lo, exec_lo, s0
	s_cbranch_execnz .LBB120_325
; %bb.326:
	s_or_b32 exec_lo, exec_lo, s0
.LBB120_327:
	s_delay_alu instid0(SALU_CYCLE_1)
	s_or_b32 exec_lo, exec_lo, s4
	v_mov_b32_e32 v28, 0
	ds_load_b64 v[28:29], v28 offset:184
	s_waitcnt lgkmcnt(0)
	v_mul_f64 v[13:14], v[13:14], v[28:29]
	scratch_store_b64 off, v[13:14], off offset:184
.LBB120_328:
	s_or_b32 exec_lo, exec_lo, s2
	scratch_load_b64 v[13:14], off, off offset:176
	v_cmp_lt_u32_e64 s0, 22, v0
	s_waitcnt vmcnt(0)
	ds_store_b64 v15, v[13:14]
	s_waitcnt lgkmcnt(0)
	s_waitcnt_vscnt null, 0x0
	s_barrier
	buffer_gl0_inv
	s_and_saveexec_b32 s2, s0
	s_cbranch_execz .LBB120_338
; %bb.329:
	s_and_not1_b32 vcc_lo, exec_lo, s3
	s_cbranch_vccnz .LBB120_331
; %bb.330:
	scratch_load_b64 v[13:14], v16, off
	ds_load_b64 v[28:29], v15
	s_waitcnt vmcnt(0) lgkmcnt(0)
	v_mul_f64 v[13:14], v[13:14], v[28:29]
	s_cbranch_execz .LBB120_332
	s_branch .LBB120_333
.LBB120_331:
                                        ; implicit-def: $vgpr13_vgpr14
.LBB120_332:
	ds_load_b64 v[13:14], v15
.LBB120_333:
	s_and_saveexec_b32 s4, s1
	s_cbranch_execz .LBB120_337
; %bb.334:
	v_mov_b32_e32 v28, 0
	v_subrev_nc_u32_e32 v29, 23, v0
	s_movk_i32 s5, 0x288
	s_mov_b32 s1, 0
	s_delay_alu instid0(VALU_DEP_2)
	v_add_nc_u32_e32 v28, 0xb8, v28
.LBB120_335:                            ; =>This Inner Loop Header: Depth=1
	scratch_load_b64 v[30:31], v28, off
	v_dual_mov_b32 v32, s5 :: v_dual_add_nc_u32 v29, -1, v29
	v_add_nc_u32_e32 v28, 8, v28
	s_add_i32 s5, s5, 8
	ds_load_b64 v[32:33], v32
	v_cmp_eq_u32_e32 vcc_lo, 0, v29
	s_or_b32 s1, vcc_lo, s1
	s_waitcnt vmcnt(0) lgkmcnt(0)
	v_fma_f64 v[13:14], v[30:31], v[32:33], v[13:14]
	s_and_not1_b32 exec_lo, exec_lo, s1
	s_cbranch_execnz .LBB120_335
; %bb.336:
	s_or_b32 exec_lo, exec_lo, s1
.LBB120_337:
	s_delay_alu instid0(SALU_CYCLE_1)
	s_or_b32 exec_lo, exec_lo, s4
	v_mov_b32_e32 v28, 0
	ds_load_b64 v[28:29], v28 offset:176
	s_waitcnt lgkmcnt(0)
	v_mul_f64 v[13:14], v[13:14], v[28:29]
	scratch_store_b64 off, v[13:14], off offset:176
.LBB120_338:
	s_or_b32 exec_lo, exec_lo, s2
	scratch_load_b64 v[13:14], off, off offset:168
	v_cmp_lt_u32_e64 s1, 21, v0
	s_waitcnt vmcnt(0)
	ds_store_b64 v15, v[13:14]
	s_waitcnt lgkmcnt(0)
	s_waitcnt_vscnt null, 0x0
	s_barrier
	buffer_gl0_inv
	s_and_saveexec_b32 s2, s1
	s_cbranch_execz .LBB120_348
; %bb.339:
	s_and_not1_b32 vcc_lo, exec_lo, s3
	s_cbranch_vccnz .LBB120_341
; %bb.340:
	scratch_load_b64 v[13:14], v16, off
	ds_load_b64 v[28:29], v15
	s_waitcnt vmcnt(0) lgkmcnt(0)
	v_mul_f64 v[13:14], v[13:14], v[28:29]
	s_cbranch_execz .LBB120_342
	s_branch .LBB120_343
.LBB120_341:
                                        ; implicit-def: $vgpr13_vgpr14
.LBB120_342:
	ds_load_b64 v[13:14], v15
.LBB120_343:
	s_and_saveexec_b32 s4, s0
	s_cbranch_execz .LBB120_347
; %bb.344:
	v_subrev_nc_u32_e32 v28, 22, v0
	s_movk_i32 s5, 0x280
	s_mov_b32 s0, 0
.LBB120_345:                            ; =>This Inner Loop Header: Depth=1
	scratch_load_b64 v[29:30], v27, off
	v_dual_mov_b32 v31, s5 :: v_dual_add_nc_u32 v28, -1, v28
	v_add_nc_u32_e32 v27, 8, v27
	s_add_i32 s5, s5, 8
	ds_load_b64 v[31:32], v31
	v_cmp_eq_u32_e32 vcc_lo, 0, v28
	s_or_b32 s0, vcc_lo, s0
	s_waitcnt vmcnt(0) lgkmcnt(0)
	v_fma_f64 v[13:14], v[29:30], v[31:32], v[13:14]
	s_and_not1_b32 exec_lo, exec_lo, s0
	s_cbranch_execnz .LBB120_345
; %bb.346:
	s_or_b32 exec_lo, exec_lo, s0
.LBB120_347:
	s_delay_alu instid0(SALU_CYCLE_1)
	s_or_b32 exec_lo, exec_lo, s4
	v_mov_b32_e32 v27, 0
	ds_load_b64 v[27:28], v27 offset:168
	s_waitcnt lgkmcnt(0)
	v_mul_f64 v[13:14], v[13:14], v[27:28]
	scratch_store_b64 off, v[13:14], off offset:168
.LBB120_348:
	s_or_b32 exec_lo, exec_lo, s2
	scratch_load_b64 v[13:14], off, off offset:160
	v_cmp_lt_u32_e64 s0, 20, v0
	s_waitcnt vmcnt(0)
	ds_store_b64 v15, v[13:14]
	s_waitcnt lgkmcnt(0)
	s_waitcnt_vscnt null, 0x0
	s_barrier
	buffer_gl0_inv
	s_and_saveexec_b32 s2, s0
	s_cbranch_execz .LBB120_358
; %bb.349:
	s_and_not1_b32 vcc_lo, exec_lo, s3
	s_cbranch_vccnz .LBB120_351
; %bb.350:
	scratch_load_b64 v[13:14], v16, off
	ds_load_b64 v[27:28], v15
	s_waitcnt vmcnt(0) lgkmcnt(0)
	v_mul_f64 v[13:14], v[13:14], v[27:28]
	s_cbranch_execz .LBB120_352
	s_branch .LBB120_353
.LBB120_351:
                                        ; implicit-def: $vgpr13_vgpr14
.LBB120_352:
	ds_load_b64 v[13:14], v15
.LBB120_353:
	s_and_saveexec_b32 s4, s1
	s_cbranch_execz .LBB120_357
; %bb.354:
	v_mov_b32_e32 v27, 0
	v_subrev_nc_u32_e32 v28, 21, v0
	s_movk_i32 s5, 0x278
	s_mov_b32 s1, 0
	s_delay_alu instid0(VALU_DEP_2)
	v_add_nc_u32_e32 v27, 0xa8, v27
.LBB120_355:                            ; =>This Inner Loop Header: Depth=1
	scratch_load_b64 v[29:30], v27, off
	v_dual_mov_b32 v31, s5 :: v_dual_add_nc_u32 v28, -1, v28
	v_add_nc_u32_e32 v27, 8, v27
	s_add_i32 s5, s5, 8
	ds_load_b64 v[31:32], v31
	v_cmp_eq_u32_e32 vcc_lo, 0, v28
	s_or_b32 s1, vcc_lo, s1
	s_waitcnt vmcnt(0) lgkmcnt(0)
	v_fma_f64 v[13:14], v[29:30], v[31:32], v[13:14]
	s_and_not1_b32 exec_lo, exec_lo, s1
	s_cbranch_execnz .LBB120_355
; %bb.356:
	s_or_b32 exec_lo, exec_lo, s1
.LBB120_357:
	s_delay_alu instid0(SALU_CYCLE_1)
	s_or_b32 exec_lo, exec_lo, s4
	v_mov_b32_e32 v27, 0
	ds_load_b64 v[27:28], v27 offset:160
	s_waitcnt lgkmcnt(0)
	v_mul_f64 v[13:14], v[13:14], v[27:28]
	scratch_store_b64 off, v[13:14], off offset:160
.LBB120_358:
	s_or_b32 exec_lo, exec_lo, s2
	scratch_load_b64 v[13:14], off, off offset:152
	v_cmp_lt_u32_e64 s1, 19, v0
	s_waitcnt vmcnt(0)
	ds_store_b64 v15, v[13:14]
	s_waitcnt lgkmcnt(0)
	s_waitcnt_vscnt null, 0x0
	s_barrier
	buffer_gl0_inv
	s_and_saveexec_b32 s2, s1
	s_cbranch_execz .LBB120_368
; %bb.359:
	s_and_not1_b32 vcc_lo, exec_lo, s3
	s_cbranch_vccnz .LBB120_361
; %bb.360:
	scratch_load_b64 v[13:14], v16, off
	ds_load_b64 v[27:28], v15
	s_waitcnt vmcnt(0) lgkmcnt(0)
	v_mul_f64 v[13:14], v[13:14], v[27:28]
	s_cbranch_execz .LBB120_362
	s_branch .LBB120_363
.LBB120_361:
                                        ; implicit-def: $vgpr13_vgpr14
.LBB120_362:
	ds_load_b64 v[13:14], v15
.LBB120_363:
	s_and_saveexec_b32 s4, s0
	s_cbranch_execz .LBB120_367
; %bb.364:
	v_subrev_nc_u32_e32 v27, 20, v0
	s_movk_i32 s5, 0x270
	s_mov_b32 s0, 0
.LBB120_365:                            ; =>This Inner Loop Header: Depth=1
	scratch_load_b64 v[28:29], v26, off
	v_dual_mov_b32 v30, s5 :: v_dual_add_nc_u32 v27, -1, v27
	v_add_nc_u32_e32 v26, 8, v26
	s_add_i32 s5, s5, 8
	ds_load_b64 v[30:31], v30
	v_cmp_eq_u32_e32 vcc_lo, 0, v27
	s_or_b32 s0, vcc_lo, s0
	s_waitcnt vmcnt(0) lgkmcnt(0)
	v_fma_f64 v[13:14], v[28:29], v[30:31], v[13:14]
	s_and_not1_b32 exec_lo, exec_lo, s0
	s_cbranch_execnz .LBB120_365
; %bb.366:
	s_or_b32 exec_lo, exec_lo, s0
.LBB120_367:
	s_delay_alu instid0(SALU_CYCLE_1)
	s_or_b32 exec_lo, exec_lo, s4
	v_mov_b32_e32 v26, 0
	ds_load_b64 v[26:27], v26 offset:152
	s_waitcnt lgkmcnt(0)
	v_mul_f64 v[13:14], v[13:14], v[26:27]
	scratch_store_b64 off, v[13:14], off offset:152
.LBB120_368:
	s_or_b32 exec_lo, exec_lo, s2
	scratch_load_b64 v[13:14], off, off offset:144
	v_cmp_lt_u32_e64 s0, 18, v0
	s_waitcnt vmcnt(0)
	ds_store_b64 v15, v[13:14]
	s_waitcnt lgkmcnt(0)
	s_waitcnt_vscnt null, 0x0
	s_barrier
	buffer_gl0_inv
	s_and_saveexec_b32 s2, s0
	s_cbranch_execz .LBB120_378
; %bb.369:
	s_and_not1_b32 vcc_lo, exec_lo, s3
	s_cbranch_vccnz .LBB120_371
; %bb.370:
	scratch_load_b64 v[13:14], v16, off
	ds_load_b64 v[26:27], v15
	s_waitcnt vmcnt(0) lgkmcnt(0)
	v_mul_f64 v[13:14], v[13:14], v[26:27]
	s_cbranch_execz .LBB120_372
	s_branch .LBB120_373
.LBB120_371:
                                        ; implicit-def: $vgpr13_vgpr14
.LBB120_372:
	ds_load_b64 v[13:14], v15
.LBB120_373:
	s_and_saveexec_b32 s4, s1
	s_cbranch_execz .LBB120_377
; %bb.374:
	v_mov_b32_e32 v26, 0
	v_subrev_nc_u32_e32 v27, 19, v0
	s_movk_i32 s5, 0x268
	s_mov_b32 s1, 0
	s_delay_alu instid0(VALU_DEP_2)
	v_add_nc_u32_e32 v26, 0x98, v26
.LBB120_375:                            ; =>This Inner Loop Header: Depth=1
	scratch_load_b64 v[28:29], v26, off
	v_dual_mov_b32 v30, s5 :: v_dual_add_nc_u32 v27, -1, v27
	v_add_nc_u32_e32 v26, 8, v26
	s_add_i32 s5, s5, 8
	ds_load_b64 v[30:31], v30
	v_cmp_eq_u32_e32 vcc_lo, 0, v27
	s_or_b32 s1, vcc_lo, s1
	s_waitcnt vmcnt(0) lgkmcnt(0)
	v_fma_f64 v[13:14], v[28:29], v[30:31], v[13:14]
	s_and_not1_b32 exec_lo, exec_lo, s1
	s_cbranch_execnz .LBB120_375
; %bb.376:
	s_or_b32 exec_lo, exec_lo, s1
.LBB120_377:
	s_delay_alu instid0(SALU_CYCLE_1)
	s_or_b32 exec_lo, exec_lo, s4
	v_mov_b32_e32 v26, 0
	ds_load_b64 v[26:27], v26 offset:144
	s_waitcnt lgkmcnt(0)
	v_mul_f64 v[13:14], v[13:14], v[26:27]
	scratch_store_b64 off, v[13:14], off offset:144
.LBB120_378:
	s_or_b32 exec_lo, exec_lo, s2
	scratch_load_b64 v[13:14], off, off offset:136
	v_cmp_lt_u32_e64 s1, 17, v0
	s_waitcnt vmcnt(0)
	ds_store_b64 v15, v[13:14]
	s_waitcnt lgkmcnt(0)
	s_waitcnt_vscnt null, 0x0
	s_barrier
	buffer_gl0_inv
	s_and_saveexec_b32 s2, s1
	s_cbranch_execz .LBB120_388
; %bb.379:
	s_and_not1_b32 vcc_lo, exec_lo, s3
	s_cbranch_vccnz .LBB120_381
; %bb.380:
	scratch_load_b64 v[13:14], v16, off
	ds_load_b64 v[26:27], v15
	s_waitcnt vmcnt(0) lgkmcnt(0)
	v_mul_f64 v[13:14], v[13:14], v[26:27]
	s_cbranch_execz .LBB120_382
	s_branch .LBB120_383
.LBB120_381:
                                        ; implicit-def: $vgpr13_vgpr14
.LBB120_382:
	ds_load_b64 v[13:14], v15
.LBB120_383:
	s_and_saveexec_b32 s4, s0
	s_cbranch_execz .LBB120_387
; %bb.384:
	v_subrev_nc_u32_e32 v26, 18, v0
	s_movk_i32 s5, 0x260
	s_mov_b32 s0, 0
.LBB120_385:                            ; =>This Inner Loop Header: Depth=1
	scratch_load_b64 v[27:28], v25, off
	v_dual_mov_b32 v29, s5 :: v_dual_add_nc_u32 v26, -1, v26
	v_add_nc_u32_e32 v25, 8, v25
	s_add_i32 s5, s5, 8
	ds_load_b64 v[29:30], v29
	v_cmp_eq_u32_e32 vcc_lo, 0, v26
	s_or_b32 s0, vcc_lo, s0
	s_waitcnt vmcnt(0) lgkmcnt(0)
	v_fma_f64 v[13:14], v[27:28], v[29:30], v[13:14]
	s_and_not1_b32 exec_lo, exec_lo, s0
	s_cbranch_execnz .LBB120_385
; %bb.386:
	s_or_b32 exec_lo, exec_lo, s0
.LBB120_387:
	s_delay_alu instid0(SALU_CYCLE_1)
	s_or_b32 exec_lo, exec_lo, s4
	v_mov_b32_e32 v25, 0
	ds_load_b64 v[25:26], v25 offset:136
	s_waitcnt lgkmcnt(0)
	v_mul_f64 v[13:14], v[13:14], v[25:26]
	scratch_store_b64 off, v[13:14], off offset:136
.LBB120_388:
	s_or_b32 exec_lo, exec_lo, s2
	scratch_load_b64 v[13:14], off, off offset:128
	v_cmp_lt_u32_e64 s0, 16, v0
	s_waitcnt vmcnt(0)
	ds_store_b64 v15, v[13:14]
	s_waitcnt lgkmcnt(0)
	s_waitcnt_vscnt null, 0x0
	s_barrier
	buffer_gl0_inv
	s_and_saveexec_b32 s2, s0
	s_cbranch_execz .LBB120_398
; %bb.389:
	s_and_not1_b32 vcc_lo, exec_lo, s3
	s_cbranch_vccnz .LBB120_391
; %bb.390:
	scratch_load_b64 v[13:14], v16, off
	ds_load_b64 v[25:26], v15
	s_waitcnt vmcnt(0) lgkmcnt(0)
	v_mul_f64 v[13:14], v[13:14], v[25:26]
	s_cbranch_execz .LBB120_392
	s_branch .LBB120_393
.LBB120_391:
                                        ; implicit-def: $vgpr13_vgpr14
.LBB120_392:
	ds_load_b64 v[13:14], v15
.LBB120_393:
	s_and_saveexec_b32 s4, s1
	s_cbranch_execz .LBB120_397
; %bb.394:
	v_mov_b32_e32 v25, 0
	v_subrev_nc_u32_e32 v26, 17, v0
	s_movk_i32 s5, 0x258
	s_mov_b32 s1, 0
	s_delay_alu instid0(VALU_DEP_2)
	v_add_nc_u32_e32 v25, 0x88, v25
.LBB120_395:                            ; =>This Inner Loop Header: Depth=1
	scratch_load_b64 v[27:28], v25, off
	v_dual_mov_b32 v29, s5 :: v_dual_add_nc_u32 v26, -1, v26
	v_add_nc_u32_e32 v25, 8, v25
	s_add_i32 s5, s5, 8
	ds_load_b64 v[29:30], v29
	v_cmp_eq_u32_e32 vcc_lo, 0, v26
	s_or_b32 s1, vcc_lo, s1
	s_waitcnt vmcnt(0) lgkmcnt(0)
	v_fma_f64 v[13:14], v[27:28], v[29:30], v[13:14]
	s_and_not1_b32 exec_lo, exec_lo, s1
	s_cbranch_execnz .LBB120_395
; %bb.396:
	s_or_b32 exec_lo, exec_lo, s1
.LBB120_397:
	s_delay_alu instid0(SALU_CYCLE_1)
	s_or_b32 exec_lo, exec_lo, s4
	v_mov_b32_e32 v25, 0
	ds_load_b64 v[25:26], v25 offset:128
	s_waitcnt lgkmcnt(0)
	v_mul_f64 v[13:14], v[13:14], v[25:26]
	scratch_store_b64 off, v[13:14], off offset:128
.LBB120_398:
	s_or_b32 exec_lo, exec_lo, s2
	scratch_load_b64 v[13:14], off, off offset:120
	v_cmp_lt_u32_e64 s1, 15, v0
	s_waitcnt vmcnt(0)
	ds_store_b64 v15, v[13:14]
	s_waitcnt lgkmcnt(0)
	s_waitcnt_vscnt null, 0x0
	s_barrier
	buffer_gl0_inv
	s_and_saveexec_b32 s2, s1
	s_cbranch_execz .LBB120_408
; %bb.399:
	s_and_not1_b32 vcc_lo, exec_lo, s3
	s_cbranch_vccnz .LBB120_401
; %bb.400:
	scratch_load_b64 v[13:14], v16, off
	ds_load_b64 v[25:26], v15
	s_waitcnt vmcnt(0) lgkmcnt(0)
	v_mul_f64 v[13:14], v[13:14], v[25:26]
	s_cbranch_execz .LBB120_402
	s_branch .LBB120_403
.LBB120_401:
                                        ; implicit-def: $vgpr13_vgpr14
.LBB120_402:
	ds_load_b64 v[13:14], v15
.LBB120_403:
	s_and_saveexec_b32 s4, s0
	s_cbranch_execz .LBB120_407
; %bb.404:
	v_add_nc_u32_e32 v25, -16, v0
	s_movk_i32 s5, 0x250
	s_mov_b32 s0, 0
.LBB120_405:                            ; =>This Inner Loop Header: Depth=1
	scratch_load_b64 v[26:27], v24, off
	v_dual_mov_b32 v28, s5 :: v_dual_add_nc_u32 v25, -1, v25
	v_add_nc_u32_e32 v24, 8, v24
	s_add_i32 s5, s5, 8
	ds_load_b64 v[28:29], v28
	v_cmp_eq_u32_e32 vcc_lo, 0, v25
	s_or_b32 s0, vcc_lo, s0
	s_waitcnt vmcnt(0) lgkmcnt(0)
	v_fma_f64 v[13:14], v[26:27], v[28:29], v[13:14]
	s_and_not1_b32 exec_lo, exec_lo, s0
	s_cbranch_execnz .LBB120_405
; %bb.406:
	s_or_b32 exec_lo, exec_lo, s0
.LBB120_407:
	s_delay_alu instid0(SALU_CYCLE_1)
	s_or_b32 exec_lo, exec_lo, s4
	v_mov_b32_e32 v24, 0
	ds_load_b64 v[24:25], v24 offset:120
	s_waitcnt lgkmcnt(0)
	v_mul_f64 v[13:14], v[13:14], v[24:25]
	scratch_store_b64 off, v[13:14], off offset:120
.LBB120_408:
	s_or_b32 exec_lo, exec_lo, s2
	scratch_load_b64 v[13:14], off, off offset:112
	v_cmp_lt_u32_e64 s0, 14, v0
	s_waitcnt vmcnt(0)
	ds_store_b64 v15, v[13:14]
	s_waitcnt lgkmcnt(0)
	s_waitcnt_vscnt null, 0x0
	s_barrier
	buffer_gl0_inv
	s_and_saveexec_b32 s2, s0
	s_cbranch_execz .LBB120_418
; %bb.409:
	s_and_not1_b32 vcc_lo, exec_lo, s3
	s_cbranch_vccnz .LBB120_411
; %bb.410:
	scratch_load_b64 v[13:14], v16, off
	ds_load_b64 v[24:25], v15
	s_waitcnt vmcnt(0) lgkmcnt(0)
	v_mul_f64 v[13:14], v[13:14], v[24:25]
	s_cbranch_execz .LBB120_412
	s_branch .LBB120_413
.LBB120_411:
                                        ; implicit-def: $vgpr13_vgpr14
.LBB120_412:
	ds_load_b64 v[13:14], v15
.LBB120_413:
	s_and_saveexec_b32 s4, s1
	s_cbranch_execz .LBB120_417
; %bb.414:
	v_dual_mov_b32 v24, 0 :: v_dual_add_nc_u32 v25, -15, v0
	s_movk_i32 s5, 0x248
	s_mov_b32 s1, 0
	s_delay_alu instid0(VALU_DEP_1)
	v_add_nc_u32_e32 v24, 0x78, v24
.LBB120_415:                            ; =>This Inner Loop Header: Depth=1
	scratch_load_b64 v[26:27], v24, off
	v_dual_mov_b32 v28, s5 :: v_dual_add_nc_u32 v25, -1, v25
	v_add_nc_u32_e32 v24, 8, v24
	s_add_i32 s5, s5, 8
	ds_load_b64 v[28:29], v28
	v_cmp_eq_u32_e32 vcc_lo, 0, v25
	s_or_b32 s1, vcc_lo, s1
	s_waitcnt vmcnt(0) lgkmcnt(0)
	v_fma_f64 v[13:14], v[26:27], v[28:29], v[13:14]
	s_and_not1_b32 exec_lo, exec_lo, s1
	s_cbranch_execnz .LBB120_415
; %bb.416:
	s_or_b32 exec_lo, exec_lo, s1
.LBB120_417:
	s_delay_alu instid0(SALU_CYCLE_1)
	s_or_b32 exec_lo, exec_lo, s4
	v_mov_b32_e32 v24, 0
	ds_load_b64 v[24:25], v24 offset:112
	s_waitcnt lgkmcnt(0)
	v_mul_f64 v[13:14], v[13:14], v[24:25]
	scratch_store_b64 off, v[13:14], off offset:112
.LBB120_418:
	s_or_b32 exec_lo, exec_lo, s2
	scratch_load_b64 v[13:14], off, off offset:104
	v_cmp_lt_u32_e64 s1, 13, v0
	s_waitcnt vmcnt(0)
	ds_store_b64 v15, v[13:14]
	s_waitcnt lgkmcnt(0)
	s_waitcnt_vscnt null, 0x0
	s_barrier
	buffer_gl0_inv
	s_and_saveexec_b32 s2, s1
	s_cbranch_execz .LBB120_428
; %bb.419:
	s_and_not1_b32 vcc_lo, exec_lo, s3
	s_cbranch_vccnz .LBB120_421
; %bb.420:
	scratch_load_b64 v[13:14], v16, off
	ds_load_b64 v[24:25], v15
	s_waitcnt vmcnt(0) lgkmcnt(0)
	v_mul_f64 v[13:14], v[13:14], v[24:25]
	s_cbranch_execz .LBB120_422
	s_branch .LBB120_423
.LBB120_421:
                                        ; implicit-def: $vgpr13_vgpr14
.LBB120_422:
	ds_load_b64 v[13:14], v15
.LBB120_423:
	s_and_saveexec_b32 s4, s0
	s_cbranch_execz .LBB120_427
; %bb.424:
	v_add_nc_u32_e32 v24, -14, v0
	s_movk_i32 s5, 0x240
	s_mov_b32 s0, 0
.LBB120_425:                            ; =>This Inner Loop Header: Depth=1
	scratch_load_b64 v[25:26], v23, off
	v_dual_mov_b32 v27, s5 :: v_dual_add_nc_u32 v24, -1, v24
	v_add_nc_u32_e32 v23, 8, v23
	s_add_i32 s5, s5, 8
	ds_load_b64 v[27:28], v27
	v_cmp_eq_u32_e32 vcc_lo, 0, v24
	s_or_b32 s0, vcc_lo, s0
	s_waitcnt vmcnt(0) lgkmcnt(0)
	v_fma_f64 v[13:14], v[25:26], v[27:28], v[13:14]
	s_and_not1_b32 exec_lo, exec_lo, s0
	s_cbranch_execnz .LBB120_425
; %bb.426:
	s_or_b32 exec_lo, exec_lo, s0
.LBB120_427:
	s_delay_alu instid0(SALU_CYCLE_1)
	s_or_b32 exec_lo, exec_lo, s4
	v_mov_b32_e32 v23, 0
	ds_load_b64 v[23:24], v23 offset:104
	s_waitcnt lgkmcnt(0)
	v_mul_f64 v[13:14], v[13:14], v[23:24]
	scratch_store_b64 off, v[13:14], off offset:104
.LBB120_428:
	s_or_b32 exec_lo, exec_lo, s2
	scratch_load_b64 v[13:14], off, off offset:96
	v_cmp_lt_u32_e64 s0, 12, v0
	s_waitcnt vmcnt(0)
	ds_store_b64 v15, v[13:14]
	s_waitcnt lgkmcnt(0)
	s_waitcnt_vscnt null, 0x0
	s_barrier
	buffer_gl0_inv
	s_and_saveexec_b32 s2, s0
	s_cbranch_execz .LBB120_438
; %bb.429:
	s_and_not1_b32 vcc_lo, exec_lo, s3
	s_cbranch_vccnz .LBB120_431
; %bb.430:
	scratch_load_b64 v[13:14], v16, off
	ds_load_b64 v[23:24], v15
	s_waitcnt vmcnt(0) lgkmcnt(0)
	v_mul_f64 v[13:14], v[13:14], v[23:24]
	s_cbranch_execz .LBB120_432
	s_branch .LBB120_433
.LBB120_431:
                                        ; implicit-def: $vgpr13_vgpr14
.LBB120_432:
	ds_load_b64 v[13:14], v15
.LBB120_433:
	s_and_saveexec_b32 s4, s1
	s_cbranch_execz .LBB120_437
; %bb.434:
	v_dual_mov_b32 v23, 0 :: v_dual_add_nc_u32 v24, -13, v0
	s_movk_i32 s5, 0x238
	s_mov_b32 s1, 0
	s_delay_alu instid0(VALU_DEP_1)
	v_add_nc_u32_e32 v23, 0x68, v23
.LBB120_435:                            ; =>This Inner Loop Header: Depth=1
	scratch_load_b64 v[25:26], v23, off
	v_dual_mov_b32 v27, s5 :: v_dual_add_nc_u32 v24, -1, v24
	v_add_nc_u32_e32 v23, 8, v23
	s_add_i32 s5, s5, 8
	ds_load_b64 v[27:28], v27
	v_cmp_eq_u32_e32 vcc_lo, 0, v24
	s_or_b32 s1, vcc_lo, s1
	s_waitcnt vmcnt(0) lgkmcnt(0)
	v_fma_f64 v[13:14], v[25:26], v[27:28], v[13:14]
	s_and_not1_b32 exec_lo, exec_lo, s1
	s_cbranch_execnz .LBB120_435
; %bb.436:
	s_or_b32 exec_lo, exec_lo, s1
.LBB120_437:
	s_delay_alu instid0(SALU_CYCLE_1)
	s_or_b32 exec_lo, exec_lo, s4
	v_mov_b32_e32 v23, 0
	ds_load_b64 v[23:24], v23 offset:96
	s_waitcnt lgkmcnt(0)
	v_mul_f64 v[13:14], v[13:14], v[23:24]
	scratch_store_b64 off, v[13:14], off offset:96
.LBB120_438:
	s_or_b32 exec_lo, exec_lo, s2
	scratch_load_b64 v[13:14], off, off offset:88
	v_cmp_lt_u32_e64 s1, 11, v0
	s_waitcnt vmcnt(0)
	ds_store_b64 v15, v[13:14]
	s_waitcnt lgkmcnt(0)
	s_waitcnt_vscnt null, 0x0
	s_barrier
	buffer_gl0_inv
	s_and_saveexec_b32 s2, s1
	s_cbranch_execz .LBB120_448
; %bb.439:
	s_and_not1_b32 vcc_lo, exec_lo, s3
	s_cbranch_vccnz .LBB120_441
; %bb.440:
	scratch_load_b64 v[13:14], v16, off
	ds_load_b64 v[23:24], v15
	s_waitcnt vmcnt(0) lgkmcnt(0)
	v_mul_f64 v[13:14], v[13:14], v[23:24]
	s_cbranch_execz .LBB120_442
	s_branch .LBB120_443
.LBB120_441:
                                        ; implicit-def: $vgpr13_vgpr14
.LBB120_442:
	ds_load_b64 v[13:14], v15
.LBB120_443:
	s_and_saveexec_b32 s4, s0
	s_cbranch_execz .LBB120_447
; %bb.444:
	v_add_nc_u32_e32 v23, -12, v0
	s_movk_i32 s5, 0x230
	s_mov_b32 s0, 0
.LBB120_445:                            ; =>This Inner Loop Header: Depth=1
	scratch_load_b64 v[24:25], v22, off
	v_dual_mov_b32 v26, s5 :: v_dual_add_nc_u32 v23, -1, v23
	v_add_nc_u32_e32 v22, 8, v22
	s_add_i32 s5, s5, 8
	ds_load_b64 v[26:27], v26
	v_cmp_eq_u32_e32 vcc_lo, 0, v23
	s_or_b32 s0, vcc_lo, s0
	s_waitcnt vmcnt(0) lgkmcnt(0)
	v_fma_f64 v[13:14], v[24:25], v[26:27], v[13:14]
	s_and_not1_b32 exec_lo, exec_lo, s0
	s_cbranch_execnz .LBB120_445
; %bb.446:
	s_or_b32 exec_lo, exec_lo, s0
.LBB120_447:
	s_delay_alu instid0(SALU_CYCLE_1)
	s_or_b32 exec_lo, exec_lo, s4
	v_mov_b32_e32 v22, 0
	ds_load_b64 v[22:23], v22 offset:88
	s_waitcnt lgkmcnt(0)
	v_mul_f64 v[13:14], v[13:14], v[22:23]
	scratch_store_b64 off, v[13:14], off offset:88
.LBB120_448:
	s_or_b32 exec_lo, exec_lo, s2
	scratch_load_b64 v[13:14], off, off offset:80
	v_cmp_lt_u32_e64 s0, 10, v0
	s_waitcnt vmcnt(0)
	ds_store_b64 v15, v[13:14]
	s_waitcnt lgkmcnt(0)
	s_waitcnt_vscnt null, 0x0
	s_barrier
	buffer_gl0_inv
	s_and_saveexec_b32 s2, s0
	s_cbranch_execz .LBB120_458
; %bb.449:
	s_and_not1_b32 vcc_lo, exec_lo, s3
	s_cbranch_vccnz .LBB120_451
; %bb.450:
	scratch_load_b64 v[13:14], v16, off
	ds_load_b64 v[22:23], v15
	s_waitcnt vmcnt(0) lgkmcnt(0)
	v_mul_f64 v[13:14], v[13:14], v[22:23]
	s_cbranch_execz .LBB120_452
	s_branch .LBB120_453
.LBB120_451:
                                        ; implicit-def: $vgpr13_vgpr14
.LBB120_452:
	ds_load_b64 v[13:14], v15
.LBB120_453:
	s_and_saveexec_b32 s4, s1
	s_cbranch_execz .LBB120_457
; %bb.454:
	v_dual_mov_b32 v22, 0 :: v_dual_add_nc_u32 v23, -11, v0
	s_movk_i32 s5, 0x228
	s_mov_b32 s1, 0
	s_delay_alu instid0(VALU_DEP_1)
	v_add_nc_u32_e32 v22, 0x58, v22
.LBB120_455:                            ; =>This Inner Loop Header: Depth=1
	scratch_load_b64 v[24:25], v22, off
	v_dual_mov_b32 v26, s5 :: v_dual_add_nc_u32 v23, -1, v23
	v_add_nc_u32_e32 v22, 8, v22
	s_add_i32 s5, s5, 8
	ds_load_b64 v[26:27], v26
	v_cmp_eq_u32_e32 vcc_lo, 0, v23
	s_or_b32 s1, vcc_lo, s1
	s_waitcnt vmcnt(0) lgkmcnt(0)
	v_fma_f64 v[13:14], v[24:25], v[26:27], v[13:14]
	s_and_not1_b32 exec_lo, exec_lo, s1
	s_cbranch_execnz .LBB120_455
; %bb.456:
	s_or_b32 exec_lo, exec_lo, s1
.LBB120_457:
	s_delay_alu instid0(SALU_CYCLE_1)
	s_or_b32 exec_lo, exec_lo, s4
	v_mov_b32_e32 v22, 0
	ds_load_b64 v[22:23], v22 offset:80
	s_waitcnt lgkmcnt(0)
	v_mul_f64 v[13:14], v[13:14], v[22:23]
	scratch_store_b64 off, v[13:14], off offset:80
.LBB120_458:
	s_or_b32 exec_lo, exec_lo, s2
	scratch_load_b64 v[13:14], off, off offset:72
	v_cmp_lt_u32_e64 s1, 9, v0
	s_waitcnt vmcnt(0)
	ds_store_b64 v15, v[13:14]
	s_waitcnt lgkmcnt(0)
	s_waitcnt_vscnt null, 0x0
	s_barrier
	buffer_gl0_inv
	s_and_saveexec_b32 s2, s1
	s_cbranch_execz .LBB120_468
; %bb.459:
	s_and_not1_b32 vcc_lo, exec_lo, s3
	s_cbranch_vccnz .LBB120_461
; %bb.460:
	scratch_load_b64 v[13:14], v16, off
	ds_load_b64 v[22:23], v15
	s_waitcnt vmcnt(0) lgkmcnt(0)
	v_mul_f64 v[13:14], v[13:14], v[22:23]
	s_cbranch_execz .LBB120_462
	s_branch .LBB120_463
.LBB120_461:
                                        ; implicit-def: $vgpr13_vgpr14
.LBB120_462:
	ds_load_b64 v[13:14], v15
.LBB120_463:
	s_and_saveexec_b32 s4, s0
	s_cbranch_execz .LBB120_467
; %bb.464:
	v_add_nc_u32_e32 v22, -10, v0
	s_movk_i32 s5, 0x220
	s_mov_b32 s0, 0
.LBB120_465:                            ; =>This Inner Loop Header: Depth=1
	scratch_load_b64 v[23:24], v21, off
	v_dual_mov_b32 v25, s5 :: v_dual_add_nc_u32 v22, -1, v22
	v_add_nc_u32_e32 v21, 8, v21
	s_add_i32 s5, s5, 8
	ds_load_b64 v[25:26], v25
	v_cmp_eq_u32_e32 vcc_lo, 0, v22
	s_or_b32 s0, vcc_lo, s0
	s_waitcnt vmcnt(0) lgkmcnt(0)
	v_fma_f64 v[13:14], v[23:24], v[25:26], v[13:14]
	s_and_not1_b32 exec_lo, exec_lo, s0
	s_cbranch_execnz .LBB120_465
; %bb.466:
	s_or_b32 exec_lo, exec_lo, s0
.LBB120_467:
	s_delay_alu instid0(SALU_CYCLE_1)
	s_or_b32 exec_lo, exec_lo, s4
	v_mov_b32_e32 v21, 0
	ds_load_b64 v[21:22], v21 offset:72
	s_waitcnt lgkmcnt(0)
	v_mul_f64 v[13:14], v[13:14], v[21:22]
	scratch_store_b64 off, v[13:14], off offset:72
.LBB120_468:
	s_or_b32 exec_lo, exec_lo, s2
	scratch_load_b64 v[13:14], off, off offset:64
	v_cmp_lt_u32_e64 s0, 8, v0
	s_waitcnt vmcnt(0)
	ds_store_b64 v15, v[13:14]
	s_waitcnt lgkmcnt(0)
	s_waitcnt_vscnt null, 0x0
	s_barrier
	buffer_gl0_inv
	s_and_saveexec_b32 s2, s0
	s_cbranch_execz .LBB120_478
; %bb.469:
	s_and_not1_b32 vcc_lo, exec_lo, s3
	s_cbranch_vccnz .LBB120_471
; %bb.470:
	scratch_load_b64 v[13:14], v16, off
	ds_load_b64 v[21:22], v15
	s_waitcnt vmcnt(0) lgkmcnt(0)
	v_mul_f64 v[13:14], v[13:14], v[21:22]
	s_cbranch_execz .LBB120_472
	s_branch .LBB120_473
.LBB120_471:
                                        ; implicit-def: $vgpr13_vgpr14
.LBB120_472:
	ds_load_b64 v[13:14], v15
.LBB120_473:
	s_and_saveexec_b32 s4, s1
	s_cbranch_execz .LBB120_477
; %bb.474:
	v_dual_mov_b32 v21, 0 :: v_dual_add_nc_u32 v22, -9, v0
	s_movk_i32 s5, 0x218
	s_mov_b32 s1, 0
	s_delay_alu instid0(VALU_DEP_1)
	v_add_nc_u32_e32 v21, 0x48, v21
.LBB120_475:                            ; =>This Inner Loop Header: Depth=1
	scratch_load_b64 v[23:24], v21, off
	v_dual_mov_b32 v25, s5 :: v_dual_add_nc_u32 v22, -1, v22
	v_add_nc_u32_e32 v21, 8, v21
	s_add_i32 s5, s5, 8
	ds_load_b64 v[25:26], v25
	v_cmp_eq_u32_e32 vcc_lo, 0, v22
	s_or_b32 s1, vcc_lo, s1
	s_waitcnt vmcnt(0) lgkmcnt(0)
	v_fma_f64 v[13:14], v[23:24], v[25:26], v[13:14]
	s_and_not1_b32 exec_lo, exec_lo, s1
	s_cbranch_execnz .LBB120_475
; %bb.476:
	s_or_b32 exec_lo, exec_lo, s1
.LBB120_477:
	s_delay_alu instid0(SALU_CYCLE_1)
	s_or_b32 exec_lo, exec_lo, s4
	v_mov_b32_e32 v21, 0
	ds_load_b64 v[21:22], v21 offset:64
	s_waitcnt lgkmcnt(0)
	v_mul_f64 v[13:14], v[13:14], v[21:22]
	scratch_store_b64 off, v[13:14], off offset:64
.LBB120_478:
	s_or_b32 exec_lo, exec_lo, s2
	scratch_load_b64 v[13:14], off, off offset:56
	v_cmp_lt_u32_e64 s1, 7, v0
	s_waitcnt vmcnt(0)
	ds_store_b64 v15, v[13:14]
	s_waitcnt lgkmcnt(0)
	s_waitcnt_vscnt null, 0x0
	s_barrier
	buffer_gl0_inv
	s_and_saveexec_b32 s2, s1
	s_cbranch_execz .LBB120_488
; %bb.479:
	s_and_not1_b32 vcc_lo, exec_lo, s3
	s_cbranch_vccnz .LBB120_481
; %bb.480:
	scratch_load_b64 v[13:14], v16, off
	ds_load_b64 v[21:22], v15
	s_waitcnt vmcnt(0) lgkmcnt(0)
	v_mul_f64 v[13:14], v[13:14], v[21:22]
	s_cbranch_execz .LBB120_482
	s_branch .LBB120_483
.LBB120_481:
                                        ; implicit-def: $vgpr13_vgpr14
.LBB120_482:
	ds_load_b64 v[13:14], v15
.LBB120_483:
	s_and_saveexec_b32 s4, s0
	s_cbranch_execz .LBB120_487
; %bb.484:
	v_add_nc_u32_e32 v21, -8, v0
	s_movk_i32 s5, 0x210
	s_mov_b32 s0, 0
.LBB120_485:                            ; =>This Inner Loop Header: Depth=1
	scratch_load_b64 v[22:23], v20, off
	v_dual_mov_b32 v24, s5 :: v_dual_add_nc_u32 v21, -1, v21
	v_add_nc_u32_e32 v20, 8, v20
	s_add_i32 s5, s5, 8
	ds_load_b64 v[24:25], v24
	v_cmp_eq_u32_e32 vcc_lo, 0, v21
	s_or_b32 s0, vcc_lo, s0
	s_waitcnt vmcnt(0) lgkmcnt(0)
	v_fma_f64 v[13:14], v[22:23], v[24:25], v[13:14]
	s_and_not1_b32 exec_lo, exec_lo, s0
	s_cbranch_execnz .LBB120_485
; %bb.486:
	s_or_b32 exec_lo, exec_lo, s0
.LBB120_487:
	s_delay_alu instid0(SALU_CYCLE_1)
	s_or_b32 exec_lo, exec_lo, s4
	v_mov_b32_e32 v20, 0
	ds_load_b64 v[20:21], v20 offset:56
	s_waitcnt lgkmcnt(0)
	v_mul_f64 v[13:14], v[13:14], v[20:21]
	scratch_store_b64 off, v[13:14], off offset:56
.LBB120_488:
	s_or_b32 exec_lo, exec_lo, s2
	scratch_load_b64 v[13:14], off, off offset:48
	v_cmp_lt_u32_e64 s0, 6, v0
	s_waitcnt vmcnt(0)
	ds_store_b64 v15, v[13:14]
	s_waitcnt lgkmcnt(0)
	s_waitcnt_vscnt null, 0x0
	s_barrier
	buffer_gl0_inv
	s_and_saveexec_b32 s2, s0
	s_cbranch_execz .LBB120_498
; %bb.489:
	s_and_not1_b32 vcc_lo, exec_lo, s3
	s_cbranch_vccnz .LBB120_491
; %bb.490:
	scratch_load_b64 v[13:14], v16, off
	ds_load_b64 v[20:21], v15
	s_waitcnt vmcnt(0) lgkmcnt(0)
	v_mul_f64 v[13:14], v[13:14], v[20:21]
	s_cbranch_execz .LBB120_492
	s_branch .LBB120_493
.LBB120_491:
                                        ; implicit-def: $vgpr13_vgpr14
.LBB120_492:
	ds_load_b64 v[13:14], v15
.LBB120_493:
	s_and_saveexec_b32 s4, s1
	s_cbranch_execz .LBB120_497
; %bb.494:
	v_add_nc_u32_e64 v20, 0, 56
	v_add_nc_u32_e32 v21, -7, v0
	s_movk_i32 s5, 0x208
	s_mov_b32 s1, 0
.LBB120_495:                            ; =>This Inner Loop Header: Depth=1
	scratch_load_b64 v[22:23], v20, off
	v_dual_mov_b32 v24, s5 :: v_dual_add_nc_u32 v21, -1, v21
	v_add_nc_u32_e32 v20, 8, v20
	s_add_i32 s5, s5, 8
	ds_load_b64 v[24:25], v24
	v_cmp_eq_u32_e32 vcc_lo, 0, v21
	s_or_b32 s1, vcc_lo, s1
	s_waitcnt vmcnt(0) lgkmcnt(0)
	v_fma_f64 v[13:14], v[22:23], v[24:25], v[13:14]
	s_and_not1_b32 exec_lo, exec_lo, s1
	s_cbranch_execnz .LBB120_495
; %bb.496:
	s_or_b32 exec_lo, exec_lo, s1
.LBB120_497:
	s_delay_alu instid0(SALU_CYCLE_1)
	s_or_b32 exec_lo, exec_lo, s4
	v_mov_b32_e32 v20, 0
	ds_load_b64 v[20:21], v20 offset:48
	s_waitcnt lgkmcnt(0)
	v_mul_f64 v[13:14], v[13:14], v[20:21]
	scratch_store_b64 off, v[13:14], off offset:48
.LBB120_498:
	s_or_b32 exec_lo, exec_lo, s2
	scratch_load_b64 v[13:14], off, off offset:40
	v_cmp_lt_u32_e64 s1, 5, v0
	s_waitcnt vmcnt(0)
	ds_store_b64 v15, v[13:14]
	s_waitcnt lgkmcnt(0)
	s_waitcnt_vscnt null, 0x0
	s_barrier
	buffer_gl0_inv
	s_and_saveexec_b32 s2, s1
	s_cbranch_execz .LBB120_508
; %bb.499:
	s_and_not1_b32 vcc_lo, exec_lo, s3
	s_cbranch_vccnz .LBB120_501
; %bb.500:
	scratch_load_b64 v[13:14], v16, off
	ds_load_b64 v[20:21], v15
	s_waitcnt vmcnt(0) lgkmcnt(0)
	v_mul_f64 v[13:14], v[13:14], v[20:21]
	s_cbranch_execz .LBB120_502
	s_branch .LBB120_503
.LBB120_501:
                                        ; implicit-def: $vgpr13_vgpr14
.LBB120_502:
	ds_load_b64 v[13:14], v15
.LBB120_503:
	s_and_saveexec_b32 s4, s0
	s_cbranch_execz .LBB120_507
; %bb.504:
	v_add_nc_u32_e32 v20, -6, v0
	s_movk_i32 s5, 0x200
	s_mov_b32 s0, 0
.LBB120_505:                            ; =>This Inner Loop Header: Depth=1
	scratch_load_b64 v[21:22], v19, off
	v_dual_mov_b32 v23, s5 :: v_dual_add_nc_u32 v20, -1, v20
	v_add_nc_u32_e32 v19, 8, v19
	s_add_i32 s5, s5, 8
	ds_load_b64 v[23:24], v23
	v_cmp_eq_u32_e32 vcc_lo, 0, v20
	s_or_b32 s0, vcc_lo, s0
	s_waitcnt vmcnt(0) lgkmcnt(0)
	v_fma_f64 v[13:14], v[21:22], v[23:24], v[13:14]
	s_and_not1_b32 exec_lo, exec_lo, s0
	s_cbranch_execnz .LBB120_505
; %bb.506:
	s_or_b32 exec_lo, exec_lo, s0
.LBB120_507:
	s_delay_alu instid0(SALU_CYCLE_1)
	s_or_b32 exec_lo, exec_lo, s4
	v_mov_b32_e32 v19, 0
	ds_load_b64 v[19:20], v19 offset:40
	s_waitcnt lgkmcnt(0)
	v_mul_f64 v[13:14], v[13:14], v[19:20]
	scratch_store_b64 off, v[13:14], off offset:40
.LBB120_508:
	s_or_b32 exec_lo, exec_lo, s2
	scratch_load_b64 v[13:14], off, off offset:32
	v_cmp_lt_u32_e64 s0, 4, v0
	s_waitcnt vmcnt(0)
	ds_store_b64 v15, v[13:14]
	s_waitcnt lgkmcnt(0)
	s_waitcnt_vscnt null, 0x0
	s_barrier
	buffer_gl0_inv
	s_and_saveexec_b32 s2, s0
	s_cbranch_execz .LBB120_518
; %bb.509:
	s_and_not1_b32 vcc_lo, exec_lo, s3
	s_cbranch_vccnz .LBB120_511
; %bb.510:
	scratch_load_b64 v[13:14], v16, off
	ds_load_b64 v[19:20], v15
	s_waitcnt vmcnt(0) lgkmcnt(0)
	v_mul_f64 v[13:14], v[13:14], v[19:20]
	s_cbranch_execz .LBB120_512
	s_branch .LBB120_513
.LBB120_511:
                                        ; implicit-def: $vgpr13_vgpr14
.LBB120_512:
	ds_load_b64 v[13:14], v15
.LBB120_513:
	s_and_saveexec_b32 s4, s1
	s_cbranch_execz .LBB120_517
; %bb.514:
	v_add_nc_u32_e64 v19, 0, 40
	v_add_nc_u32_e32 v20, -5, v0
	s_movk_i32 s5, 0x1f8
	s_mov_b32 s1, 0
.LBB120_515:                            ; =>This Inner Loop Header: Depth=1
	scratch_load_b64 v[21:22], v19, off
	v_dual_mov_b32 v23, s5 :: v_dual_add_nc_u32 v20, -1, v20
	v_add_nc_u32_e32 v19, 8, v19
	s_add_i32 s5, s5, 8
	ds_load_b64 v[23:24], v23
	v_cmp_eq_u32_e32 vcc_lo, 0, v20
	s_or_b32 s1, vcc_lo, s1
	s_waitcnt vmcnt(0) lgkmcnt(0)
	v_fma_f64 v[13:14], v[21:22], v[23:24], v[13:14]
	s_and_not1_b32 exec_lo, exec_lo, s1
	s_cbranch_execnz .LBB120_515
; %bb.516:
	s_or_b32 exec_lo, exec_lo, s1
.LBB120_517:
	s_delay_alu instid0(SALU_CYCLE_1)
	s_or_b32 exec_lo, exec_lo, s4
	v_mov_b32_e32 v19, 0
	ds_load_b64 v[19:20], v19 offset:32
	s_waitcnt lgkmcnt(0)
	v_mul_f64 v[13:14], v[13:14], v[19:20]
	scratch_store_b64 off, v[13:14], off offset:32
.LBB120_518:
	s_or_b32 exec_lo, exec_lo, s2
	scratch_load_b64 v[13:14], off, off offset:24
	v_cmp_lt_u32_e64 s1, 3, v0
	s_waitcnt vmcnt(0)
	ds_store_b64 v15, v[13:14]
	s_waitcnt lgkmcnt(0)
	s_waitcnt_vscnt null, 0x0
	s_barrier
	buffer_gl0_inv
	s_and_saveexec_b32 s2, s1
	s_cbranch_execz .LBB120_528
; %bb.519:
	s_and_not1_b32 vcc_lo, exec_lo, s3
	s_cbranch_vccnz .LBB120_521
; %bb.520:
	scratch_load_b64 v[13:14], v16, off
	ds_load_b64 v[19:20], v15
	s_waitcnt vmcnt(0) lgkmcnt(0)
	v_mul_f64 v[13:14], v[13:14], v[19:20]
	s_cbranch_execz .LBB120_522
	s_branch .LBB120_523
.LBB120_521:
                                        ; implicit-def: $vgpr13_vgpr14
.LBB120_522:
	ds_load_b64 v[13:14], v15
.LBB120_523:
	s_and_saveexec_b32 s4, s0
	s_cbranch_execz .LBB120_527
; %bb.524:
	v_add_nc_u32_e32 v19, -4, v0
	s_movk_i32 s5, 0x1f0
	s_mov_b32 s0, 0
.LBB120_525:                            ; =>This Inner Loop Header: Depth=1
	scratch_load_b64 v[20:21], v18, off
	v_dual_mov_b32 v22, s5 :: v_dual_add_nc_u32 v19, -1, v19
	v_add_nc_u32_e32 v18, 8, v18
	s_add_i32 s5, s5, 8
	ds_load_b64 v[22:23], v22
	v_cmp_eq_u32_e32 vcc_lo, 0, v19
	s_or_b32 s0, vcc_lo, s0
	s_waitcnt vmcnt(0) lgkmcnt(0)
	v_fma_f64 v[13:14], v[20:21], v[22:23], v[13:14]
	s_and_not1_b32 exec_lo, exec_lo, s0
	s_cbranch_execnz .LBB120_525
; %bb.526:
	s_or_b32 exec_lo, exec_lo, s0
.LBB120_527:
	s_delay_alu instid0(SALU_CYCLE_1)
	s_or_b32 exec_lo, exec_lo, s4
	v_mov_b32_e32 v18, 0
	ds_load_b64 v[18:19], v18 offset:24
	s_waitcnt lgkmcnt(0)
	v_mul_f64 v[13:14], v[13:14], v[18:19]
	scratch_store_b64 off, v[13:14], off offset:24
.LBB120_528:
	s_or_b32 exec_lo, exec_lo, s2
	scratch_load_b64 v[13:14], off, off offset:16
	v_cmp_lt_u32_e64 s0, 2, v0
	s_waitcnt vmcnt(0)
	ds_store_b64 v15, v[13:14]
	s_waitcnt lgkmcnt(0)
	s_waitcnt_vscnt null, 0x0
	s_barrier
	buffer_gl0_inv
	s_and_saveexec_b32 s2, s0
	s_cbranch_execz .LBB120_538
; %bb.529:
	s_and_not1_b32 vcc_lo, exec_lo, s3
	s_cbranch_vccnz .LBB120_531
; %bb.530:
	scratch_load_b64 v[13:14], v16, off
	ds_load_b64 v[18:19], v15
	s_waitcnt vmcnt(0) lgkmcnt(0)
	v_mul_f64 v[13:14], v[13:14], v[18:19]
	s_cbranch_execz .LBB120_532
	s_branch .LBB120_533
.LBB120_531:
                                        ; implicit-def: $vgpr13_vgpr14
.LBB120_532:
	ds_load_b64 v[13:14], v15
.LBB120_533:
	s_and_saveexec_b32 s4, s1
	s_cbranch_execz .LBB120_537
; %bb.534:
	v_add_nc_u32_e64 v18, 0, 24
	v_add_nc_u32_e32 v19, -3, v0
	s_movk_i32 s5, 0x1e8
	s_mov_b32 s1, 0
.LBB120_535:                            ; =>This Inner Loop Header: Depth=1
	scratch_load_b64 v[20:21], v18, off
	v_dual_mov_b32 v22, s5 :: v_dual_add_nc_u32 v19, -1, v19
	v_add_nc_u32_e32 v18, 8, v18
	s_add_i32 s5, s5, 8
	ds_load_b64 v[22:23], v22
	v_cmp_eq_u32_e32 vcc_lo, 0, v19
	s_or_b32 s1, vcc_lo, s1
	s_waitcnt vmcnt(0) lgkmcnt(0)
	v_fma_f64 v[13:14], v[20:21], v[22:23], v[13:14]
	s_and_not1_b32 exec_lo, exec_lo, s1
	s_cbranch_execnz .LBB120_535
; %bb.536:
	s_or_b32 exec_lo, exec_lo, s1
.LBB120_537:
	s_delay_alu instid0(SALU_CYCLE_1)
	s_or_b32 exec_lo, exec_lo, s4
	v_mov_b32_e32 v18, 0
	ds_load_b64 v[18:19], v18 offset:16
	s_waitcnt lgkmcnt(0)
	v_mul_f64 v[13:14], v[13:14], v[18:19]
	scratch_store_b64 off, v[13:14], off offset:16
.LBB120_538:
	s_or_b32 exec_lo, exec_lo, s2
	scratch_load_b64 v[13:14], off, off offset:8
	v_cmp_lt_u32_e64 s1, 1, v0
	s_waitcnt vmcnt(0)
	ds_store_b64 v15, v[13:14]
	s_waitcnt lgkmcnt(0)
	s_waitcnt_vscnt null, 0x0
	s_barrier
	buffer_gl0_inv
	s_and_saveexec_b32 s2, s1
	s_cbranch_execz .LBB120_548
; %bb.539:
	s_and_not1_b32 vcc_lo, exec_lo, s3
	s_cbranch_vccnz .LBB120_541
; %bb.540:
	scratch_load_b64 v[13:14], v16, off
	ds_load_b64 v[18:19], v15
	s_waitcnt vmcnt(0) lgkmcnt(0)
	v_mul_f64 v[13:14], v[13:14], v[18:19]
	s_cbranch_execz .LBB120_542
	s_branch .LBB120_543
.LBB120_541:
                                        ; implicit-def: $vgpr13_vgpr14
.LBB120_542:
	ds_load_b64 v[13:14], v15
.LBB120_543:
	s_and_saveexec_b32 s4, s0
	s_cbranch_execz .LBB120_547
; %bb.544:
	v_add_nc_u32_e32 v18, -2, v0
	s_movk_i32 s5, 0x1e0
	s_mov_b32 s0, 0
.LBB120_545:                            ; =>This Inner Loop Header: Depth=1
	scratch_load_b64 v[19:20], v17, off
	v_dual_mov_b32 v21, s5 :: v_dual_add_nc_u32 v18, -1, v18
	v_add_nc_u32_e32 v17, 8, v17
	s_add_i32 s5, s5, 8
	ds_load_b64 v[21:22], v21
	v_cmp_eq_u32_e32 vcc_lo, 0, v18
	s_or_b32 s0, vcc_lo, s0
	s_waitcnt vmcnt(0) lgkmcnt(0)
	v_fma_f64 v[13:14], v[19:20], v[21:22], v[13:14]
	s_and_not1_b32 exec_lo, exec_lo, s0
	s_cbranch_execnz .LBB120_545
; %bb.546:
	s_or_b32 exec_lo, exec_lo, s0
.LBB120_547:
	s_delay_alu instid0(SALU_CYCLE_1)
	s_or_b32 exec_lo, exec_lo, s4
	v_mov_b32_e32 v17, 0
	ds_load_b64 v[17:18], v17 offset:8
	s_waitcnt lgkmcnt(0)
	v_mul_f64 v[13:14], v[13:14], v[17:18]
	scratch_store_b64 off, v[13:14], off offset:8
.LBB120_548:
	s_or_b32 exec_lo, exec_lo, s2
	scratch_load_b64 v[13:14], off, off
	s_mov_b32 s0, 0
	s_mov_b32 s2, exec_lo
	s_waitcnt vmcnt(0)
	ds_store_b64 v15, v[13:14]
	s_waitcnt lgkmcnt(0)
	s_waitcnt_vscnt null, 0x0
	s_barrier
	buffer_gl0_inv
	v_cmpx_ne_u32_e32 0, v0
	s_cbranch_execz .LBB120_558
; %bb.549:
	s_and_not1_b32 vcc_lo, exec_lo, s3
	s_cbranch_vccnz .LBB120_551
; %bb.550:
	scratch_load_b64 v[13:14], v16, off
	ds_load_b64 v[17:18], v15
	s_waitcnt vmcnt(0) lgkmcnt(0)
	v_mul_f64 v[13:14], v[13:14], v[17:18]
	s_cbranch_execz .LBB120_552
	s_branch .LBB120_553
.LBB120_551:
                                        ; implicit-def: $vgpr13_vgpr14
.LBB120_552:
	ds_load_b64 v[13:14], v15
.LBB120_553:
	s_and_saveexec_b32 s4, s1
	s_cbranch_execz .LBB120_557
; %bb.554:
	v_or_b32_e64 v17, 0, 8
	v_add_nc_u32_e32 v18, -1, v0
	s_movk_i32 s5, 0x1d8
	s_mov_b32 s1, 0
.LBB120_555:                            ; =>This Inner Loop Header: Depth=1
	scratch_load_b64 v[19:20], v17, off
	v_dual_mov_b32 v21, s5 :: v_dual_add_nc_u32 v18, -1, v18
	v_add_nc_u32_e32 v17, 8, v17
	s_add_i32 s5, s5, 8
	ds_load_b64 v[21:22], v21
	v_cmp_eq_u32_e32 vcc_lo, 0, v18
	s_or_b32 s1, vcc_lo, s1
	s_waitcnt vmcnt(0) lgkmcnt(0)
	v_fma_f64 v[13:14], v[19:20], v[21:22], v[13:14]
	s_and_not1_b32 exec_lo, exec_lo, s1
	s_cbranch_execnz .LBB120_555
; %bb.556:
	s_or_b32 exec_lo, exec_lo, s1
.LBB120_557:
	s_delay_alu instid0(SALU_CYCLE_1)
	s_or_b32 exec_lo, exec_lo, s4
	v_mov_b32_e32 v17, 0
	ds_load_b64 v[17:18], v17
	s_waitcnt lgkmcnt(0)
	v_mul_f64 v[13:14], v[13:14], v[17:18]
	scratch_store_b64 off, v[13:14], off
.LBB120_558:
	s_or_b32 exec_lo, exec_lo, s2
.LBB120_559:
	s_delay_alu instid0(SALU_CYCLE_1)
	s_and_b32 vcc_lo, exec_lo, s0
	s_cbranch_vccz .LBB120_1115
; %bb.560:
	scratch_load_b64 v[13:14], off, off offset:8
	v_cmp_eq_u32_e64 s0, 0, v0
	s_waitcnt vmcnt(0)
	ds_store_b64 v15, v[13:14]
	s_waitcnt lgkmcnt(0)
	s_waitcnt_vscnt null, 0x0
	s_barrier
	buffer_gl0_inv
	s_and_saveexec_b32 s1, s0
	s_cbranch_execz .LBB120_566
; %bb.561:
	s_and_b32 vcc_lo, exec_lo, s3
	s_cbranch_vccz .LBB120_563
; %bb.562:
	scratch_load_b64 v[13:14], v16, off
	ds_load_b64 v[17:18], v15
	s_waitcnt vmcnt(0) lgkmcnt(0)
	v_mul_f64 v[13:14], v[13:14], v[17:18]
	s_cbranch_execz .LBB120_564
	s_branch .LBB120_565
.LBB120_563:
                                        ; implicit-def: $vgpr13_vgpr14
.LBB120_564:
	ds_load_b64 v[13:14], v15
.LBB120_565:
	v_mov_b32_e32 v17, 0
	ds_load_b64 v[17:18], v17 offset:8
	s_waitcnt lgkmcnt(0)
	v_mul_f64 v[13:14], v[13:14], v[17:18]
	scratch_store_b64 off, v[13:14], off offset:8
.LBB120_566:
	s_or_b32 exec_lo, exec_lo, s1
	scratch_load_b64 v[13:14], off, off offset:16
	v_cndmask_b32_e64 v17, 0, 1, s3
	s_mov_b32 s1, exec_lo
	s_waitcnt vmcnt(0)
	ds_store_b64 v15, v[13:14]
	s_waitcnt lgkmcnt(0)
	s_waitcnt_vscnt null, 0x0
	s_barrier
	buffer_gl0_inv
	v_cmpx_gt_u32_e32 2, v0
	s_cbranch_execz .LBB120_574
; %bb.567:
	s_and_not1_b32 vcc_lo, exec_lo, s3
	s_cbranch_vccnz .LBB120_569
; %bb.568:
	scratch_load_b64 v[13:14], v16, off
	ds_load_b64 v[18:19], v15
	s_waitcnt vmcnt(0) lgkmcnt(0)
	v_mul_f64 v[13:14], v[13:14], v[18:19]
	s_cbranch_execz .LBB120_570
	s_branch .LBB120_571
.LBB120_569:
                                        ; implicit-def: $vgpr13_vgpr14
.LBB120_570:
	ds_load_b64 v[13:14], v15
.LBB120_571:
	s_and_saveexec_b32 s2, s0
	s_cbranch_execz .LBB120_573
; %bb.572:
	scratch_load_b64 v[18:19], v16, off offset:8
	ds_load_b64 v[20:21], v15 offset:8
	s_waitcnt vmcnt(0) lgkmcnt(0)
	v_fma_f64 v[13:14], v[18:19], v[20:21], v[13:14]
.LBB120_573:
	s_or_b32 exec_lo, exec_lo, s2
	v_mov_b32_e32 v18, 0
	ds_load_b64 v[18:19], v18 offset:16
	s_waitcnt lgkmcnt(0)
	v_mul_f64 v[13:14], v[13:14], v[18:19]
	scratch_store_b64 off, v[13:14], off offset:16
.LBB120_574:
	s_or_b32 exec_lo, exec_lo, s1
	scratch_load_b64 v[13:14], off, off offset:24
	s_mov_b32 s1, exec_lo
	s_waitcnt vmcnt(0)
	ds_store_b64 v15, v[13:14]
	s_waitcnt lgkmcnt(0)
	s_waitcnt_vscnt null, 0x0
	s_barrier
	buffer_gl0_inv
	v_cmpx_gt_u32_e32 3, v0
	s_cbranch_execz .LBB120_584
; %bb.575:
	v_cmp_ne_u32_e32 vcc_lo, 1, v17
	s_cbranch_vccnz .LBB120_577
; %bb.576:
	scratch_load_b64 v[13:14], v16, off
	ds_load_b64 v[18:19], v15
	s_waitcnt vmcnt(0) lgkmcnt(0)
	v_mul_f64 v[13:14], v[13:14], v[18:19]
	s_cbranch_execz .LBB120_578
	s_branch .LBB120_579
.LBB120_577:
                                        ; implicit-def: $vgpr13_vgpr14
.LBB120_578:
	ds_load_b64 v[13:14], v15
.LBB120_579:
	s_mov_b32 s2, exec_lo
	v_cmpx_ne_u32_e32 2, v0
	s_cbranch_execz .LBB120_583
; %bb.580:
	scratch_load_b64 v[18:19], v16, off offset:8
	ds_load_b64 v[20:21], v15 offset:8
	s_waitcnt vmcnt(0) lgkmcnt(0)
	v_fma_f64 v[13:14], v[18:19], v[20:21], v[13:14]
	s_and_saveexec_b32 s3, s0
	s_cbranch_execz .LBB120_582
; %bb.581:
	scratch_load_b64 v[18:19], off, off offset:16
	v_mov_b32_e32 v20, 0
	ds_load_b64 v[20:21], v20 offset:480
	s_waitcnt vmcnt(0) lgkmcnt(0)
	v_fma_f64 v[13:14], v[18:19], v[20:21], v[13:14]
.LBB120_582:
	s_or_b32 exec_lo, exec_lo, s3
.LBB120_583:
	s_delay_alu instid0(SALU_CYCLE_1)
	s_or_b32 exec_lo, exec_lo, s2
	v_mov_b32_e32 v18, 0
	ds_load_b64 v[18:19], v18 offset:24
	s_waitcnt lgkmcnt(0)
	v_mul_f64 v[13:14], v[13:14], v[18:19]
	scratch_store_b64 off, v[13:14], off offset:24
.LBB120_584:
	s_or_b32 exec_lo, exec_lo, s1
	scratch_load_b64 v[13:14], off, off offset:32
	s_mov_b32 s0, exec_lo
	s_waitcnt vmcnt(0)
	ds_store_b64 v15, v[13:14]
	s_waitcnt lgkmcnt(0)
	s_waitcnt_vscnt null, 0x0
	s_barrier
	buffer_gl0_inv
	v_cmpx_gt_u32_e32 4, v0
	s_cbranch_execz .LBB120_594
; %bb.585:
	v_cmp_ne_u32_e32 vcc_lo, 1, v17
	s_cbranch_vccnz .LBB120_587
; %bb.586:
	scratch_load_b64 v[13:14], v16, off
	ds_load_b64 v[18:19], v15
	s_waitcnt vmcnt(0) lgkmcnt(0)
	v_mul_f64 v[13:14], v[13:14], v[18:19]
	s_cbranch_execz .LBB120_588
	s_branch .LBB120_589
.LBB120_587:
                                        ; implicit-def: $vgpr13_vgpr14
.LBB120_588:
	ds_load_b64 v[13:14], v15
.LBB120_589:
	s_mov_b32 s1, exec_lo
	v_cmpx_ne_u32_e32 3, v0
	s_cbranch_execz .LBB120_593
; %bb.590:
	v_add_nc_u32_e32 v18, 0x1d8, v139
	v_add3_u32 v19, 0, v139, 8
	v_mov_b32_e32 v20, v0
	s_mov_b32 s2, 0
.LBB120_591:                            ; =>This Inner Loop Header: Depth=1
	scratch_load_b64 v[21:22], v19, off
	ds_load_b64 v[23:24], v18
	v_add_nc_u32_e32 v20, 1, v20
	v_add_nc_u32_e32 v18, 8, v18
	v_add_nc_u32_e32 v19, 8, v19
	s_delay_alu instid0(VALU_DEP_3)
	v_cmp_lt_u32_e32 vcc_lo, 2, v20
	s_or_b32 s2, vcc_lo, s2
	s_waitcnt vmcnt(0) lgkmcnt(0)
	v_fma_f64 v[13:14], v[21:22], v[23:24], v[13:14]
	s_and_not1_b32 exec_lo, exec_lo, s2
	s_cbranch_execnz .LBB120_591
; %bb.592:
	s_or_b32 exec_lo, exec_lo, s2
.LBB120_593:
	s_delay_alu instid0(SALU_CYCLE_1)
	s_or_b32 exec_lo, exec_lo, s1
	v_mov_b32_e32 v18, 0
	ds_load_b64 v[18:19], v18 offset:32
	s_waitcnt lgkmcnt(0)
	v_mul_f64 v[13:14], v[13:14], v[18:19]
	scratch_store_b64 off, v[13:14], off offset:32
.LBB120_594:
	s_or_b32 exec_lo, exec_lo, s0
	scratch_load_b64 v[13:14], off, off offset:40
	s_mov_b32 s0, exec_lo
	s_waitcnt vmcnt(0)
	ds_store_b64 v15, v[13:14]
	s_waitcnt lgkmcnt(0)
	s_waitcnt_vscnt null, 0x0
	s_barrier
	buffer_gl0_inv
	v_cmpx_gt_u32_e32 5, v0
	s_cbranch_execz .LBB120_604
; %bb.595:
	v_cmp_ne_u32_e32 vcc_lo, 1, v17
	s_cbranch_vccnz .LBB120_597
; %bb.596:
	scratch_load_b64 v[13:14], v16, off
	ds_load_b64 v[18:19], v15
	s_waitcnt vmcnt(0) lgkmcnt(0)
	v_mul_f64 v[13:14], v[13:14], v[18:19]
	s_cbranch_execz .LBB120_598
	s_branch .LBB120_599
.LBB120_597:
                                        ; implicit-def: $vgpr13_vgpr14
.LBB120_598:
	ds_load_b64 v[13:14], v15
.LBB120_599:
	s_mov_b32 s1, exec_lo
	v_cmpx_ne_u32_e32 4, v0
	s_cbranch_execz .LBB120_603
; %bb.600:
	v_add_nc_u32_e32 v18, 0x1d8, v139
	v_add3_u32 v19, 0, v139, 8
	v_mov_b32_e32 v20, v0
	s_mov_b32 s2, 0
.LBB120_601:                            ; =>This Inner Loop Header: Depth=1
	scratch_load_b64 v[21:22], v19, off
	ds_load_b64 v[23:24], v18
	v_add_nc_u32_e32 v20, 1, v20
	v_add_nc_u32_e32 v18, 8, v18
	v_add_nc_u32_e32 v19, 8, v19
	s_delay_alu instid0(VALU_DEP_3)
	v_cmp_lt_u32_e32 vcc_lo, 3, v20
	s_or_b32 s2, vcc_lo, s2
	s_waitcnt vmcnt(0) lgkmcnt(0)
	v_fma_f64 v[13:14], v[21:22], v[23:24], v[13:14]
	s_and_not1_b32 exec_lo, exec_lo, s2
	s_cbranch_execnz .LBB120_601
; %bb.602:
	s_or_b32 exec_lo, exec_lo, s2
.LBB120_603:
	s_delay_alu instid0(SALU_CYCLE_1)
	s_or_b32 exec_lo, exec_lo, s1
	v_mov_b32_e32 v18, 0
	ds_load_b64 v[18:19], v18 offset:40
	s_waitcnt lgkmcnt(0)
	v_mul_f64 v[13:14], v[13:14], v[18:19]
	scratch_store_b64 off, v[13:14], off offset:40
.LBB120_604:
	;; [unrolled: 58-line block ×41, first 2 shown]
	s_or_b32 exec_lo, exec_lo, s0
	scratch_load_b64 v[13:14], off, off offset:360
	s_mov_b32 s0, exec_lo
	s_waitcnt vmcnt(0)
	ds_store_b64 v15, v[13:14]
	s_waitcnt lgkmcnt(0)
	s_waitcnt_vscnt null, 0x0
	s_barrier
	buffer_gl0_inv
	v_cmpx_gt_u32_e32 45, v0
	s_cbranch_execz .LBB120_1004
; %bb.995:
	v_cmp_ne_u32_e32 vcc_lo, 1, v17
	s_cbranch_vccnz .LBB120_997
; %bb.996:
	scratch_load_b64 v[13:14], v16, off
	ds_load_b64 v[18:19], v15
	s_waitcnt vmcnt(0) lgkmcnt(0)
	v_mul_f64 v[13:14], v[13:14], v[18:19]
	s_cbranch_execz .LBB120_998
	s_branch .LBB120_999
.LBB120_997:
                                        ; implicit-def: $vgpr13_vgpr14
.LBB120_998:
	ds_load_b64 v[13:14], v15
.LBB120_999:
	s_mov_b32 s1, exec_lo
	v_cmpx_ne_u32_e32 44, v0
	s_cbranch_execz .LBB120_1003
; %bb.1000:
	v_add_nc_u32_e32 v18, 0x1d8, v139
	v_add3_u32 v19, 0, v139, 8
	v_mov_b32_e32 v20, v0
	s_mov_b32 s2, 0
.LBB120_1001:                           ; =>This Inner Loop Header: Depth=1
	scratch_load_b64 v[21:22], v19, off
	ds_load_b64 v[23:24], v18
	v_add_nc_u32_e32 v20, 1, v20
	v_add_nc_u32_e32 v18, 8, v18
	v_add_nc_u32_e32 v19, 8, v19
	s_delay_alu instid0(VALU_DEP_3)
	v_cmp_lt_u32_e32 vcc_lo, 43, v20
	s_or_b32 s2, vcc_lo, s2
	s_waitcnt vmcnt(0) lgkmcnt(0)
	v_fma_f64 v[13:14], v[21:22], v[23:24], v[13:14]
	s_and_not1_b32 exec_lo, exec_lo, s2
	s_cbranch_execnz .LBB120_1001
; %bb.1002:
	s_or_b32 exec_lo, exec_lo, s2
.LBB120_1003:
	s_delay_alu instid0(SALU_CYCLE_1)
	s_or_b32 exec_lo, exec_lo, s1
	v_mov_b32_e32 v18, 0
	ds_load_b64 v[18:19], v18 offset:360
	s_waitcnt lgkmcnt(0)
	v_mul_f64 v[13:14], v[13:14], v[18:19]
	scratch_store_b64 off, v[13:14], off offset:360
.LBB120_1004:
	s_or_b32 exec_lo, exec_lo, s0
	scratch_load_b64 v[13:14], off, off offset:368
	s_mov_b32 s0, exec_lo
	s_waitcnt vmcnt(0)
	ds_store_b64 v15, v[13:14]
	s_waitcnt lgkmcnt(0)
	s_waitcnt_vscnt null, 0x0
	s_barrier
	buffer_gl0_inv
	v_cmpx_gt_u32_e32 46, v0
	s_cbranch_execz .LBB120_1014
; %bb.1005:
	v_cmp_ne_u32_e32 vcc_lo, 1, v17
	s_cbranch_vccnz .LBB120_1007
; %bb.1006:
	scratch_load_b64 v[13:14], v16, off
	ds_load_b64 v[18:19], v15
	s_waitcnt vmcnt(0) lgkmcnt(0)
	v_mul_f64 v[13:14], v[13:14], v[18:19]
	s_cbranch_execz .LBB120_1008
	s_branch .LBB120_1009
.LBB120_1007:
                                        ; implicit-def: $vgpr13_vgpr14
.LBB120_1008:
	ds_load_b64 v[13:14], v15
.LBB120_1009:
	s_mov_b32 s1, exec_lo
	v_cmpx_ne_u32_e32 45, v0
	s_cbranch_execz .LBB120_1013
; %bb.1010:
	v_add_nc_u32_e32 v18, 0x1d8, v139
	v_add3_u32 v19, 0, v139, 8
	v_mov_b32_e32 v20, v0
	s_mov_b32 s2, 0
.LBB120_1011:                           ; =>This Inner Loop Header: Depth=1
	scratch_load_b64 v[21:22], v19, off
	ds_load_b64 v[23:24], v18
	v_add_nc_u32_e32 v20, 1, v20
	v_add_nc_u32_e32 v18, 8, v18
	v_add_nc_u32_e32 v19, 8, v19
	s_delay_alu instid0(VALU_DEP_3)
	v_cmp_lt_u32_e32 vcc_lo, 44, v20
	s_or_b32 s2, vcc_lo, s2
	s_waitcnt vmcnt(0) lgkmcnt(0)
	v_fma_f64 v[13:14], v[21:22], v[23:24], v[13:14]
	s_and_not1_b32 exec_lo, exec_lo, s2
	s_cbranch_execnz .LBB120_1011
; %bb.1012:
	s_or_b32 exec_lo, exec_lo, s2
.LBB120_1013:
	s_delay_alu instid0(SALU_CYCLE_1)
	s_or_b32 exec_lo, exec_lo, s1
	v_mov_b32_e32 v18, 0
	ds_load_b64 v[18:19], v18 offset:368
	s_waitcnt lgkmcnt(0)
	v_mul_f64 v[13:14], v[13:14], v[18:19]
	scratch_store_b64 off, v[13:14], off offset:368
.LBB120_1014:
	;; [unrolled: 58-line block ×10, first 2 shown]
	s_or_b32 exec_lo, exec_lo, s0
	scratch_load_b64 v[13:14], off, off offset:440
	v_cmp_gt_u32_e64 s0, 55, v0
	s_waitcnt vmcnt(0)
	ds_store_b64 v15, v[13:14]
	s_waitcnt lgkmcnt(0)
	s_waitcnt_vscnt null, 0x0
	s_barrier
	buffer_gl0_inv
	s_and_saveexec_b32 s1, s0
	s_cbranch_execz .LBB120_1104
; %bb.1095:
	v_cmp_ne_u32_e32 vcc_lo, 1, v17
	s_cbranch_vccnz .LBB120_1097
; %bb.1096:
	scratch_load_b64 v[13:14], v16, off
	ds_load_b64 v[18:19], v15
	s_waitcnt vmcnt(0) lgkmcnt(0)
	v_mul_f64 v[13:14], v[13:14], v[18:19]
	s_cbranch_execz .LBB120_1098
	s_branch .LBB120_1099
.LBB120_1097:
                                        ; implicit-def: $vgpr13_vgpr14
.LBB120_1098:
	ds_load_b64 v[13:14], v15
.LBB120_1099:
	s_mov_b32 s2, exec_lo
	v_cmpx_ne_u32_e32 54, v0
	s_cbranch_execz .LBB120_1103
; %bb.1100:
	v_add_nc_u32_e32 v18, 0x1d8, v139
	v_add3_u32 v19, 0, v139, 8
	v_mov_b32_e32 v20, v0
	s_mov_b32 s3, 0
.LBB120_1101:                           ; =>This Inner Loop Header: Depth=1
	scratch_load_b64 v[21:22], v19, off
	ds_load_b64 v[23:24], v18
	v_add_nc_u32_e32 v20, 1, v20
	v_add_nc_u32_e32 v18, 8, v18
	v_add_nc_u32_e32 v19, 8, v19
	s_delay_alu instid0(VALU_DEP_3)
	v_cmp_lt_u32_e32 vcc_lo, 53, v20
	s_or_b32 s3, vcc_lo, s3
	s_waitcnt vmcnt(0) lgkmcnt(0)
	v_fma_f64 v[13:14], v[21:22], v[23:24], v[13:14]
	s_and_not1_b32 exec_lo, exec_lo, s3
	s_cbranch_execnz .LBB120_1101
; %bb.1102:
	s_or_b32 exec_lo, exec_lo, s3
.LBB120_1103:
	s_delay_alu instid0(SALU_CYCLE_1)
	s_or_b32 exec_lo, exec_lo, s2
	v_mov_b32_e32 v18, 0
	ds_load_b64 v[18:19], v18 offset:440
	s_waitcnt lgkmcnt(0)
	v_mul_f64 v[13:14], v[13:14], v[18:19]
	scratch_store_b64 off, v[13:14], off offset:440
.LBB120_1104:
	s_or_b32 exec_lo, exec_lo, s1
	scratch_load_b64 v[13:14], off, off offset:448
	s_mov_b32 s1, exec_lo
	s_waitcnt vmcnt(0)
	ds_store_b64 v15, v[13:14]
	s_waitcnt lgkmcnt(0)
	s_waitcnt_vscnt null, 0x0
	s_barrier
	buffer_gl0_inv
	v_cmpx_ne_u32_e32 56, v0
	s_cbranch_execz .LBB120_1114
; %bb.1105:
	v_cmp_ne_u32_e32 vcc_lo, 1, v17
	s_cbranch_vccnz .LBB120_1107
; %bb.1106:
	scratch_load_b64 v[13:14], v16, off
	ds_load_b64 v[16:17], v15
	s_waitcnt vmcnt(0) lgkmcnt(0)
	v_mul_f64 v[13:14], v[13:14], v[16:17]
	s_cbranch_execz .LBB120_1108
	s_branch .LBB120_1109
.LBB120_1107:
                                        ; implicit-def: $vgpr13_vgpr14
.LBB120_1108:
	ds_load_b64 v[13:14], v15
.LBB120_1109:
	s_and_saveexec_b32 s2, s0
	s_cbranch_execz .LBB120_1113
; %bb.1110:
	v_add_nc_u32_e32 v15, 0x1d8, v139
	v_add3_u32 v16, 0, v139, 8
	s_mov_b32 s0, 0
.LBB120_1111:                           ; =>This Inner Loop Header: Depth=1
	scratch_load_b64 v[17:18], v16, off
	ds_load_b64 v[19:20], v15
	v_add_nc_u32_e32 v0, 1, v0
	v_add_nc_u32_e32 v15, 8, v15
	;; [unrolled: 1-line block ×3, first 2 shown]
	s_delay_alu instid0(VALU_DEP_3)
	v_cmp_lt_u32_e32 vcc_lo, 54, v0
	s_or_b32 s0, vcc_lo, s0
	s_waitcnt vmcnt(0) lgkmcnt(0)
	v_fma_f64 v[13:14], v[17:18], v[19:20], v[13:14]
	s_and_not1_b32 exec_lo, exec_lo, s0
	s_cbranch_execnz .LBB120_1111
; %bb.1112:
	s_or_b32 exec_lo, exec_lo, s0
.LBB120_1113:
	s_delay_alu instid0(SALU_CYCLE_1)
	s_or_b32 exec_lo, exec_lo, s2
	v_mov_b32_e32 v0, 0
	ds_load_b64 v[15:16], v0 offset:448
	s_waitcnt lgkmcnt(0)
	v_mul_f64 v[13:14], v[13:14], v[15:16]
	scratch_store_b64 off, v[13:14], off offset:448
.LBB120_1114:
	s_or_b32 exec_lo, exec_lo, s1
.LBB120_1115:
	s_clause 0xd
	scratch_load_b128 v[13:16], off, off
	scratch_load_b128 v[17:20], off, off offset:16
	scratch_load_b128 v[21:24], off, off offset:32
	;; [unrolled: 1-line block ×13, first 2 shown]
	s_waitcnt vmcnt(13)
	s_clause 0x1
	global_store_b64 v[55:56], v[13:14], off
	global_store_b64 v[51:52], v[15:16], off
	s_waitcnt vmcnt(12)
	s_clause 0x1
	global_store_b64 v[45:46], v[17:18], off
	global_store_b64 v[39:40], v[19:20], off
	scratch_load_b128 v[17:20], off, off offset:240
	s_waitcnt vmcnt(12)
	s_clause 0x1
	global_store_b64 v[37:38], v[21:22], off
	global_store_b64 v[41:42], v[23:24], off
	s_waitcnt vmcnt(11)
	s_clause 0x1
	global_store_b64 v[43:44], v[25:26], off
	global_store_b64 v[47:48], v[27:28], off
	;; [unrolled: 4-line block ×6, first 2 shown]
	s_clause 0xd
	scratch_load_b128 v[13:16], off, off offset:208
	scratch_load_b128 v[37:40], off, off offset:256
	;; [unrolled: 1-line block ×13, first 2 shown]
	scratch_load_b64 v[63:64], off, off offset:448
	s_waitcnt vmcnt(20)
	s_clause 0x1
	global_store_b64 v[57:58], v[147:148], off
	global_store_b64 v[59:60], v[149:150], off
	s_waitcnt vmcnt(19)
	s_clause 0x1
	global_store_b64 v[61:62], v[151:152], off
	global_store_b64 v[65:66], v[153:154], off
	;; [unrolled: 4-line block ×6, first 2 shown]
	global_store_b64 v[93:94], v[167:168], off
	global_store_b64 v[95:96], v[169:170], off
	;; [unrolled: 1-line block ×4, first 2 shown]
	s_waitcnt vmcnt(12)
	s_clause 0x1
	global_store_b64 v[101:102], v[37:38], off
	global_store_b64 v[103:104], v[39:40], off
	s_waitcnt vmcnt(11)
	s_clause 0x1
	global_store_b64 v[105:106], v[21:22], off
	global_store_b64 v[107:108], v[23:24], off
	;; [unrolled: 4-line block ×12, first 2 shown]
	s_waitcnt vmcnt(0)
	global_store_b64 v[137:138], v[63:64], off
.LBB120_1116:
	s_endpgm
	.section	.rodata,"a",@progbits
	.p2align	6, 0x0
	.amdhsa_kernel _ZN9rocsolver6v33100L18trti2_kernel_smallILi57EdPKPdEEv13rocblas_fill_17rocblas_diagonal_T1_iil
		.amdhsa_group_segment_fixed_size 920
		.amdhsa_private_segment_fixed_size 464
		.amdhsa_kernarg_size 32
		.amdhsa_user_sgpr_count 15
		.amdhsa_user_sgpr_dispatch_ptr 0
		.amdhsa_user_sgpr_queue_ptr 0
		.amdhsa_user_sgpr_kernarg_segment_ptr 1
		.amdhsa_user_sgpr_dispatch_id 0
		.amdhsa_user_sgpr_private_segment_size 0
		.amdhsa_wavefront_size32 1
		.amdhsa_uses_dynamic_stack 0
		.amdhsa_enable_private_segment 1
		.amdhsa_system_sgpr_workgroup_id_x 1
		.amdhsa_system_sgpr_workgroup_id_y 0
		.amdhsa_system_sgpr_workgroup_id_z 0
		.amdhsa_system_sgpr_workgroup_info 0
		.amdhsa_system_vgpr_workitem_id 0
		.amdhsa_next_free_vgpr 171
		.amdhsa_next_free_sgpr 26
		.amdhsa_reserve_vcc 1
		.amdhsa_float_round_mode_32 0
		.amdhsa_float_round_mode_16_64 0
		.amdhsa_float_denorm_mode_32 3
		.amdhsa_float_denorm_mode_16_64 3
		.amdhsa_dx10_clamp 1
		.amdhsa_ieee_mode 1
		.amdhsa_fp16_overflow 0
		.amdhsa_workgroup_processor_mode 1
		.amdhsa_memory_ordered 1
		.amdhsa_forward_progress 0
		.amdhsa_shared_vgpr_count 0
		.amdhsa_exception_fp_ieee_invalid_op 0
		.amdhsa_exception_fp_denorm_src 0
		.amdhsa_exception_fp_ieee_div_zero 0
		.amdhsa_exception_fp_ieee_overflow 0
		.amdhsa_exception_fp_ieee_underflow 0
		.amdhsa_exception_fp_ieee_inexact 0
		.amdhsa_exception_int_div_zero 0
	.end_amdhsa_kernel
	.section	.text._ZN9rocsolver6v33100L18trti2_kernel_smallILi57EdPKPdEEv13rocblas_fill_17rocblas_diagonal_T1_iil,"axG",@progbits,_ZN9rocsolver6v33100L18trti2_kernel_smallILi57EdPKPdEEv13rocblas_fill_17rocblas_diagonal_T1_iil,comdat
.Lfunc_end120:
	.size	_ZN9rocsolver6v33100L18trti2_kernel_smallILi57EdPKPdEEv13rocblas_fill_17rocblas_diagonal_T1_iil, .Lfunc_end120-_ZN9rocsolver6v33100L18trti2_kernel_smallILi57EdPKPdEEv13rocblas_fill_17rocblas_diagonal_T1_iil
                                        ; -- End function
	.section	.AMDGPU.csdata,"",@progbits
; Kernel info:
; codeLenInByte = 31220
; NumSgprs: 28
; NumVgprs: 171
; ScratchSize: 464
; MemoryBound: 0
; FloatMode: 240
; IeeeMode: 1
; LDSByteSize: 920 bytes/workgroup (compile time only)
; SGPRBlocks: 3
; VGPRBlocks: 21
; NumSGPRsForWavesPerEU: 28
; NumVGPRsForWavesPerEU: 171
; Occupancy: 8
; WaveLimiterHint : 1
; COMPUTE_PGM_RSRC2:SCRATCH_EN: 1
; COMPUTE_PGM_RSRC2:USER_SGPR: 15
; COMPUTE_PGM_RSRC2:TRAP_HANDLER: 0
; COMPUTE_PGM_RSRC2:TGID_X_EN: 1
; COMPUTE_PGM_RSRC2:TGID_Y_EN: 0
; COMPUTE_PGM_RSRC2:TGID_Z_EN: 0
; COMPUTE_PGM_RSRC2:TIDIG_COMP_CNT: 0
	.section	.text._ZN9rocsolver6v33100L18trti2_kernel_smallILi58EdPKPdEEv13rocblas_fill_17rocblas_diagonal_T1_iil,"axG",@progbits,_ZN9rocsolver6v33100L18trti2_kernel_smallILi58EdPKPdEEv13rocblas_fill_17rocblas_diagonal_T1_iil,comdat
	.globl	_ZN9rocsolver6v33100L18trti2_kernel_smallILi58EdPKPdEEv13rocblas_fill_17rocblas_diagonal_T1_iil ; -- Begin function _ZN9rocsolver6v33100L18trti2_kernel_smallILi58EdPKPdEEv13rocblas_fill_17rocblas_diagonal_T1_iil
	.p2align	8
	.type	_ZN9rocsolver6v33100L18trti2_kernel_smallILi58EdPKPdEEv13rocblas_fill_17rocblas_diagonal_T1_iil,@function
_ZN9rocsolver6v33100L18trti2_kernel_smallILi58EdPKPdEEv13rocblas_fill_17rocblas_diagonal_T1_iil: ; @_ZN9rocsolver6v33100L18trti2_kernel_smallILi58EdPKPdEEv13rocblas_fill_17rocblas_diagonal_T1_iil
; %bb.0:
	s_mov_b32 s2, exec_lo
	v_cmpx_gt_u32_e32 58, v0
	s_cbranch_execz .LBB121_1136
; %bb.1:
	s_clause 0x1
	s_load_b64 s[4:5], s[0:1], 0x10
	s_load_b128 s[0:3], s[0:1], 0x0
	s_mov_b32 s6, s15
	s_ashr_i32 s7, s15, 31
	v_lshlrev_b32_e32 v119, 3, v0
	s_lshl_b64 s[8:9], s[6:7], 3
	s_waitcnt lgkmcnt(0)
	s_ashr_i32 s7, s4, 31
	s_add_u32 s2, s2, s8
	s_addc_u32 s3, s3, s9
	v_add3_u32 v1, s5, s5, v0
	s_load_b64 s[2:3], s[2:3], 0x0
	s_mov_b32 s6, s4
	s_mov_b32 s8, s5
	s_lshl_b64 s[6:7], s[6:7], 3
	v_add_nc_u32_e32 v3, s5, v1
	v_ashrrev_i32_e32 v2, 31, v1
	s_delay_alu instid0(VALU_DEP_2) | instskip(SKIP_1) | instid1(VALU_DEP_3)
	v_add_nc_u32_e32 v5, s5, v3
	v_ashrrev_i32_e32 v4, 31, v3
	v_lshlrev_b64 v[1:2], 3, v[1:2]
	s_delay_alu instid0(VALU_DEP_3) | instskip(NEXT) | instid1(VALU_DEP_3)
	v_add_nc_u32_e32 v7, s5, v5
	v_lshlrev_b64 v[3:4], 3, v[3:4]
	v_ashrrev_i32_e32 v6, 31, v5
	s_delay_alu instid0(VALU_DEP_3)
	v_add_nc_u32_e32 v9, s5, v7
	s_waitcnt lgkmcnt(0)
	s_add_u32 s2, s2, s6
	s_addc_u32 s3, s3, s7
	v_add_co_u32 v31, s4, s2, v119
	s_ashr_i32 s9, s5, 31
	v_add_co_ci_u32_e64 v32, null, s3, 0, s4
	s_lshl_b64 s[6:7], s[8:9], 3
	v_ashrrev_i32_e32 v8, 31, v7
	v_add_co_u32 v33, vcc_lo, v31, s6
	s_delay_alu instid0(VALU_DEP_3) | instskip(SKIP_1) | instid1(VALU_DEP_4)
	v_add_co_ci_u32_e32 v34, vcc_lo, s7, v32, vcc_lo
	v_add_nc_u32_e32 v11, s5, v9
	v_lshlrev_b64 v[7:8], 3, v[7:8]
	v_add_co_u32 v35, vcc_lo, s2, v1
	v_add_co_ci_u32_e32 v36, vcc_lo, s3, v2, vcc_lo
	v_lshlrev_b64 v[5:6], 3, v[5:6]
	v_ashrrev_i32_e32 v10, 31, v9
	v_add_co_u32 v37, vcc_lo, s2, v3
	v_add_nc_u32_e32 v1, s5, v11
	v_add_co_ci_u32_e32 v38, vcc_lo, s3, v4, vcc_lo
	v_add_co_u32 v21, vcc_lo, s2, v7
	v_ashrrev_i32_e32 v12, 31, v11
	v_add_co_ci_u32_e32 v22, vcc_lo, s3, v8, vcc_lo
	v_lshlrev_b64 v[3:4], 3, v[9:10]
	v_add_co_u32 v23, vcc_lo, s2, v5
	v_add_nc_u32_e32 v5, s5, v1
	s_clause 0x1
	global_load_b64 v[47:48], v119, s[2:3]
	global_load_b64 v[49:50], v[33:34], off
	v_add_co_ci_u32_e32 v24, vcc_lo, s3, v6, vcc_lo
	v_lshlrev_b64 v[7:8], 3, v[11:12]
	v_ashrrev_i32_e32 v2, 31, v1
	v_add_co_u32 v17, vcc_lo, s2, v3
	v_add_nc_u32_e32 v3, s5, v5
	v_add_co_ci_u32_e32 v18, vcc_lo, s3, v4, vcc_lo
	s_delay_alu instid0(VALU_DEP_4) | instskip(SKIP_4) | instid1(VALU_DEP_4)
	v_lshlrev_b64 v[1:2], 3, v[1:2]
	v_ashrrev_i32_e32 v6, 31, v5
	v_add_co_u32 v25, vcc_lo, s2, v7
	v_add_nc_u32_e32 v7, s5, v3
	v_add_co_ci_u32_e32 v26, vcc_lo, s3, v8, vcc_lo
	v_lshlrev_b64 v[5:6], 3, v[5:6]
	s_clause 0x3
	global_load_b64 v[57:58], v[21:22], off
	global_load_b64 v[59:60], v[35:36], off
	;; [unrolled: 1-line block ×4, first 2 shown]
	v_add_co_u32 v11, vcc_lo, s2, v1
	v_add_nc_u32_e32 v1, s5, v7
	v_ashrrev_i32_e32 v4, 31, v3
	v_add_co_ci_u32_e32 v12, vcc_lo, s3, v2, vcc_lo
	v_ashrrev_i32_e32 v8, 31, v7
	v_add_co_u32 v13, vcc_lo, s2, v5
	v_add_nc_u32_e32 v5, s5, v1
	v_lshlrev_b64 v[3:4], 3, v[3:4]
	v_add_co_ci_u32_e32 v14, vcc_lo, s3, v6, vcc_lo
	v_ashrrev_i32_e32 v2, 31, v1
	s_clause 0x3
	global_load_b64 v[63:64], v[17:18], off
	global_load_b64 v[65:66], v[25:26], off
	;; [unrolled: 1-line block ×4, first 2 shown]
	v_lshlrev_b64 v[7:8], 3, v[7:8]
	v_ashrrev_i32_e32 v6, 31, v5
	v_add_co_u32 v9, vcc_lo, s2, v3
	v_add_nc_u32_e32 v15, s5, v5
	v_lshlrev_b64 v[1:2], 3, v[1:2]
	v_add_co_ci_u32_e32 v10, vcc_lo, s3, v4, vcc_lo
	v_add_co_u32 v19, vcc_lo, s2, v7
	v_lshlrev_b64 v[3:4], 3, v[5:6]
	v_add_co_ci_u32_e32 v20, vcc_lo, s3, v8, vcc_lo
	v_add_nc_u32_e32 v7, s5, v15
	v_add_co_u32 v1, vcc_lo, s2, v1
	v_ashrrev_i32_e32 v16, 31, v15
	v_add_co_ci_u32_e32 v2, vcc_lo, s3, v2, vcc_lo
	v_add_co_u32 v3, vcc_lo, s2, v3
	v_ashrrev_i32_e32 v8, 31, v7
	v_add_co_ci_u32_e32 v4, vcc_lo, s3, v4, vcc_lo
	v_lshlrev_b64 v[5:6], 3, v[15:16]
	s_clause 0x3
	global_load_b64 v[71:72], v[9:10], off
	global_load_b64 v[73:74], v[19:20], off
	global_load_b64 v[75:76], v[1:2], off
	global_load_b64 v[77:78], v[3:4], off
	v_add_nc_u32_e32 v27, s5, v7
	v_lshlrev_b64 v[7:8], 3, v[7:8]
	s_cmpk_lg_i32 s1, 0x84
	v_add_co_u32 v5, vcc_lo, s2, v5
	v_add_co_ci_u32_e32 v6, vcc_lo, s3, v6, vcc_lo
	s_delay_alu instid0(VALU_DEP_3) | instskip(NEXT) | instid1(VALU_DEP_4)
	v_add_co_u32 v7, vcc_lo, s2, v7
	v_add_co_ci_u32_e32 v8, vcc_lo, s3, v8, vcc_lo
	s_clause 0x1
	global_load_b64 v[79:80], v[5:6], off
	global_load_b64 v[81:82], v[7:8], off
	v_add_nc_u32_e32 v29, s5, v27
	v_ashrrev_i32_e32 v28, 31, v27
	s_delay_alu instid0(VALU_DEP_2) | instskip(SKIP_1) | instid1(VALU_DEP_3)
	v_add_nc_u32_e32 v39, s5, v29
	v_ashrrev_i32_e32 v30, 31, v29
	v_lshlrev_b64 v[27:28], 3, v[27:28]
	s_delay_alu instid0(VALU_DEP_3) | instskip(SKIP_1) | instid1(VALU_DEP_4)
	v_add_nc_u32_e32 v41, s5, v39
	v_ashrrev_i32_e32 v40, 31, v39
	v_lshlrev_b64 v[29:30], 3, v[29:30]
	s_delay_alu instid0(VALU_DEP_4) | instskip(NEXT) | instid1(VALU_DEP_4)
	v_add_co_u32 v27, vcc_lo, s2, v27
	v_add_nc_u32_e32 v15, s5, v41
	v_ashrrev_i32_e32 v42, 31, v41
	v_lshlrev_b64 v[85:86], 3, v[39:40]
	v_add_co_ci_u32_e32 v28, vcc_lo, s3, v28, vcc_lo
	s_delay_alu instid0(VALU_DEP_4) | instskip(SKIP_3) | instid1(VALU_DEP_4)
	v_add_nc_u32_e32 v43, s5, v15
	v_ashrrev_i32_e32 v16, 31, v15
	v_add_co_u32 v39, vcc_lo, s2, v29
	v_lshlrev_b64 v[41:42], 3, v[41:42]
	v_add_nc_u32_e32 v45, s5, v43
	v_add_co_ci_u32_e32 v40, vcc_lo, s3, v30, vcc_lo
	v_add_co_u32 v29, vcc_lo, s2, v85
	s_delay_alu instid0(VALU_DEP_3) | instskip(SKIP_3) | instid1(VALU_DEP_4)
	v_add_nc_u32_e32 v51, s5, v45
	v_lshlrev_b64 v[15:16], 3, v[15:16]
	v_ashrrev_i32_e32 v44, 31, v43
	v_add_co_ci_u32_e32 v30, vcc_lo, s3, v86, vcc_lo
	v_add_nc_u32_e32 v53, s5, v51
	v_add_co_u32 v41, vcc_lo, s2, v41
	v_ashrrev_i32_e32 v46, 31, v45
	v_add_co_ci_u32_e32 v42, vcc_lo, s3, v42, vcc_lo
	s_delay_alu instid0(VALU_DEP_4) | instskip(SKIP_3) | instid1(VALU_DEP_4)
	v_add_nc_u32_e32 v95, s5, v53
	v_lshlrev_b64 v[89:90], 3, v[43:44]
	v_add_co_u32 v43, vcc_lo, s2, v15
	v_ashrrev_i32_e32 v52, 31, v51
	v_add_nc_u32_e32 v97, s5, v95
	v_add_co_ci_u32_e32 v44, vcc_lo, s3, v16, vcc_lo
	s_clause 0x1
	global_load_b64 v[83:84], v[27:28], off
	global_load_b64 v[85:86], v[39:40], off
	v_add_nc_u32_e32 v103, s5, v97
	v_lshlrev_b64 v[98:99], 3, v[45:46]
	v_ashrrev_i32_e32 v54, 31, v53
	v_ashrrev_i32_e32 v96, 31, v95
	s_delay_alu instid0(VALU_DEP_4) | instskip(SKIP_1) | instid1(VALU_DEP_2)
	v_add_nc_u32_e32 v105, s5, v103
	v_ashrrev_i32_e32 v104, 31, v103
	v_add_nc_u32_e32 v107, s5, v105
	v_ashrrev_i32_e32 v106, 31, v105
	s_delay_alu instid0(VALU_DEP_2) | instskip(NEXT) | instid1(VALU_DEP_1)
	v_add_nc_u32_e32 v111, s5, v107
	v_add_nc_u32_e32 v113, s5, v111
	v_ashrrev_i32_e32 v112, 31, v111
	s_delay_alu instid0(VALU_DEP_2) | instskip(SKIP_1) | instid1(VALU_DEP_2)
	v_add_nc_u32_e32 v115, s5, v113
	v_ashrrev_i32_e32 v114, 31, v113
	v_add_nc_u32_e32 v117, s5, v115
	v_ashrrev_i32_e32 v116, 31, v115
	s_delay_alu instid0(VALU_DEP_2) | instskip(SKIP_1) | instid1(VALU_DEP_2)
	v_add_nc_u32_e32 v120, s5, v117
	v_ashrrev_i32_e32 v118, 31, v117
	;; [unrolled: 5-line block ×13, first 2 shown]
	v_add_nc_u32_e32 v87, s5, v168
	v_ashrrev_i32_e32 v169, 31, v168
	s_delay_alu instid0(VALU_DEP_2) | instskip(NEXT) | instid1(VALU_DEP_1)
	v_ashrrev_i32_e32 v88, 31, v87
	v_lshlrev_b64 v[87:88], 3, v[87:88]
	s_delay_alu instid0(VALU_DEP_1) | instskip(NEXT) | instid1(VALU_DEP_2)
	v_add_co_u32 v15, vcc_lo, s2, v87
	v_add_co_ci_u32_e32 v16, vcc_lo, s3, v88, vcc_lo
	v_add_co_u32 v45, vcc_lo, s2, v89
	v_add_co_ci_u32_e32 v46, vcc_lo, s3, v90, vcc_lo
	global_load_b64 v[122:123], v[15:16], off
	s_waitcnt vmcnt(17)
	scratch_store_b128 off, v[47:50], off
	v_lshlrev_b64 v[49:50], 3, v[51:52]
	v_add_co_u32 v47, vcc_lo, s2, v98
	v_lshlrev_b64 v[51:52], 3, v[53:54]
	v_ashrrev_i32_e32 v98, 31, v97
	v_add_co_ci_u32_e32 v48, vcc_lo, s3, v99, vcc_lo
	s_clause 0x3
	global_load_b64 v[87:88], v[29:30], off
	global_load_b64 v[89:90], v[41:42], off
	;; [unrolled: 1-line block ×4, first 2 shown]
	v_add_co_u32 v49, vcc_lo, s2, v49
	v_lshlrev_b64 v[53:54], 3, v[95:96]
	v_add_co_ci_u32_e32 v50, vcc_lo, s3, v50, vcc_lo
	v_add_co_u32 v51, vcc_lo, s2, v51
	v_lshlrev_b64 v[108:109], 3, v[97:98]
	v_add_co_ci_u32_e32 v52, vcc_lo, s3, v52, vcc_lo
	v_add_co_u32 v53, vcc_lo, s2, v53
	v_add_co_ci_u32_e32 v54, vcc_lo, s3, v54, vcc_lo
	s_waitcnt vmcnt(18)
	scratch_store_b128 off, v[59:62], off offset:16
	s_waitcnt vmcnt(17)
	scratch_store_b128 off, v[55:58], off offset:32
	v_lshlrev_b64 v[57:58], 3, v[103:104]
	v_add_co_u32 v55, vcc_lo, s2, v108
	v_ashrrev_i32_e32 v108, 31, v107
	v_lshlrev_b64 v[59:60], 3, v[105:106]
	s_clause 0x3
	global_load_b64 v[95:96], v[47:48], off
	global_load_b64 v[97:98], v[49:50], off
	;; [unrolled: 1-line block ×4, first 2 shown]
	v_add_co_ci_u32_e32 v56, vcc_lo, s3, v109, vcc_lo
	v_add_co_u32 v57, vcc_lo, s2, v57
	v_lshlrev_b64 v[61:62], 3, v[107:108]
	v_add_co_ci_u32_e32 v58, vcc_lo, s3, v58, vcc_lo
	v_add_co_u32 v59, vcc_lo, s2, v59
	s_waitcnt vmcnt(19)
	scratch_store_b128 off, v[63:66], off offset:48
	s_waitcnt vmcnt(17)
	scratch_store_b128 off, v[67:70], off offset:64
	v_lshlrev_b64 v[63:64], 3, v[111:112]
	v_add_co_ci_u32_e32 v60, vcc_lo, s3, v60, vcc_lo
	v_add_co_u32 v61, vcc_lo, s2, v61
	v_lshlrev_b64 v[65:66], 3, v[113:114]
	v_add_co_ci_u32_e32 v62, vcc_lo, s3, v62, vcc_lo
	v_add_co_u32 v63, vcc_lo, s2, v63
	v_lshlrev_b64 v[67:68], 3, v[115:116]
	s_clause 0x3
	global_load_b64 v[103:104], v[55:56], off
	global_load_b64 v[105:106], v[57:58], off
	;; [unrolled: 1-line block ×4, first 2 shown]
	v_add_co_ci_u32_e32 v64, vcc_lo, s3, v64, vcc_lo
	v_add_co_u32 v65, vcc_lo, s2, v65
	v_lshlrev_b64 v[69:70], 3, v[117:118]
	v_add_co_ci_u32_e32 v66, vcc_lo, s3, v66, vcc_lo
	v_add_co_u32 v67, vcc_lo, s2, v67
	v_add_co_ci_u32_e32 v68, vcc_lo, s3, v68, vcc_lo
	s_delay_alu instid0(VALU_DEP_4)
	v_add_co_u32 v69, vcc_lo, s2, v69
	s_waitcnt vmcnt(19)
	scratch_store_b128 off, v[71:74], off offset:80
	s_waitcnt vmcnt(17)
	scratch_store_b128 off, v[75:78], off offset:96
	v_lshlrev_b64 v[71:72], 3, v[120:121]
	v_add_co_ci_u32_e32 v70, vcc_lo, s3, v70, vcc_lo
	s_clause 0x3
	global_load_b64 v[111:112], v[63:64], off
	global_load_b64 v[113:114], v[65:66], off
	;; [unrolled: 1-line block ×4, first 2 shown]
	v_lshlrev_b64 v[73:74], 3, v[124:125]
	v_lshlrev_b64 v[75:76], 3, v[128:129]
	v_add_co_u32 v71, vcc_lo, s2, v71
	v_add_co_ci_u32_e32 v72, vcc_lo, s3, v72, vcc_lo
	s_delay_alu instid0(VALU_DEP_4)
	v_add_co_u32 v73, vcc_lo, s2, v73
	v_add_co_ci_u32_e32 v74, vcc_lo, s3, v74, vcc_lo
	s_waitcnt vmcnt(19)
	scratch_store_b128 off, v[79:82], off offset:112
	s_clause 0x1
	global_load_b64 v[124:125], v[71:72], off
	global_load_b64 v[126:127], v[73:74], off
	v_lshlrev_b64 v[77:78], 3, v[130:131]
	v_add_co_u32 v75, vcc_lo, s2, v75
	v_lshlrev_b64 v[79:80], 3, v[132:133]
	v_add_co_ci_u32_e32 v76, vcc_lo, s3, v76, vcc_lo
	s_delay_alu instid0(VALU_DEP_4) | instskip(SKIP_4) | instid1(VALU_DEP_4)
	v_add_co_u32 v77, vcc_lo, s2, v77
	v_lshlrev_b64 v[81:82], 3, v[134:135]
	v_add_co_ci_u32_e32 v78, vcc_lo, s3, v78, vcc_lo
	v_add_co_u32 v79, vcc_lo, s2, v79
	v_add_co_ci_u32_e32 v80, vcc_lo, s3, v80, vcc_lo
	v_add_co_u32 v81, vcc_lo, s2, v81
	v_add_co_ci_u32_e32 v82, vcc_lo, s3, v82, vcc_lo
	v_lshlrev_b64 v[120:121], 3, v[140:141]
	global_load_b64 v[128:129], v[75:76], off
	s_waitcnt vmcnt(20)
	scratch_store_b128 off, v[83:86], off offset:128
	v_lshlrev_b64 v[83:84], 3, v[136:137]
	v_lshlrev_b64 v[85:86], 3, v[138:139]
	s_waitcnt vmcnt(17)
	scratch_store_b128 off, v[87:90], off offset:144
	s_waitcnt vmcnt(15)
	scratch_store_b128 off, v[91:94], off offset:160
	v_add_co_u32 v83, vcc_lo, s2, v83
	v_add_co_ci_u32_e32 v84, vcc_lo, s3, v84, vcc_lo
	v_add_co_u32 v85, vcc_lo, s2, v85
	v_lshlrev_b64 v[89:90], 3, v[142:143]
	v_add_co_ci_u32_e32 v86, vcc_lo, s3, v86, vcc_lo
	v_add_co_u32 v87, vcc_lo, s2, v120
	v_lshlrev_b64 v[91:92], 3, v[144:145]
	;; [unrolled: 3-line block ×4, first 2 shown]
	v_add_co_ci_u32_e32 v92, vcc_lo, s3, v92, vcc_lo
	s_clause 0x3
	global_load_b64 v[130:131], v[77:78], off
	global_load_b64 v[132:133], v[79:80], off
	global_load_b64 v[134:135], v[81:82], off
	global_load_b64 v[136:137], v[83:84], off
	s_waitcnt vmcnt(17)
	scratch_store_b128 off, v[95:98], off offset:176
	s_waitcnt vmcnt(15)
	scratch_store_b128 off, v[99:102], off offset:192
	v_add_co_u32 v93, vcc_lo, s2, v93
	v_lshlrev_b64 v[97:98], 3, v[150:151]
	v_add_co_ci_u32_e32 v94, vcc_lo, s3, v94, vcc_lo
	v_add_co_u32 v95, vcc_lo, s2, v120
	v_lshlrev_b64 v[99:100], 3, v[152:153]
	v_add_co_ci_u32_e32 v96, vcc_lo, s3, v121, vcc_lo
	;; [unrolled: 3-line block ×4, first 2 shown]
	s_clause 0x3
	global_load_b64 v[138:139], v[85:86], off
	global_load_b64 v[140:141], v[87:88], off
	;; [unrolled: 1-line block ×4, first 2 shown]
	s_waitcnt vmcnt(17)
	scratch_store_b128 off, v[103:106], off offset:208
	s_waitcnt vmcnt(15)
	scratch_store_b128 off, v[107:110], off offset:224
	v_add_co_u32 v101, vcc_lo, s2, v101
	v_lshlrev_b64 v[105:106], 3, v[158:159]
	v_add_co_ci_u32_e32 v102, vcc_lo, s3, v102, vcc_lo
	v_add_co_u32 v103, vcc_lo, s2, v120
	v_lshlrev_b64 v[107:108], 3, v[160:161]
	v_add_co_ci_u32_e32 v104, vcc_lo, s3, v121, vcc_lo
	;; [unrolled: 3-line block ×4, first 2 shown]
	s_clause 0x3
	global_load_b64 v[146:147], v[93:94], off
	global_load_b64 v[148:149], v[95:96], off
	;; [unrolled: 1-line block ×4, first 2 shown]
	s_waitcnt vmcnt(17)
	scratch_store_b128 off, v[111:114], off offset:240
	s_waitcnt vmcnt(15)
	scratch_store_b128 off, v[115:118], off offset:256
	v_add_co_u32 v109, vcc_lo, s2, v109
	v_lshlrev_b64 v[111:112], 3, v[166:167]
	v_add_co_ci_u32_e32 v110, vcc_lo, s3, v110, vcc_lo
	v_add_co_u32 v113, vcc_lo, s2, v120
	v_lshlrev_b64 v[117:118], 3, v[168:169]
	v_add_co_ci_u32_e32 v114, vcc_lo, s3, v121, vcc_lo
	v_add_co_u32 v115, vcc_lo, s2, v111
	v_add_co_ci_u32_e32 v116, vcc_lo, s3, v112, vcc_lo
	s_delay_alu instid0(VALU_DEP_4)
	v_add_co_u32 v111, vcc_lo, s2, v117
	v_add_co_ci_u32_e32 v112, vcc_lo, s3, v118, vcc_lo
	v_mov_b32_e32 v117, 0
	s_clause 0x3
	global_load_b64 v[154:155], v[101:102], off
	global_load_b64 v[156:157], v[103:104], off
	;; [unrolled: 1-line block ×4, first 2 shown]
	s_waitcnt vmcnt(17)
	scratch_store_b128 off, v[124:127], off offset:272
	s_clause 0x3
	global_load_b64 v[162:163], v[109:110], off
	global_load_b64 v[124:125], v[113:114], off
	;; [unrolled: 1-line block ×4, first 2 shown]
	v_mov_b32_e32 v118, 0xbff00000
	s_cselect_b32 s2, -1, 0
	s_cmpk_eq_i32 s1, 0x84
	s_waitcnt vmcnt(19)
	scratch_store_b128 off, v[128:131], off offset:288
	s_waitcnt vmcnt(17)
	scratch_store_b128 off, v[132:135], off offset:304
	;; [unrolled: 2-line block ×11, first 2 shown]
	s_cbranch_scc1 .LBB121_3
; %bb.2:
	scratch_load_b64 v[117:118], v119, off
	s_waitcnt vmcnt(0)
	v_div_scale_f64 v[120:121], null, v[117:118], v[117:118], 1.0
	v_div_scale_f64 v[126:127], vcc_lo, 1.0, v[117:118], 1.0
	s_delay_alu instid0(VALU_DEP_2) | instskip(SKIP_2) | instid1(VALU_DEP_1)
	v_rcp_f64_e32 v[122:123], v[120:121]
	s_waitcnt_depctr 0xfff
	v_fma_f64 v[124:125], -v[120:121], v[122:123], 1.0
	v_fma_f64 v[122:123], v[122:123], v[124:125], v[122:123]
	s_delay_alu instid0(VALU_DEP_1) | instskip(NEXT) | instid1(VALU_DEP_1)
	v_fma_f64 v[124:125], -v[120:121], v[122:123], 1.0
	v_fma_f64 v[122:123], v[122:123], v[124:125], v[122:123]
	s_delay_alu instid0(VALU_DEP_1) | instskip(NEXT) | instid1(VALU_DEP_1)
	v_mul_f64 v[124:125], v[126:127], v[122:123]
	v_fma_f64 v[120:121], -v[120:121], v[124:125], v[126:127]
	s_delay_alu instid0(VALU_DEP_1) | instskip(NEXT) | instid1(VALU_DEP_1)
	v_div_fmas_f64 v[120:121], v[120:121], v[122:123], v[124:125]
	v_div_fixup_f64 v[117:118], v[120:121], v[117:118], 1.0
	scratch_store_b64 v119, v[117:118], off
	v_xor_b32_e32 v118, 0x80000000, v118
.LBB121_3:
	v_add_nc_u32_e32 v120, 0x1d0, v119
	v_add_nc_u32_e32 v121, 0, v119
	s_cmpk_eq_i32 s0, 0x79
	s_mov_b32 s0, -1
	ds_store_b64 v119, v[117:118]
	s_cbranch_scc1 .LBB121_569
; %bb.4:
	scratch_load_b64 v[117:118], off, off offset:448
	v_cmp_eq_u32_e64 s0, 57, v0
	s_movk_i32 s1, 0x50
	s_movk_i32 s3, 0x60
	;; [unrolled: 1-line block ×23, first 2 shown]
	s_waitcnt vmcnt(0)
	ds_store_b64 v120, v[117:118]
	s_waitcnt lgkmcnt(0)
	s_waitcnt_vscnt null, 0x0
	s_barrier
	buffer_gl0_inv
	s_and_saveexec_b32 s25, s0
	s_cbranch_execz .LBB121_10
; %bb.5:
	s_and_b32 vcc_lo, exec_lo, s2
	s_cbranch_vccz .LBB121_7
; %bb.6:
	scratch_load_b64 v[117:118], v121, off
	ds_load_b64 v[122:123], v120
	s_waitcnt vmcnt(0) lgkmcnt(0)
	v_mul_f64 v[117:118], v[117:118], v[122:123]
	s_cbranch_execz .LBB121_8
	s_branch .LBB121_9
.LBB121_7:
                                        ; implicit-def: $vgpr117_vgpr118
.LBB121_8:
	ds_load_b64 v[117:118], v120
.LBB121_9:
	v_mov_b32_e32 v122, 0
	ds_load_b64 v[122:123], v122 offset:448
	s_waitcnt lgkmcnt(0)
	v_mul_f64 v[117:118], v[117:118], v[122:123]
	scratch_store_b64 off, v[117:118], off offset:448
.LBB121_10:
	s_or_b32 exec_lo, exec_lo, s25
	scratch_load_b64 v[117:118], off, off offset:440
	v_add_nc_u32_e64 v122, 0, 16
	v_add_nc_u32_e64 v123, 0, 32
	;; [unrolled: 1-line block ×27, first 2 shown]
	v_cmp_lt_u32_e64 s1, 55, v0
	s_waitcnt vmcnt(0)
	ds_store_b64 v120, v[117:118]
	s_waitcnt lgkmcnt(0)
	s_waitcnt_vscnt null, 0x0
	s_barrier
	buffer_gl0_inv
	s_and_saveexec_b32 s3, s1
	s_cbranch_execz .LBB121_18
; %bb.11:
	s_and_not1_b32 vcc_lo, exec_lo, s2
	s_cbranch_vccnz .LBB121_13
; %bb.12:
	scratch_load_b64 v[117:118], v121, off
	ds_load_b64 v[149:150], v120
	s_waitcnt vmcnt(0) lgkmcnt(0)
	v_mul_f64 v[117:118], v[117:118], v[149:150]
	s_cbranch_execz .LBB121_14
	s_branch .LBB121_15
.LBB121_13:
                                        ; implicit-def: $vgpr117_vgpr118
.LBB121_14:
	ds_load_b64 v[117:118], v120
.LBB121_15:
	s_and_saveexec_b32 s4, s0
	s_cbranch_execz .LBB121_17
; %bb.16:
	scratch_load_b64 v[149:150], off, off offset:448
	v_mov_b32_e32 v151, 0
	ds_load_b64 v[151:152], v151 offset:912
	s_waitcnt vmcnt(0) lgkmcnt(0)
	v_fma_f64 v[117:118], v[149:150], v[151:152], v[117:118]
.LBB121_17:
	s_or_b32 exec_lo, exec_lo, s4
	v_mov_b32_e32 v149, 0
	ds_load_b64 v[149:150], v149 offset:440
	s_waitcnt lgkmcnt(0)
	v_mul_f64 v[117:118], v[117:118], v[149:150]
	scratch_store_b64 off, v[117:118], off offset:440
.LBB121_18:
	s_or_b32 exec_lo, exec_lo, s3
	scratch_load_b64 v[117:118], off, off offset:432
	v_cmp_lt_u32_e64 s0, 54, v0
	s_waitcnt vmcnt(0)
	ds_store_b64 v120, v[117:118]
	s_waitcnt lgkmcnt(0)
	s_waitcnt_vscnt null, 0x0
	s_barrier
	buffer_gl0_inv
	s_and_saveexec_b32 s3, s0
	s_cbranch_execz .LBB121_28
; %bb.19:
	s_and_not1_b32 vcc_lo, exec_lo, s2
	s_cbranch_vccnz .LBB121_21
; %bb.20:
	scratch_load_b64 v[117:118], v121, off
	ds_load_b64 v[149:150], v120
	s_waitcnt vmcnt(0) lgkmcnt(0)
	v_mul_f64 v[117:118], v[117:118], v[149:150]
	s_cbranch_execz .LBB121_22
	s_branch .LBB121_23
.LBB121_21:
                                        ; implicit-def: $vgpr117_vgpr118
.LBB121_22:
	ds_load_b64 v[117:118], v120
.LBB121_23:
	s_and_saveexec_b32 s4, s1
	s_cbranch_execz .LBB121_27
; %bb.24:
	v_mov_b32_e32 v149, 0
	v_subrev_nc_u32_e32 v150, 55, v0
	s_movk_i32 s5, 0x388
	s_mov_b32 s1, 0
	s_delay_alu instid0(VALU_DEP_2)
	v_add_nc_u32_e32 v149, 0x1b8, v149
.LBB121_25:                             ; =>This Inner Loop Header: Depth=1
	scratch_load_b64 v[151:152], v149, off
	v_dual_mov_b32 v153, s5 :: v_dual_add_nc_u32 v150, -1, v150
	v_add_nc_u32_e32 v149, 8, v149
	s_add_i32 s5, s5, 8
	ds_load_b64 v[153:154], v153
	v_cmp_eq_u32_e32 vcc_lo, 0, v150
	s_or_b32 s1, vcc_lo, s1
	s_waitcnt vmcnt(0) lgkmcnt(0)
	v_fma_f64 v[117:118], v[151:152], v[153:154], v[117:118]
	s_and_not1_b32 exec_lo, exec_lo, s1
	s_cbranch_execnz .LBB121_25
; %bb.26:
	s_or_b32 exec_lo, exec_lo, s1
.LBB121_27:
	s_delay_alu instid0(SALU_CYCLE_1)
	s_or_b32 exec_lo, exec_lo, s4
	v_mov_b32_e32 v149, 0
	ds_load_b64 v[149:150], v149 offset:432
	s_waitcnt lgkmcnt(0)
	v_mul_f64 v[117:118], v[117:118], v[149:150]
	scratch_store_b64 off, v[117:118], off offset:432
.LBB121_28:
	s_or_b32 exec_lo, exec_lo, s3
	scratch_load_b64 v[117:118], off, off offset:424
	v_cmp_lt_u32_e64 s1, 53, v0
	s_waitcnt vmcnt(0)
	ds_store_b64 v120, v[117:118]
	s_waitcnt lgkmcnt(0)
	s_waitcnt_vscnt null, 0x0
	s_barrier
	buffer_gl0_inv
	s_and_saveexec_b32 s3, s1
	s_cbranch_execz .LBB121_38
; %bb.29:
	s_and_not1_b32 vcc_lo, exec_lo, s2
	s_cbranch_vccnz .LBB121_31
; %bb.30:
	scratch_load_b64 v[117:118], v121, off
	ds_load_b64 v[149:150], v120
	s_waitcnt vmcnt(0) lgkmcnt(0)
	v_mul_f64 v[117:118], v[117:118], v[149:150]
	s_cbranch_execz .LBB121_32
	s_branch .LBB121_33
.LBB121_31:
                                        ; implicit-def: $vgpr117_vgpr118
.LBB121_32:
	ds_load_b64 v[117:118], v120
.LBB121_33:
	s_and_saveexec_b32 s4, s0
	s_cbranch_execz .LBB121_37
; %bb.34:
	v_subrev_nc_u32_e32 v149, 54, v0
	s_movk_i32 s5, 0x380
	s_mov_b32 s0, 0
.LBB121_35:                             ; =>This Inner Loop Header: Depth=1
	scratch_load_b64 v[150:151], v148, off
	v_dual_mov_b32 v152, s5 :: v_dual_add_nc_u32 v149, -1, v149
	v_add_nc_u32_e32 v148, 8, v148
	s_add_i32 s5, s5, 8
	ds_load_b64 v[152:153], v152
	v_cmp_eq_u32_e32 vcc_lo, 0, v149
	s_or_b32 s0, vcc_lo, s0
	s_waitcnt vmcnt(0) lgkmcnt(0)
	v_fma_f64 v[117:118], v[150:151], v[152:153], v[117:118]
	s_and_not1_b32 exec_lo, exec_lo, s0
	s_cbranch_execnz .LBB121_35
; %bb.36:
	s_or_b32 exec_lo, exec_lo, s0
.LBB121_37:
	s_delay_alu instid0(SALU_CYCLE_1)
	s_or_b32 exec_lo, exec_lo, s4
	v_mov_b32_e32 v148, 0
	ds_load_b64 v[148:149], v148 offset:424
	s_waitcnt lgkmcnt(0)
	v_mul_f64 v[117:118], v[117:118], v[148:149]
	scratch_store_b64 off, v[117:118], off offset:424
.LBB121_38:
	s_or_b32 exec_lo, exec_lo, s3
	scratch_load_b64 v[117:118], off, off offset:416
	v_cmp_lt_u32_e64 s0, 52, v0
	s_waitcnt vmcnt(0)
	ds_store_b64 v120, v[117:118]
	s_waitcnt lgkmcnt(0)
	s_waitcnt_vscnt null, 0x0
	s_barrier
	buffer_gl0_inv
	s_and_saveexec_b32 s3, s0
	s_cbranch_execz .LBB121_48
; %bb.39:
	s_and_not1_b32 vcc_lo, exec_lo, s2
	s_cbranch_vccnz .LBB121_41
; %bb.40:
	scratch_load_b64 v[117:118], v121, off
	ds_load_b64 v[148:149], v120
	s_waitcnt vmcnt(0) lgkmcnt(0)
	v_mul_f64 v[117:118], v[117:118], v[148:149]
	s_cbranch_execz .LBB121_42
	s_branch .LBB121_43
.LBB121_41:
                                        ; implicit-def: $vgpr117_vgpr118
.LBB121_42:
	ds_load_b64 v[117:118], v120
.LBB121_43:
	s_and_saveexec_b32 s4, s1
	s_cbranch_execz .LBB121_47
; %bb.44:
	v_mov_b32_e32 v148, 0
	v_subrev_nc_u32_e32 v149, 53, v0
	s_movk_i32 s5, 0x378
	s_mov_b32 s1, 0
	s_delay_alu instid0(VALU_DEP_2)
	v_add_nc_u32_e32 v148, 0x1a8, v148
.LBB121_45:                             ; =>This Inner Loop Header: Depth=1
	scratch_load_b64 v[150:151], v148, off
	v_dual_mov_b32 v152, s5 :: v_dual_add_nc_u32 v149, -1, v149
	v_add_nc_u32_e32 v148, 8, v148
	s_add_i32 s5, s5, 8
	ds_load_b64 v[152:153], v152
	v_cmp_eq_u32_e32 vcc_lo, 0, v149
	s_or_b32 s1, vcc_lo, s1
	s_waitcnt vmcnt(0) lgkmcnt(0)
	v_fma_f64 v[117:118], v[150:151], v[152:153], v[117:118]
	s_and_not1_b32 exec_lo, exec_lo, s1
	s_cbranch_execnz .LBB121_45
; %bb.46:
	s_or_b32 exec_lo, exec_lo, s1
.LBB121_47:
	s_delay_alu instid0(SALU_CYCLE_1)
	s_or_b32 exec_lo, exec_lo, s4
	v_mov_b32_e32 v148, 0
	ds_load_b64 v[148:149], v148 offset:416
	s_waitcnt lgkmcnt(0)
	v_mul_f64 v[117:118], v[117:118], v[148:149]
	scratch_store_b64 off, v[117:118], off offset:416
.LBB121_48:
	s_or_b32 exec_lo, exec_lo, s3
	scratch_load_b64 v[117:118], off, off offset:408
	v_cmp_lt_u32_e64 s1, 51, v0
	s_waitcnt vmcnt(0)
	ds_store_b64 v120, v[117:118]
	s_waitcnt lgkmcnt(0)
	s_waitcnt_vscnt null, 0x0
	s_barrier
	buffer_gl0_inv
	s_and_saveexec_b32 s3, s1
	s_cbranch_execz .LBB121_58
; %bb.49:
	s_and_not1_b32 vcc_lo, exec_lo, s2
	s_cbranch_vccnz .LBB121_51
; %bb.50:
	scratch_load_b64 v[117:118], v121, off
	ds_load_b64 v[148:149], v120
	s_waitcnt vmcnt(0) lgkmcnt(0)
	v_mul_f64 v[117:118], v[117:118], v[148:149]
	s_cbranch_execz .LBB121_52
	s_branch .LBB121_53
.LBB121_51:
                                        ; implicit-def: $vgpr117_vgpr118
.LBB121_52:
	ds_load_b64 v[117:118], v120
.LBB121_53:
	s_and_saveexec_b32 s4, s0
	s_cbranch_execz .LBB121_57
; %bb.54:
	v_subrev_nc_u32_e32 v148, 52, v0
	s_movk_i32 s5, 0x370
	s_mov_b32 s0, 0
.LBB121_55:                             ; =>This Inner Loop Header: Depth=1
	scratch_load_b64 v[149:150], v147, off
	v_dual_mov_b32 v151, s5 :: v_dual_add_nc_u32 v148, -1, v148
	v_add_nc_u32_e32 v147, 8, v147
	s_add_i32 s5, s5, 8
	ds_load_b64 v[151:152], v151
	v_cmp_eq_u32_e32 vcc_lo, 0, v148
	s_or_b32 s0, vcc_lo, s0
	s_waitcnt vmcnt(0) lgkmcnt(0)
	v_fma_f64 v[117:118], v[149:150], v[151:152], v[117:118]
	s_and_not1_b32 exec_lo, exec_lo, s0
	s_cbranch_execnz .LBB121_55
; %bb.56:
	s_or_b32 exec_lo, exec_lo, s0
.LBB121_57:
	s_delay_alu instid0(SALU_CYCLE_1)
	s_or_b32 exec_lo, exec_lo, s4
	v_mov_b32_e32 v147, 0
	ds_load_b64 v[147:148], v147 offset:408
	s_waitcnt lgkmcnt(0)
	v_mul_f64 v[117:118], v[117:118], v[147:148]
	scratch_store_b64 off, v[117:118], off offset:408
.LBB121_58:
	s_or_b32 exec_lo, exec_lo, s3
	scratch_load_b64 v[117:118], off, off offset:400
	v_cmp_lt_u32_e64 s0, 50, v0
	s_waitcnt vmcnt(0)
	ds_store_b64 v120, v[117:118]
	s_waitcnt lgkmcnt(0)
	s_waitcnt_vscnt null, 0x0
	s_barrier
	buffer_gl0_inv
	s_and_saveexec_b32 s3, s0
	s_cbranch_execz .LBB121_68
; %bb.59:
	s_and_not1_b32 vcc_lo, exec_lo, s2
	s_cbranch_vccnz .LBB121_61
; %bb.60:
	scratch_load_b64 v[117:118], v121, off
	ds_load_b64 v[147:148], v120
	s_waitcnt vmcnt(0) lgkmcnt(0)
	v_mul_f64 v[117:118], v[117:118], v[147:148]
	s_cbranch_execz .LBB121_62
	s_branch .LBB121_63
.LBB121_61:
                                        ; implicit-def: $vgpr117_vgpr118
.LBB121_62:
	ds_load_b64 v[117:118], v120
.LBB121_63:
	s_and_saveexec_b32 s4, s1
	s_cbranch_execz .LBB121_67
; %bb.64:
	v_mov_b32_e32 v147, 0
	v_subrev_nc_u32_e32 v148, 51, v0
	s_movk_i32 s5, 0x368
	s_mov_b32 s1, 0
	s_delay_alu instid0(VALU_DEP_2)
	v_add_nc_u32_e32 v147, 0x198, v147
.LBB121_65:                             ; =>This Inner Loop Header: Depth=1
	scratch_load_b64 v[149:150], v147, off
	v_dual_mov_b32 v151, s5 :: v_dual_add_nc_u32 v148, -1, v148
	v_add_nc_u32_e32 v147, 8, v147
	s_add_i32 s5, s5, 8
	ds_load_b64 v[151:152], v151
	v_cmp_eq_u32_e32 vcc_lo, 0, v148
	s_or_b32 s1, vcc_lo, s1
	s_waitcnt vmcnt(0) lgkmcnt(0)
	v_fma_f64 v[117:118], v[149:150], v[151:152], v[117:118]
	s_and_not1_b32 exec_lo, exec_lo, s1
	s_cbranch_execnz .LBB121_65
; %bb.66:
	s_or_b32 exec_lo, exec_lo, s1
.LBB121_67:
	s_delay_alu instid0(SALU_CYCLE_1)
	s_or_b32 exec_lo, exec_lo, s4
	v_mov_b32_e32 v147, 0
	ds_load_b64 v[147:148], v147 offset:400
	s_waitcnt lgkmcnt(0)
	v_mul_f64 v[117:118], v[117:118], v[147:148]
	scratch_store_b64 off, v[117:118], off offset:400
.LBB121_68:
	s_or_b32 exec_lo, exec_lo, s3
	scratch_load_b64 v[117:118], off, off offset:392
	v_cmp_lt_u32_e64 s1, 49, v0
	s_waitcnt vmcnt(0)
	ds_store_b64 v120, v[117:118]
	s_waitcnt lgkmcnt(0)
	s_waitcnt_vscnt null, 0x0
	s_barrier
	buffer_gl0_inv
	s_and_saveexec_b32 s3, s1
	s_cbranch_execz .LBB121_78
; %bb.69:
	s_and_not1_b32 vcc_lo, exec_lo, s2
	s_cbranch_vccnz .LBB121_71
; %bb.70:
	scratch_load_b64 v[117:118], v121, off
	ds_load_b64 v[147:148], v120
	s_waitcnt vmcnt(0) lgkmcnt(0)
	v_mul_f64 v[117:118], v[117:118], v[147:148]
	s_cbranch_execz .LBB121_72
	s_branch .LBB121_73
.LBB121_71:
                                        ; implicit-def: $vgpr117_vgpr118
.LBB121_72:
	ds_load_b64 v[117:118], v120
.LBB121_73:
	s_and_saveexec_b32 s4, s0
	s_cbranch_execz .LBB121_77
; %bb.74:
	v_subrev_nc_u32_e32 v147, 50, v0
	s_movk_i32 s5, 0x360
	s_mov_b32 s0, 0
.LBB121_75:                             ; =>This Inner Loop Header: Depth=1
	scratch_load_b64 v[148:149], v146, off
	v_dual_mov_b32 v150, s5 :: v_dual_add_nc_u32 v147, -1, v147
	v_add_nc_u32_e32 v146, 8, v146
	s_add_i32 s5, s5, 8
	ds_load_b64 v[150:151], v150
	v_cmp_eq_u32_e32 vcc_lo, 0, v147
	s_or_b32 s0, vcc_lo, s0
	s_waitcnt vmcnt(0) lgkmcnt(0)
	v_fma_f64 v[117:118], v[148:149], v[150:151], v[117:118]
	s_and_not1_b32 exec_lo, exec_lo, s0
	s_cbranch_execnz .LBB121_75
; %bb.76:
	s_or_b32 exec_lo, exec_lo, s0
.LBB121_77:
	s_delay_alu instid0(SALU_CYCLE_1)
	s_or_b32 exec_lo, exec_lo, s4
	v_mov_b32_e32 v146, 0
	ds_load_b64 v[146:147], v146 offset:392
	s_waitcnt lgkmcnt(0)
	v_mul_f64 v[117:118], v[117:118], v[146:147]
	scratch_store_b64 off, v[117:118], off offset:392
.LBB121_78:
	s_or_b32 exec_lo, exec_lo, s3
	scratch_load_b64 v[117:118], off, off offset:384
	v_cmp_lt_u32_e64 s0, 48, v0
	s_waitcnt vmcnt(0)
	ds_store_b64 v120, v[117:118]
	s_waitcnt lgkmcnt(0)
	s_waitcnt_vscnt null, 0x0
	s_barrier
	buffer_gl0_inv
	s_and_saveexec_b32 s3, s0
	s_cbranch_execz .LBB121_88
; %bb.79:
	s_and_not1_b32 vcc_lo, exec_lo, s2
	s_cbranch_vccnz .LBB121_81
; %bb.80:
	scratch_load_b64 v[117:118], v121, off
	ds_load_b64 v[146:147], v120
	s_waitcnt vmcnt(0) lgkmcnt(0)
	v_mul_f64 v[117:118], v[117:118], v[146:147]
	s_cbranch_execz .LBB121_82
	s_branch .LBB121_83
.LBB121_81:
                                        ; implicit-def: $vgpr117_vgpr118
.LBB121_82:
	ds_load_b64 v[117:118], v120
.LBB121_83:
	s_and_saveexec_b32 s4, s1
	s_cbranch_execz .LBB121_87
; %bb.84:
	v_mov_b32_e32 v146, 0
	v_subrev_nc_u32_e32 v147, 49, v0
	s_movk_i32 s5, 0x358
	s_mov_b32 s1, 0
	s_delay_alu instid0(VALU_DEP_2)
	v_add_nc_u32_e32 v146, 0x188, v146
.LBB121_85:                             ; =>This Inner Loop Header: Depth=1
	scratch_load_b64 v[148:149], v146, off
	v_dual_mov_b32 v150, s5 :: v_dual_add_nc_u32 v147, -1, v147
	v_add_nc_u32_e32 v146, 8, v146
	s_add_i32 s5, s5, 8
	ds_load_b64 v[150:151], v150
	v_cmp_eq_u32_e32 vcc_lo, 0, v147
	s_or_b32 s1, vcc_lo, s1
	s_waitcnt vmcnt(0) lgkmcnt(0)
	v_fma_f64 v[117:118], v[148:149], v[150:151], v[117:118]
	s_and_not1_b32 exec_lo, exec_lo, s1
	s_cbranch_execnz .LBB121_85
; %bb.86:
	s_or_b32 exec_lo, exec_lo, s1
.LBB121_87:
	s_delay_alu instid0(SALU_CYCLE_1)
	s_or_b32 exec_lo, exec_lo, s4
	v_mov_b32_e32 v146, 0
	ds_load_b64 v[146:147], v146 offset:384
	s_waitcnt lgkmcnt(0)
	v_mul_f64 v[117:118], v[117:118], v[146:147]
	scratch_store_b64 off, v[117:118], off offset:384
.LBB121_88:
	s_or_b32 exec_lo, exec_lo, s3
	scratch_load_b64 v[117:118], off, off offset:376
	v_cmp_lt_u32_e64 s1, 47, v0
	s_waitcnt vmcnt(0)
	ds_store_b64 v120, v[117:118]
	s_waitcnt lgkmcnt(0)
	s_waitcnt_vscnt null, 0x0
	s_barrier
	buffer_gl0_inv
	s_and_saveexec_b32 s3, s1
	s_cbranch_execz .LBB121_98
; %bb.89:
	s_and_not1_b32 vcc_lo, exec_lo, s2
	s_cbranch_vccnz .LBB121_91
; %bb.90:
	scratch_load_b64 v[117:118], v121, off
	ds_load_b64 v[146:147], v120
	s_waitcnt vmcnt(0) lgkmcnt(0)
	v_mul_f64 v[117:118], v[117:118], v[146:147]
	s_cbranch_execz .LBB121_92
	s_branch .LBB121_93
.LBB121_91:
                                        ; implicit-def: $vgpr117_vgpr118
.LBB121_92:
	ds_load_b64 v[117:118], v120
.LBB121_93:
	s_and_saveexec_b32 s4, s0
	s_cbranch_execz .LBB121_97
; %bb.94:
	v_subrev_nc_u32_e32 v146, 48, v0
	s_movk_i32 s5, 0x350
	s_mov_b32 s0, 0
.LBB121_95:                             ; =>This Inner Loop Header: Depth=1
	scratch_load_b64 v[147:148], v145, off
	v_dual_mov_b32 v149, s5 :: v_dual_add_nc_u32 v146, -1, v146
	v_add_nc_u32_e32 v145, 8, v145
	s_add_i32 s5, s5, 8
	ds_load_b64 v[149:150], v149
	v_cmp_eq_u32_e32 vcc_lo, 0, v146
	s_or_b32 s0, vcc_lo, s0
	s_waitcnt vmcnt(0) lgkmcnt(0)
	v_fma_f64 v[117:118], v[147:148], v[149:150], v[117:118]
	s_and_not1_b32 exec_lo, exec_lo, s0
	s_cbranch_execnz .LBB121_95
; %bb.96:
	s_or_b32 exec_lo, exec_lo, s0
.LBB121_97:
	s_delay_alu instid0(SALU_CYCLE_1)
	s_or_b32 exec_lo, exec_lo, s4
	v_mov_b32_e32 v145, 0
	ds_load_b64 v[145:146], v145 offset:376
	s_waitcnt lgkmcnt(0)
	v_mul_f64 v[117:118], v[117:118], v[145:146]
	scratch_store_b64 off, v[117:118], off offset:376
.LBB121_98:
	s_or_b32 exec_lo, exec_lo, s3
	scratch_load_b64 v[117:118], off, off offset:368
	v_cmp_lt_u32_e64 s0, 46, v0
	s_waitcnt vmcnt(0)
	ds_store_b64 v120, v[117:118]
	s_waitcnt lgkmcnt(0)
	s_waitcnt_vscnt null, 0x0
	s_barrier
	buffer_gl0_inv
	s_and_saveexec_b32 s3, s0
	s_cbranch_execz .LBB121_108
; %bb.99:
	s_and_not1_b32 vcc_lo, exec_lo, s2
	s_cbranch_vccnz .LBB121_101
; %bb.100:
	scratch_load_b64 v[117:118], v121, off
	ds_load_b64 v[145:146], v120
	s_waitcnt vmcnt(0) lgkmcnt(0)
	v_mul_f64 v[117:118], v[117:118], v[145:146]
	s_cbranch_execz .LBB121_102
	s_branch .LBB121_103
.LBB121_101:
                                        ; implicit-def: $vgpr117_vgpr118
.LBB121_102:
	ds_load_b64 v[117:118], v120
.LBB121_103:
	s_and_saveexec_b32 s4, s1
	s_cbranch_execz .LBB121_107
; %bb.104:
	v_mov_b32_e32 v145, 0
	v_subrev_nc_u32_e32 v146, 47, v0
	s_movk_i32 s5, 0x348
	s_mov_b32 s1, 0
	s_delay_alu instid0(VALU_DEP_2)
	v_add_nc_u32_e32 v145, 0x178, v145
.LBB121_105:                            ; =>This Inner Loop Header: Depth=1
	scratch_load_b64 v[147:148], v145, off
	v_dual_mov_b32 v149, s5 :: v_dual_add_nc_u32 v146, -1, v146
	v_add_nc_u32_e32 v145, 8, v145
	s_add_i32 s5, s5, 8
	ds_load_b64 v[149:150], v149
	v_cmp_eq_u32_e32 vcc_lo, 0, v146
	s_or_b32 s1, vcc_lo, s1
	s_waitcnt vmcnt(0) lgkmcnt(0)
	v_fma_f64 v[117:118], v[147:148], v[149:150], v[117:118]
	s_and_not1_b32 exec_lo, exec_lo, s1
	s_cbranch_execnz .LBB121_105
; %bb.106:
	s_or_b32 exec_lo, exec_lo, s1
.LBB121_107:
	s_delay_alu instid0(SALU_CYCLE_1)
	s_or_b32 exec_lo, exec_lo, s4
	v_mov_b32_e32 v145, 0
	ds_load_b64 v[145:146], v145 offset:368
	s_waitcnt lgkmcnt(0)
	v_mul_f64 v[117:118], v[117:118], v[145:146]
	scratch_store_b64 off, v[117:118], off offset:368
.LBB121_108:
	s_or_b32 exec_lo, exec_lo, s3
	scratch_load_b64 v[117:118], off, off offset:360
	v_cmp_lt_u32_e64 s1, 45, v0
	s_waitcnt vmcnt(0)
	ds_store_b64 v120, v[117:118]
	s_waitcnt lgkmcnt(0)
	s_waitcnt_vscnt null, 0x0
	s_barrier
	buffer_gl0_inv
	s_and_saveexec_b32 s3, s1
	s_cbranch_execz .LBB121_118
; %bb.109:
	s_and_not1_b32 vcc_lo, exec_lo, s2
	s_cbranch_vccnz .LBB121_111
; %bb.110:
	scratch_load_b64 v[117:118], v121, off
	ds_load_b64 v[145:146], v120
	s_waitcnt vmcnt(0) lgkmcnt(0)
	v_mul_f64 v[117:118], v[117:118], v[145:146]
	s_cbranch_execz .LBB121_112
	s_branch .LBB121_113
.LBB121_111:
                                        ; implicit-def: $vgpr117_vgpr118
.LBB121_112:
	ds_load_b64 v[117:118], v120
.LBB121_113:
	s_and_saveexec_b32 s4, s0
	s_cbranch_execz .LBB121_117
; %bb.114:
	v_subrev_nc_u32_e32 v145, 46, v0
	s_movk_i32 s5, 0x340
	s_mov_b32 s0, 0
.LBB121_115:                            ; =>This Inner Loop Header: Depth=1
	scratch_load_b64 v[146:147], v144, off
	v_dual_mov_b32 v148, s5 :: v_dual_add_nc_u32 v145, -1, v145
	v_add_nc_u32_e32 v144, 8, v144
	s_add_i32 s5, s5, 8
	ds_load_b64 v[148:149], v148
	v_cmp_eq_u32_e32 vcc_lo, 0, v145
	s_or_b32 s0, vcc_lo, s0
	s_waitcnt vmcnt(0) lgkmcnt(0)
	v_fma_f64 v[117:118], v[146:147], v[148:149], v[117:118]
	s_and_not1_b32 exec_lo, exec_lo, s0
	s_cbranch_execnz .LBB121_115
; %bb.116:
	s_or_b32 exec_lo, exec_lo, s0
.LBB121_117:
	s_delay_alu instid0(SALU_CYCLE_1)
	s_or_b32 exec_lo, exec_lo, s4
	v_mov_b32_e32 v144, 0
	ds_load_b64 v[144:145], v144 offset:360
	s_waitcnt lgkmcnt(0)
	v_mul_f64 v[117:118], v[117:118], v[144:145]
	scratch_store_b64 off, v[117:118], off offset:360
.LBB121_118:
	s_or_b32 exec_lo, exec_lo, s3
	scratch_load_b64 v[117:118], off, off offset:352
	v_cmp_lt_u32_e64 s0, 44, v0
	s_waitcnt vmcnt(0)
	ds_store_b64 v120, v[117:118]
	s_waitcnt lgkmcnt(0)
	s_waitcnt_vscnt null, 0x0
	s_barrier
	buffer_gl0_inv
	s_and_saveexec_b32 s3, s0
	s_cbranch_execz .LBB121_128
; %bb.119:
	s_and_not1_b32 vcc_lo, exec_lo, s2
	s_cbranch_vccnz .LBB121_121
; %bb.120:
	scratch_load_b64 v[117:118], v121, off
	ds_load_b64 v[144:145], v120
	s_waitcnt vmcnt(0) lgkmcnt(0)
	v_mul_f64 v[117:118], v[117:118], v[144:145]
	s_cbranch_execz .LBB121_122
	s_branch .LBB121_123
.LBB121_121:
                                        ; implicit-def: $vgpr117_vgpr118
.LBB121_122:
	ds_load_b64 v[117:118], v120
.LBB121_123:
	s_and_saveexec_b32 s4, s1
	s_cbranch_execz .LBB121_127
; %bb.124:
	v_mov_b32_e32 v144, 0
	v_subrev_nc_u32_e32 v145, 45, v0
	s_movk_i32 s5, 0x338
	s_mov_b32 s1, 0
	s_delay_alu instid0(VALU_DEP_2)
	v_add_nc_u32_e32 v144, 0x168, v144
.LBB121_125:                            ; =>This Inner Loop Header: Depth=1
	scratch_load_b64 v[146:147], v144, off
	v_dual_mov_b32 v148, s5 :: v_dual_add_nc_u32 v145, -1, v145
	v_add_nc_u32_e32 v144, 8, v144
	s_add_i32 s5, s5, 8
	ds_load_b64 v[148:149], v148
	v_cmp_eq_u32_e32 vcc_lo, 0, v145
	s_or_b32 s1, vcc_lo, s1
	s_waitcnt vmcnt(0) lgkmcnt(0)
	v_fma_f64 v[117:118], v[146:147], v[148:149], v[117:118]
	s_and_not1_b32 exec_lo, exec_lo, s1
	s_cbranch_execnz .LBB121_125
; %bb.126:
	s_or_b32 exec_lo, exec_lo, s1
.LBB121_127:
	s_delay_alu instid0(SALU_CYCLE_1)
	s_or_b32 exec_lo, exec_lo, s4
	v_mov_b32_e32 v144, 0
	ds_load_b64 v[144:145], v144 offset:352
	s_waitcnt lgkmcnt(0)
	v_mul_f64 v[117:118], v[117:118], v[144:145]
	scratch_store_b64 off, v[117:118], off offset:352
.LBB121_128:
	s_or_b32 exec_lo, exec_lo, s3
	scratch_load_b64 v[117:118], off, off offset:344
	v_cmp_lt_u32_e64 s1, 43, v0
	s_waitcnt vmcnt(0)
	ds_store_b64 v120, v[117:118]
	s_waitcnt lgkmcnt(0)
	s_waitcnt_vscnt null, 0x0
	s_barrier
	buffer_gl0_inv
	s_and_saveexec_b32 s3, s1
	s_cbranch_execz .LBB121_138
; %bb.129:
	s_and_not1_b32 vcc_lo, exec_lo, s2
	s_cbranch_vccnz .LBB121_131
; %bb.130:
	scratch_load_b64 v[117:118], v121, off
	ds_load_b64 v[144:145], v120
	s_waitcnt vmcnt(0) lgkmcnt(0)
	v_mul_f64 v[117:118], v[117:118], v[144:145]
	s_cbranch_execz .LBB121_132
	s_branch .LBB121_133
.LBB121_131:
                                        ; implicit-def: $vgpr117_vgpr118
.LBB121_132:
	ds_load_b64 v[117:118], v120
.LBB121_133:
	s_and_saveexec_b32 s4, s0
	s_cbranch_execz .LBB121_137
; %bb.134:
	v_subrev_nc_u32_e32 v144, 44, v0
	s_movk_i32 s5, 0x330
	s_mov_b32 s0, 0
.LBB121_135:                            ; =>This Inner Loop Header: Depth=1
	scratch_load_b64 v[145:146], v143, off
	v_dual_mov_b32 v147, s5 :: v_dual_add_nc_u32 v144, -1, v144
	v_add_nc_u32_e32 v143, 8, v143
	s_add_i32 s5, s5, 8
	ds_load_b64 v[147:148], v147
	v_cmp_eq_u32_e32 vcc_lo, 0, v144
	s_or_b32 s0, vcc_lo, s0
	s_waitcnt vmcnt(0) lgkmcnt(0)
	v_fma_f64 v[117:118], v[145:146], v[147:148], v[117:118]
	s_and_not1_b32 exec_lo, exec_lo, s0
	s_cbranch_execnz .LBB121_135
; %bb.136:
	s_or_b32 exec_lo, exec_lo, s0
.LBB121_137:
	s_delay_alu instid0(SALU_CYCLE_1)
	s_or_b32 exec_lo, exec_lo, s4
	v_mov_b32_e32 v143, 0
	ds_load_b64 v[143:144], v143 offset:344
	s_waitcnt lgkmcnt(0)
	v_mul_f64 v[117:118], v[117:118], v[143:144]
	scratch_store_b64 off, v[117:118], off offset:344
.LBB121_138:
	s_or_b32 exec_lo, exec_lo, s3
	scratch_load_b64 v[117:118], off, off offset:336
	v_cmp_lt_u32_e64 s0, 42, v0
	s_waitcnt vmcnt(0)
	ds_store_b64 v120, v[117:118]
	s_waitcnt lgkmcnt(0)
	s_waitcnt_vscnt null, 0x0
	s_barrier
	buffer_gl0_inv
	s_and_saveexec_b32 s3, s0
	s_cbranch_execz .LBB121_148
; %bb.139:
	s_and_not1_b32 vcc_lo, exec_lo, s2
	s_cbranch_vccnz .LBB121_141
; %bb.140:
	scratch_load_b64 v[117:118], v121, off
	ds_load_b64 v[143:144], v120
	s_waitcnt vmcnt(0) lgkmcnt(0)
	v_mul_f64 v[117:118], v[117:118], v[143:144]
	s_cbranch_execz .LBB121_142
	s_branch .LBB121_143
.LBB121_141:
                                        ; implicit-def: $vgpr117_vgpr118
.LBB121_142:
	ds_load_b64 v[117:118], v120
.LBB121_143:
	s_and_saveexec_b32 s4, s1
	s_cbranch_execz .LBB121_147
; %bb.144:
	v_mov_b32_e32 v143, 0
	v_subrev_nc_u32_e32 v144, 43, v0
	s_movk_i32 s5, 0x328
	s_mov_b32 s1, 0
	s_delay_alu instid0(VALU_DEP_2)
	v_add_nc_u32_e32 v143, 0x158, v143
.LBB121_145:                            ; =>This Inner Loop Header: Depth=1
	scratch_load_b64 v[145:146], v143, off
	v_dual_mov_b32 v147, s5 :: v_dual_add_nc_u32 v144, -1, v144
	v_add_nc_u32_e32 v143, 8, v143
	s_add_i32 s5, s5, 8
	ds_load_b64 v[147:148], v147
	v_cmp_eq_u32_e32 vcc_lo, 0, v144
	s_or_b32 s1, vcc_lo, s1
	s_waitcnt vmcnt(0) lgkmcnt(0)
	v_fma_f64 v[117:118], v[145:146], v[147:148], v[117:118]
	s_and_not1_b32 exec_lo, exec_lo, s1
	s_cbranch_execnz .LBB121_145
; %bb.146:
	s_or_b32 exec_lo, exec_lo, s1
.LBB121_147:
	s_delay_alu instid0(SALU_CYCLE_1)
	s_or_b32 exec_lo, exec_lo, s4
	v_mov_b32_e32 v143, 0
	ds_load_b64 v[143:144], v143 offset:336
	s_waitcnt lgkmcnt(0)
	v_mul_f64 v[117:118], v[117:118], v[143:144]
	scratch_store_b64 off, v[117:118], off offset:336
.LBB121_148:
	s_or_b32 exec_lo, exec_lo, s3
	scratch_load_b64 v[117:118], off, off offset:328
	v_cmp_lt_u32_e64 s1, 41, v0
	s_waitcnt vmcnt(0)
	ds_store_b64 v120, v[117:118]
	s_waitcnt lgkmcnt(0)
	s_waitcnt_vscnt null, 0x0
	s_barrier
	buffer_gl0_inv
	s_and_saveexec_b32 s3, s1
	s_cbranch_execz .LBB121_158
; %bb.149:
	s_and_not1_b32 vcc_lo, exec_lo, s2
	s_cbranch_vccnz .LBB121_151
; %bb.150:
	scratch_load_b64 v[117:118], v121, off
	ds_load_b64 v[143:144], v120
	s_waitcnt vmcnt(0) lgkmcnt(0)
	v_mul_f64 v[117:118], v[117:118], v[143:144]
	s_cbranch_execz .LBB121_152
	s_branch .LBB121_153
.LBB121_151:
                                        ; implicit-def: $vgpr117_vgpr118
.LBB121_152:
	ds_load_b64 v[117:118], v120
.LBB121_153:
	s_and_saveexec_b32 s4, s0
	s_cbranch_execz .LBB121_157
; %bb.154:
	v_subrev_nc_u32_e32 v143, 42, v0
	s_movk_i32 s5, 0x320
	s_mov_b32 s0, 0
.LBB121_155:                            ; =>This Inner Loop Header: Depth=1
	scratch_load_b64 v[144:145], v142, off
	v_dual_mov_b32 v146, s5 :: v_dual_add_nc_u32 v143, -1, v143
	v_add_nc_u32_e32 v142, 8, v142
	s_add_i32 s5, s5, 8
	ds_load_b64 v[146:147], v146
	v_cmp_eq_u32_e32 vcc_lo, 0, v143
	s_or_b32 s0, vcc_lo, s0
	s_waitcnt vmcnt(0) lgkmcnt(0)
	v_fma_f64 v[117:118], v[144:145], v[146:147], v[117:118]
	s_and_not1_b32 exec_lo, exec_lo, s0
	s_cbranch_execnz .LBB121_155
; %bb.156:
	s_or_b32 exec_lo, exec_lo, s0
.LBB121_157:
	s_delay_alu instid0(SALU_CYCLE_1)
	s_or_b32 exec_lo, exec_lo, s4
	v_mov_b32_e32 v142, 0
	ds_load_b64 v[142:143], v142 offset:328
	s_waitcnt lgkmcnt(0)
	v_mul_f64 v[117:118], v[117:118], v[142:143]
	scratch_store_b64 off, v[117:118], off offset:328
.LBB121_158:
	s_or_b32 exec_lo, exec_lo, s3
	scratch_load_b64 v[117:118], off, off offset:320
	v_cmp_lt_u32_e64 s0, 40, v0
	s_waitcnt vmcnt(0)
	ds_store_b64 v120, v[117:118]
	s_waitcnt lgkmcnt(0)
	s_waitcnt_vscnt null, 0x0
	s_barrier
	buffer_gl0_inv
	s_and_saveexec_b32 s3, s0
	s_cbranch_execz .LBB121_168
; %bb.159:
	s_and_not1_b32 vcc_lo, exec_lo, s2
	s_cbranch_vccnz .LBB121_161
; %bb.160:
	scratch_load_b64 v[117:118], v121, off
	ds_load_b64 v[142:143], v120
	s_waitcnt vmcnt(0) lgkmcnt(0)
	v_mul_f64 v[117:118], v[117:118], v[142:143]
	s_cbranch_execz .LBB121_162
	s_branch .LBB121_163
.LBB121_161:
                                        ; implicit-def: $vgpr117_vgpr118
.LBB121_162:
	ds_load_b64 v[117:118], v120
.LBB121_163:
	s_and_saveexec_b32 s4, s1
	s_cbranch_execz .LBB121_167
; %bb.164:
	v_mov_b32_e32 v142, 0
	v_subrev_nc_u32_e32 v143, 41, v0
	s_movk_i32 s5, 0x318
	s_mov_b32 s1, 0
	s_delay_alu instid0(VALU_DEP_2)
	v_add_nc_u32_e32 v142, 0x148, v142
.LBB121_165:                            ; =>This Inner Loop Header: Depth=1
	scratch_load_b64 v[144:145], v142, off
	v_dual_mov_b32 v146, s5 :: v_dual_add_nc_u32 v143, -1, v143
	v_add_nc_u32_e32 v142, 8, v142
	s_add_i32 s5, s5, 8
	ds_load_b64 v[146:147], v146
	v_cmp_eq_u32_e32 vcc_lo, 0, v143
	s_or_b32 s1, vcc_lo, s1
	s_waitcnt vmcnt(0) lgkmcnt(0)
	v_fma_f64 v[117:118], v[144:145], v[146:147], v[117:118]
	s_and_not1_b32 exec_lo, exec_lo, s1
	s_cbranch_execnz .LBB121_165
; %bb.166:
	s_or_b32 exec_lo, exec_lo, s1
.LBB121_167:
	s_delay_alu instid0(SALU_CYCLE_1)
	s_or_b32 exec_lo, exec_lo, s4
	v_mov_b32_e32 v142, 0
	ds_load_b64 v[142:143], v142 offset:320
	s_waitcnt lgkmcnt(0)
	v_mul_f64 v[117:118], v[117:118], v[142:143]
	scratch_store_b64 off, v[117:118], off offset:320
.LBB121_168:
	s_or_b32 exec_lo, exec_lo, s3
	scratch_load_b64 v[117:118], off, off offset:312
	v_cmp_lt_u32_e64 s1, 39, v0
	s_waitcnt vmcnt(0)
	ds_store_b64 v120, v[117:118]
	s_waitcnt lgkmcnt(0)
	s_waitcnt_vscnt null, 0x0
	s_barrier
	buffer_gl0_inv
	s_and_saveexec_b32 s3, s1
	s_cbranch_execz .LBB121_178
; %bb.169:
	s_and_not1_b32 vcc_lo, exec_lo, s2
	s_cbranch_vccnz .LBB121_171
; %bb.170:
	scratch_load_b64 v[117:118], v121, off
	ds_load_b64 v[142:143], v120
	s_waitcnt vmcnt(0) lgkmcnt(0)
	v_mul_f64 v[117:118], v[117:118], v[142:143]
	s_cbranch_execz .LBB121_172
	s_branch .LBB121_173
.LBB121_171:
                                        ; implicit-def: $vgpr117_vgpr118
.LBB121_172:
	ds_load_b64 v[117:118], v120
.LBB121_173:
	s_and_saveexec_b32 s4, s0
	s_cbranch_execz .LBB121_177
; %bb.174:
	v_subrev_nc_u32_e32 v142, 40, v0
	s_movk_i32 s5, 0x310
	s_mov_b32 s0, 0
.LBB121_175:                            ; =>This Inner Loop Header: Depth=1
	scratch_load_b64 v[143:144], v141, off
	v_dual_mov_b32 v145, s5 :: v_dual_add_nc_u32 v142, -1, v142
	v_add_nc_u32_e32 v141, 8, v141
	s_add_i32 s5, s5, 8
	ds_load_b64 v[145:146], v145
	v_cmp_eq_u32_e32 vcc_lo, 0, v142
	s_or_b32 s0, vcc_lo, s0
	s_waitcnt vmcnt(0) lgkmcnt(0)
	v_fma_f64 v[117:118], v[143:144], v[145:146], v[117:118]
	s_and_not1_b32 exec_lo, exec_lo, s0
	s_cbranch_execnz .LBB121_175
; %bb.176:
	s_or_b32 exec_lo, exec_lo, s0
.LBB121_177:
	s_delay_alu instid0(SALU_CYCLE_1)
	s_or_b32 exec_lo, exec_lo, s4
	v_mov_b32_e32 v141, 0
	ds_load_b64 v[141:142], v141 offset:312
	s_waitcnt lgkmcnt(0)
	v_mul_f64 v[117:118], v[117:118], v[141:142]
	scratch_store_b64 off, v[117:118], off offset:312
.LBB121_178:
	s_or_b32 exec_lo, exec_lo, s3
	scratch_load_b64 v[117:118], off, off offset:304
	v_cmp_lt_u32_e64 s0, 38, v0
	s_waitcnt vmcnt(0)
	ds_store_b64 v120, v[117:118]
	s_waitcnt lgkmcnt(0)
	s_waitcnt_vscnt null, 0x0
	s_barrier
	buffer_gl0_inv
	s_and_saveexec_b32 s3, s0
	s_cbranch_execz .LBB121_188
; %bb.179:
	s_and_not1_b32 vcc_lo, exec_lo, s2
	s_cbranch_vccnz .LBB121_181
; %bb.180:
	scratch_load_b64 v[117:118], v121, off
	ds_load_b64 v[141:142], v120
	s_waitcnt vmcnt(0) lgkmcnt(0)
	v_mul_f64 v[117:118], v[117:118], v[141:142]
	s_cbranch_execz .LBB121_182
	s_branch .LBB121_183
.LBB121_181:
                                        ; implicit-def: $vgpr117_vgpr118
.LBB121_182:
	ds_load_b64 v[117:118], v120
.LBB121_183:
	s_and_saveexec_b32 s4, s1
	s_cbranch_execz .LBB121_187
; %bb.184:
	v_mov_b32_e32 v141, 0
	v_subrev_nc_u32_e32 v142, 39, v0
	s_movk_i32 s5, 0x308
	s_mov_b32 s1, 0
	s_delay_alu instid0(VALU_DEP_2)
	v_add_nc_u32_e32 v141, 0x138, v141
.LBB121_185:                            ; =>This Inner Loop Header: Depth=1
	scratch_load_b64 v[143:144], v141, off
	v_dual_mov_b32 v145, s5 :: v_dual_add_nc_u32 v142, -1, v142
	v_add_nc_u32_e32 v141, 8, v141
	s_add_i32 s5, s5, 8
	ds_load_b64 v[145:146], v145
	v_cmp_eq_u32_e32 vcc_lo, 0, v142
	s_or_b32 s1, vcc_lo, s1
	s_waitcnt vmcnt(0) lgkmcnt(0)
	v_fma_f64 v[117:118], v[143:144], v[145:146], v[117:118]
	s_and_not1_b32 exec_lo, exec_lo, s1
	s_cbranch_execnz .LBB121_185
; %bb.186:
	s_or_b32 exec_lo, exec_lo, s1
.LBB121_187:
	s_delay_alu instid0(SALU_CYCLE_1)
	s_or_b32 exec_lo, exec_lo, s4
	v_mov_b32_e32 v141, 0
	ds_load_b64 v[141:142], v141 offset:304
	s_waitcnt lgkmcnt(0)
	v_mul_f64 v[117:118], v[117:118], v[141:142]
	scratch_store_b64 off, v[117:118], off offset:304
.LBB121_188:
	s_or_b32 exec_lo, exec_lo, s3
	scratch_load_b64 v[117:118], off, off offset:296
	v_cmp_lt_u32_e64 s1, 37, v0
	s_waitcnt vmcnt(0)
	ds_store_b64 v120, v[117:118]
	s_waitcnt lgkmcnt(0)
	s_waitcnt_vscnt null, 0x0
	s_barrier
	buffer_gl0_inv
	s_and_saveexec_b32 s3, s1
	s_cbranch_execz .LBB121_198
; %bb.189:
	s_and_not1_b32 vcc_lo, exec_lo, s2
	s_cbranch_vccnz .LBB121_191
; %bb.190:
	scratch_load_b64 v[117:118], v121, off
	ds_load_b64 v[141:142], v120
	s_waitcnt vmcnt(0) lgkmcnt(0)
	v_mul_f64 v[117:118], v[117:118], v[141:142]
	s_cbranch_execz .LBB121_192
	s_branch .LBB121_193
.LBB121_191:
                                        ; implicit-def: $vgpr117_vgpr118
.LBB121_192:
	ds_load_b64 v[117:118], v120
.LBB121_193:
	s_and_saveexec_b32 s4, s0
	s_cbranch_execz .LBB121_197
; %bb.194:
	v_subrev_nc_u32_e32 v141, 38, v0
	s_movk_i32 s5, 0x300
	s_mov_b32 s0, 0
.LBB121_195:                            ; =>This Inner Loop Header: Depth=1
	scratch_load_b64 v[142:143], v140, off
	v_dual_mov_b32 v144, s5 :: v_dual_add_nc_u32 v141, -1, v141
	v_add_nc_u32_e32 v140, 8, v140
	s_add_i32 s5, s5, 8
	ds_load_b64 v[144:145], v144
	v_cmp_eq_u32_e32 vcc_lo, 0, v141
	s_or_b32 s0, vcc_lo, s0
	s_waitcnt vmcnt(0) lgkmcnt(0)
	v_fma_f64 v[117:118], v[142:143], v[144:145], v[117:118]
	s_and_not1_b32 exec_lo, exec_lo, s0
	s_cbranch_execnz .LBB121_195
; %bb.196:
	s_or_b32 exec_lo, exec_lo, s0
.LBB121_197:
	s_delay_alu instid0(SALU_CYCLE_1)
	s_or_b32 exec_lo, exec_lo, s4
	v_mov_b32_e32 v140, 0
	ds_load_b64 v[140:141], v140 offset:296
	s_waitcnt lgkmcnt(0)
	v_mul_f64 v[117:118], v[117:118], v[140:141]
	scratch_store_b64 off, v[117:118], off offset:296
.LBB121_198:
	s_or_b32 exec_lo, exec_lo, s3
	scratch_load_b64 v[117:118], off, off offset:288
	v_cmp_lt_u32_e64 s0, 36, v0
	s_waitcnt vmcnt(0)
	ds_store_b64 v120, v[117:118]
	s_waitcnt lgkmcnt(0)
	s_waitcnt_vscnt null, 0x0
	s_barrier
	buffer_gl0_inv
	s_and_saveexec_b32 s3, s0
	s_cbranch_execz .LBB121_208
; %bb.199:
	s_and_not1_b32 vcc_lo, exec_lo, s2
	s_cbranch_vccnz .LBB121_201
; %bb.200:
	scratch_load_b64 v[117:118], v121, off
	ds_load_b64 v[140:141], v120
	s_waitcnt vmcnt(0) lgkmcnt(0)
	v_mul_f64 v[117:118], v[117:118], v[140:141]
	s_cbranch_execz .LBB121_202
	s_branch .LBB121_203
.LBB121_201:
                                        ; implicit-def: $vgpr117_vgpr118
.LBB121_202:
	ds_load_b64 v[117:118], v120
.LBB121_203:
	s_and_saveexec_b32 s4, s1
	s_cbranch_execz .LBB121_207
; %bb.204:
	v_mov_b32_e32 v140, 0
	v_subrev_nc_u32_e32 v141, 37, v0
	s_movk_i32 s5, 0x2f8
	s_mov_b32 s1, 0
	s_delay_alu instid0(VALU_DEP_2)
	v_add_nc_u32_e32 v140, 0x128, v140
.LBB121_205:                            ; =>This Inner Loop Header: Depth=1
	scratch_load_b64 v[142:143], v140, off
	v_dual_mov_b32 v144, s5 :: v_dual_add_nc_u32 v141, -1, v141
	v_add_nc_u32_e32 v140, 8, v140
	s_add_i32 s5, s5, 8
	ds_load_b64 v[144:145], v144
	v_cmp_eq_u32_e32 vcc_lo, 0, v141
	s_or_b32 s1, vcc_lo, s1
	s_waitcnt vmcnt(0) lgkmcnt(0)
	v_fma_f64 v[117:118], v[142:143], v[144:145], v[117:118]
	s_and_not1_b32 exec_lo, exec_lo, s1
	s_cbranch_execnz .LBB121_205
; %bb.206:
	s_or_b32 exec_lo, exec_lo, s1
.LBB121_207:
	s_delay_alu instid0(SALU_CYCLE_1)
	s_or_b32 exec_lo, exec_lo, s4
	v_mov_b32_e32 v140, 0
	ds_load_b64 v[140:141], v140 offset:288
	s_waitcnt lgkmcnt(0)
	v_mul_f64 v[117:118], v[117:118], v[140:141]
	scratch_store_b64 off, v[117:118], off offset:288
.LBB121_208:
	s_or_b32 exec_lo, exec_lo, s3
	scratch_load_b64 v[117:118], off, off offset:280
	v_cmp_lt_u32_e64 s1, 35, v0
	s_waitcnt vmcnt(0)
	ds_store_b64 v120, v[117:118]
	s_waitcnt lgkmcnt(0)
	s_waitcnt_vscnt null, 0x0
	s_barrier
	buffer_gl0_inv
	s_and_saveexec_b32 s3, s1
	s_cbranch_execz .LBB121_218
; %bb.209:
	s_and_not1_b32 vcc_lo, exec_lo, s2
	s_cbranch_vccnz .LBB121_211
; %bb.210:
	scratch_load_b64 v[117:118], v121, off
	ds_load_b64 v[140:141], v120
	s_waitcnt vmcnt(0) lgkmcnt(0)
	v_mul_f64 v[117:118], v[117:118], v[140:141]
	s_cbranch_execz .LBB121_212
	s_branch .LBB121_213
.LBB121_211:
                                        ; implicit-def: $vgpr117_vgpr118
.LBB121_212:
	ds_load_b64 v[117:118], v120
.LBB121_213:
	s_and_saveexec_b32 s4, s0
	s_cbranch_execz .LBB121_217
; %bb.214:
	v_subrev_nc_u32_e32 v140, 36, v0
	s_movk_i32 s5, 0x2f0
	s_mov_b32 s0, 0
.LBB121_215:                            ; =>This Inner Loop Header: Depth=1
	scratch_load_b64 v[141:142], v139, off
	v_dual_mov_b32 v143, s5 :: v_dual_add_nc_u32 v140, -1, v140
	v_add_nc_u32_e32 v139, 8, v139
	s_add_i32 s5, s5, 8
	ds_load_b64 v[143:144], v143
	v_cmp_eq_u32_e32 vcc_lo, 0, v140
	s_or_b32 s0, vcc_lo, s0
	s_waitcnt vmcnt(0) lgkmcnt(0)
	v_fma_f64 v[117:118], v[141:142], v[143:144], v[117:118]
	s_and_not1_b32 exec_lo, exec_lo, s0
	s_cbranch_execnz .LBB121_215
; %bb.216:
	s_or_b32 exec_lo, exec_lo, s0
.LBB121_217:
	s_delay_alu instid0(SALU_CYCLE_1)
	s_or_b32 exec_lo, exec_lo, s4
	v_mov_b32_e32 v139, 0
	ds_load_b64 v[139:140], v139 offset:280
	s_waitcnt lgkmcnt(0)
	v_mul_f64 v[117:118], v[117:118], v[139:140]
	scratch_store_b64 off, v[117:118], off offset:280
.LBB121_218:
	s_or_b32 exec_lo, exec_lo, s3
	scratch_load_b64 v[117:118], off, off offset:272
	v_cmp_lt_u32_e64 s0, 34, v0
	s_waitcnt vmcnt(0)
	ds_store_b64 v120, v[117:118]
	s_waitcnt lgkmcnt(0)
	s_waitcnt_vscnt null, 0x0
	s_barrier
	buffer_gl0_inv
	s_and_saveexec_b32 s3, s0
	s_cbranch_execz .LBB121_228
; %bb.219:
	s_and_not1_b32 vcc_lo, exec_lo, s2
	s_cbranch_vccnz .LBB121_221
; %bb.220:
	scratch_load_b64 v[117:118], v121, off
	ds_load_b64 v[139:140], v120
	s_waitcnt vmcnt(0) lgkmcnt(0)
	v_mul_f64 v[117:118], v[117:118], v[139:140]
	s_cbranch_execz .LBB121_222
	s_branch .LBB121_223
.LBB121_221:
                                        ; implicit-def: $vgpr117_vgpr118
.LBB121_222:
	ds_load_b64 v[117:118], v120
.LBB121_223:
	s_and_saveexec_b32 s4, s1
	s_cbranch_execz .LBB121_227
; %bb.224:
	v_mov_b32_e32 v139, 0
	v_subrev_nc_u32_e32 v140, 35, v0
	s_movk_i32 s5, 0x2e8
	s_mov_b32 s1, 0
	s_delay_alu instid0(VALU_DEP_2)
	v_add_nc_u32_e32 v139, 0x118, v139
.LBB121_225:                            ; =>This Inner Loop Header: Depth=1
	scratch_load_b64 v[141:142], v139, off
	v_dual_mov_b32 v143, s5 :: v_dual_add_nc_u32 v140, -1, v140
	v_add_nc_u32_e32 v139, 8, v139
	s_add_i32 s5, s5, 8
	ds_load_b64 v[143:144], v143
	v_cmp_eq_u32_e32 vcc_lo, 0, v140
	s_or_b32 s1, vcc_lo, s1
	s_waitcnt vmcnt(0) lgkmcnt(0)
	v_fma_f64 v[117:118], v[141:142], v[143:144], v[117:118]
	s_and_not1_b32 exec_lo, exec_lo, s1
	s_cbranch_execnz .LBB121_225
; %bb.226:
	s_or_b32 exec_lo, exec_lo, s1
.LBB121_227:
	s_delay_alu instid0(SALU_CYCLE_1)
	s_or_b32 exec_lo, exec_lo, s4
	v_mov_b32_e32 v139, 0
	ds_load_b64 v[139:140], v139 offset:272
	s_waitcnt lgkmcnt(0)
	v_mul_f64 v[117:118], v[117:118], v[139:140]
	scratch_store_b64 off, v[117:118], off offset:272
.LBB121_228:
	s_or_b32 exec_lo, exec_lo, s3
	scratch_load_b64 v[117:118], off, off offset:264
	v_cmp_lt_u32_e64 s1, 33, v0
	s_waitcnt vmcnt(0)
	ds_store_b64 v120, v[117:118]
	s_waitcnt lgkmcnt(0)
	s_waitcnt_vscnt null, 0x0
	s_barrier
	buffer_gl0_inv
	s_and_saveexec_b32 s3, s1
	s_cbranch_execz .LBB121_238
; %bb.229:
	s_and_not1_b32 vcc_lo, exec_lo, s2
	s_cbranch_vccnz .LBB121_231
; %bb.230:
	scratch_load_b64 v[117:118], v121, off
	ds_load_b64 v[139:140], v120
	s_waitcnt vmcnt(0) lgkmcnt(0)
	v_mul_f64 v[117:118], v[117:118], v[139:140]
	s_cbranch_execz .LBB121_232
	s_branch .LBB121_233
.LBB121_231:
                                        ; implicit-def: $vgpr117_vgpr118
.LBB121_232:
	ds_load_b64 v[117:118], v120
.LBB121_233:
	s_and_saveexec_b32 s4, s0
	s_cbranch_execz .LBB121_237
; %bb.234:
	v_subrev_nc_u32_e32 v139, 34, v0
	s_movk_i32 s5, 0x2e0
	s_mov_b32 s0, 0
.LBB121_235:                            ; =>This Inner Loop Header: Depth=1
	scratch_load_b64 v[140:141], v138, off
	v_dual_mov_b32 v142, s5 :: v_dual_add_nc_u32 v139, -1, v139
	v_add_nc_u32_e32 v138, 8, v138
	s_add_i32 s5, s5, 8
	ds_load_b64 v[142:143], v142
	v_cmp_eq_u32_e32 vcc_lo, 0, v139
	s_or_b32 s0, vcc_lo, s0
	s_waitcnt vmcnt(0) lgkmcnt(0)
	v_fma_f64 v[117:118], v[140:141], v[142:143], v[117:118]
	s_and_not1_b32 exec_lo, exec_lo, s0
	s_cbranch_execnz .LBB121_235
; %bb.236:
	s_or_b32 exec_lo, exec_lo, s0
.LBB121_237:
	s_delay_alu instid0(SALU_CYCLE_1)
	s_or_b32 exec_lo, exec_lo, s4
	v_mov_b32_e32 v138, 0
	ds_load_b64 v[138:139], v138 offset:264
	s_waitcnt lgkmcnt(0)
	v_mul_f64 v[117:118], v[117:118], v[138:139]
	scratch_store_b64 off, v[117:118], off offset:264
.LBB121_238:
	s_or_b32 exec_lo, exec_lo, s3
	scratch_load_b64 v[117:118], off, off offset:256
	v_cmp_lt_u32_e64 s0, 32, v0
	s_waitcnt vmcnt(0)
	ds_store_b64 v120, v[117:118]
	s_waitcnt lgkmcnt(0)
	s_waitcnt_vscnt null, 0x0
	s_barrier
	buffer_gl0_inv
	s_and_saveexec_b32 s3, s0
	s_cbranch_execz .LBB121_248
; %bb.239:
	s_and_not1_b32 vcc_lo, exec_lo, s2
	s_cbranch_vccnz .LBB121_241
; %bb.240:
	scratch_load_b64 v[117:118], v121, off
	ds_load_b64 v[138:139], v120
	s_waitcnt vmcnt(0) lgkmcnt(0)
	v_mul_f64 v[117:118], v[117:118], v[138:139]
	s_cbranch_execz .LBB121_242
	s_branch .LBB121_243
.LBB121_241:
                                        ; implicit-def: $vgpr117_vgpr118
.LBB121_242:
	ds_load_b64 v[117:118], v120
.LBB121_243:
	s_and_saveexec_b32 s4, s1
	s_cbranch_execz .LBB121_247
; %bb.244:
	v_mov_b32_e32 v138, 0
	v_subrev_nc_u32_e32 v139, 33, v0
	s_movk_i32 s5, 0x2d8
	s_mov_b32 s1, 0
	s_delay_alu instid0(VALU_DEP_2)
	v_add_nc_u32_e32 v138, 0x108, v138
.LBB121_245:                            ; =>This Inner Loop Header: Depth=1
	scratch_load_b64 v[140:141], v138, off
	v_dual_mov_b32 v142, s5 :: v_dual_add_nc_u32 v139, -1, v139
	v_add_nc_u32_e32 v138, 8, v138
	s_add_i32 s5, s5, 8
	ds_load_b64 v[142:143], v142
	v_cmp_eq_u32_e32 vcc_lo, 0, v139
	s_or_b32 s1, vcc_lo, s1
	s_waitcnt vmcnt(0) lgkmcnt(0)
	v_fma_f64 v[117:118], v[140:141], v[142:143], v[117:118]
	s_and_not1_b32 exec_lo, exec_lo, s1
	s_cbranch_execnz .LBB121_245
; %bb.246:
	s_or_b32 exec_lo, exec_lo, s1
.LBB121_247:
	s_delay_alu instid0(SALU_CYCLE_1)
	s_or_b32 exec_lo, exec_lo, s4
	v_mov_b32_e32 v138, 0
	ds_load_b64 v[138:139], v138 offset:256
	s_waitcnt lgkmcnt(0)
	v_mul_f64 v[117:118], v[117:118], v[138:139]
	scratch_store_b64 off, v[117:118], off offset:256
.LBB121_248:
	s_or_b32 exec_lo, exec_lo, s3
	scratch_load_b64 v[117:118], off, off offset:248
	v_cmp_lt_u32_e64 s1, 31, v0
	s_waitcnt vmcnt(0)
	ds_store_b64 v120, v[117:118]
	s_waitcnt lgkmcnt(0)
	s_waitcnt_vscnt null, 0x0
	s_barrier
	buffer_gl0_inv
	s_and_saveexec_b32 s3, s1
	s_cbranch_execz .LBB121_258
; %bb.249:
	s_and_not1_b32 vcc_lo, exec_lo, s2
	s_cbranch_vccnz .LBB121_251
; %bb.250:
	scratch_load_b64 v[117:118], v121, off
	ds_load_b64 v[138:139], v120
	s_waitcnt vmcnt(0) lgkmcnt(0)
	v_mul_f64 v[117:118], v[117:118], v[138:139]
	s_cbranch_execz .LBB121_252
	s_branch .LBB121_253
.LBB121_251:
                                        ; implicit-def: $vgpr117_vgpr118
.LBB121_252:
	ds_load_b64 v[117:118], v120
.LBB121_253:
	s_and_saveexec_b32 s4, s0
	s_cbranch_execz .LBB121_257
; %bb.254:
	v_subrev_nc_u32_e32 v138, 32, v0
	s_movk_i32 s5, 0x2d0
	s_mov_b32 s0, 0
.LBB121_255:                            ; =>This Inner Loop Header: Depth=1
	scratch_load_b64 v[139:140], v137, off
	v_dual_mov_b32 v141, s5 :: v_dual_add_nc_u32 v138, -1, v138
	v_add_nc_u32_e32 v137, 8, v137
	s_add_i32 s5, s5, 8
	ds_load_b64 v[141:142], v141
	v_cmp_eq_u32_e32 vcc_lo, 0, v138
	s_or_b32 s0, vcc_lo, s0
	s_waitcnt vmcnt(0) lgkmcnt(0)
	v_fma_f64 v[117:118], v[139:140], v[141:142], v[117:118]
	s_and_not1_b32 exec_lo, exec_lo, s0
	s_cbranch_execnz .LBB121_255
; %bb.256:
	s_or_b32 exec_lo, exec_lo, s0
.LBB121_257:
	s_delay_alu instid0(SALU_CYCLE_1)
	s_or_b32 exec_lo, exec_lo, s4
	v_mov_b32_e32 v137, 0
	ds_load_b64 v[137:138], v137 offset:248
	s_waitcnt lgkmcnt(0)
	v_mul_f64 v[117:118], v[117:118], v[137:138]
	scratch_store_b64 off, v[117:118], off offset:248
.LBB121_258:
	s_or_b32 exec_lo, exec_lo, s3
	scratch_load_b64 v[117:118], off, off offset:240
	v_cmp_lt_u32_e64 s0, 30, v0
	s_waitcnt vmcnt(0)
	ds_store_b64 v120, v[117:118]
	s_waitcnt lgkmcnt(0)
	s_waitcnt_vscnt null, 0x0
	s_barrier
	buffer_gl0_inv
	s_and_saveexec_b32 s3, s0
	s_cbranch_execz .LBB121_268
; %bb.259:
	s_and_not1_b32 vcc_lo, exec_lo, s2
	s_cbranch_vccnz .LBB121_261
; %bb.260:
	scratch_load_b64 v[117:118], v121, off
	ds_load_b64 v[137:138], v120
	s_waitcnt vmcnt(0) lgkmcnt(0)
	v_mul_f64 v[117:118], v[117:118], v[137:138]
	s_cbranch_execz .LBB121_262
	s_branch .LBB121_263
.LBB121_261:
                                        ; implicit-def: $vgpr117_vgpr118
.LBB121_262:
	ds_load_b64 v[117:118], v120
.LBB121_263:
	s_and_saveexec_b32 s4, s1
	s_cbranch_execz .LBB121_267
; %bb.264:
	v_mov_b32_e32 v137, 0
	v_subrev_nc_u32_e32 v138, 31, v0
	s_movk_i32 s5, 0x2c8
	s_mov_b32 s1, 0
	s_delay_alu instid0(VALU_DEP_2)
	v_add_nc_u32_e32 v137, 0xf8, v137
.LBB121_265:                            ; =>This Inner Loop Header: Depth=1
	scratch_load_b64 v[139:140], v137, off
	v_dual_mov_b32 v141, s5 :: v_dual_add_nc_u32 v138, -1, v138
	v_add_nc_u32_e32 v137, 8, v137
	s_add_i32 s5, s5, 8
	ds_load_b64 v[141:142], v141
	v_cmp_eq_u32_e32 vcc_lo, 0, v138
	s_or_b32 s1, vcc_lo, s1
	s_waitcnt vmcnt(0) lgkmcnt(0)
	v_fma_f64 v[117:118], v[139:140], v[141:142], v[117:118]
	s_and_not1_b32 exec_lo, exec_lo, s1
	s_cbranch_execnz .LBB121_265
; %bb.266:
	s_or_b32 exec_lo, exec_lo, s1
.LBB121_267:
	s_delay_alu instid0(SALU_CYCLE_1)
	s_or_b32 exec_lo, exec_lo, s4
	v_mov_b32_e32 v137, 0
	ds_load_b64 v[137:138], v137 offset:240
	s_waitcnt lgkmcnt(0)
	v_mul_f64 v[117:118], v[117:118], v[137:138]
	scratch_store_b64 off, v[117:118], off offset:240
.LBB121_268:
	s_or_b32 exec_lo, exec_lo, s3
	scratch_load_b64 v[117:118], off, off offset:232
	v_cmp_lt_u32_e64 s1, 29, v0
	s_waitcnt vmcnt(0)
	ds_store_b64 v120, v[117:118]
	s_waitcnt lgkmcnt(0)
	s_waitcnt_vscnt null, 0x0
	s_barrier
	buffer_gl0_inv
	s_and_saveexec_b32 s3, s1
	s_cbranch_execz .LBB121_278
; %bb.269:
	s_and_not1_b32 vcc_lo, exec_lo, s2
	s_cbranch_vccnz .LBB121_271
; %bb.270:
	scratch_load_b64 v[117:118], v121, off
	ds_load_b64 v[137:138], v120
	s_waitcnt vmcnt(0) lgkmcnt(0)
	v_mul_f64 v[117:118], v[117:118], v[137:138]
	s_cbranch_execz .LBB121_272
	s_branch .LBB121_273
.LBB121_271:
                                        ; implicit-def: $vgpr117_vgpr118
.LBB121_272:
	ds_load_b64 v[117:118], v120
.LBB121_273:
	s_and_saveexec_b32 s4, s0
	s_cbranch_execz .LBB121_277
; %bb.274:
	v_subrev_nc_u32_e32 v137, 30, v0
	s_movk_i32 s5, 0x2c0
	s_mov_b32 s0, 0
.LBB121_275:                            ; =>This Inner Loop Header: Depth=1
	scratch_load_b64 v[138:139], v136, off
	v_dual_mov_b32 v140, s5 :: v_dual_add_nc_u32 v137, -1, v137
	v_add_nc_u32_e32 v136, 8, v136
	s_add_i32 s5, s5, 8
	ds_load_b64 v[140:141], v140
	v_cmp_eq_u32_e32 vcc_lo, 0, v137
	s_or_b32 s0, vcc_lo, s0
	s_waitcnt vmcnt(0) lgkmcnt(0)
	v_fma_f64 v[117:118], v[138:139], v[140:141], v[117:118]
	s_and_not1_b32 exec_lo, exec_lo, s0
	s_cbranch_execnz .LBB121_275
; %bb.276:
	s_or_b32 exec_lo, exec_lo, s0
.LBB121_277:
	s_delay_alu instid0(SALU_CYCLE_1)
	s_or_b32 exec_lo, exec_lo, s4
	v_mov_b32_e32 v136, 0
	ds_load_b64 v[136:137], v136 offset:232
	s_waitcnt lgkmcnt(0)
	v_mul_f64 v[117:118], v[117:118], v[136:137]
	scratch_store_b64 off, v[117:118], off offset:232
.LBB121_278:
	s_or_b32 exec_lo, exec_lo, s3
	scratch_load_b64 v[117:118], off, off offset:224
	v_cmp_lt_u32_e64 s0, 28, v0
	s_waitcnt vmcnt(0)
	ds_store_b64 v120, v[117:118]
	s_waitcnt lgkmcnt(0)
	s_waitcnt_vscnt null, 0x0
	s_barrier
	buffer_gl0_inv
	s_and_saveexec_b32 s3, s0
	s_cbranch_execz .LBB121_288
; %bb.279:
	s_and_not1_b32 vcc_lo, exec_lo, s2
	s_cbranch_vccnz .LBB121_281
; %bb.280:
	scratch_load_b64 v[117:118], v121, off
	ds_load_b64 v[136:137], v120
	s_waitcnt vmcnt(0) lgkmcnt(0)
	v_mul_f64 v[117:118], v[117:118], v[136:137]
	s_cbranch_execz .LBB121_282
	s_branch .LBB121_283
.LBB121_281:
                                        ; implicit-def: $vgpr117_vgpr118
.LBB121_282:
	ds_load_b64 v[117:118], v120
.LBB121_283:
	s_and_saveexec_b32 s4, s1
	s_cbranch_execz .LBB121_287
; %bb.284:
	v_mov_b32_e32 v136, 0
	v_subrev_nc_u32_e32 v137, 29, v0
	s_movk_i32 s5, 0x2b8
	s_mov_b32 s1, 0
	s_delay_alu instid0(VALU_DEP_2)
	v_add_nc_u32_e32 v136, 0xe8, v136
.LBB121_285:                            ; =>This Inner Loop Header: Depth=1
	scratch_load_b64 v[138:139], v136, off
	v_dual_mov_b32 v140, s5 :: v_dual_add_nc_u32 v137, -1, v137
	v_add_nc_u32_e32 v136, 8, v136
	s_add_i32 s5, s5, 8
	ds_load_b64 v[140:141], v140
	v_cmp_eq_u32_e32 vcc_lo, 0, v137
	s_or_b32 s1, vcc_lo, s1
	s_waitcnt vmcnt(0) lgkmcnt(0)
	v_fma_f64 v[117:118], v[138:139], v[140:141], v[117:118]
	s_and_not1_b32 exec_lo, exec_lo, s1
	s_cbranch_execnz .LBB121_285
; %bb.286:
	s_or_b32 exec_lo, exec_lo, s1
.LBB121_287:
	s_delay_alu instid0(SALU_CYCLE_1)
	s_or_b32 exec_lo, exec_lo, s4
	v_mov_b32_e32 v136, 0
	ds_load_b64 v[136:137], v136 offset:224
	s_waitcnt lgkmcnt(0)
	v_mul_f64 v[117:118], v[117:118], v[136:137]
	scratch_store_b64 off, v[117:118], off offset:224
.LBB121_288:
	s_or_b32 exec_lo, exec_lo, s3
	scratch_load_b64 v[117:118], off, off offset:216
	v_cmp_lt_u32_e64 s1, 27, v0
	s_waitcnt vmcnt(0)
	ds_store_b64 v120, v[117:118]
	s_waitcnt lgkmcnt(0)
	s_waitcnt_vscnt null, 0x0
	s_barrier
	buffer_gl0_inv
	s_and_saveexec_b32 s3, s1
	s_cbranch_execz .LBB121_298
; %bb.289:
	s_and_not1_b32 vcc_lo, exec_lo, s2
	s_cbranch_vccnz .LBB121_291
; %bb.290:
	scratch_load_b64 v[117:118], v121, off
	ds_load_b64 v[136:137], v120
	s_waitcnt vmcnt(0) lgkmcnt(0)
	v_mul_f64 v[117:118], v[117:118], v[136:137]
	s_cbranch_execz .LBB121_292
	s_branch .LBB121_293
.LBB121_291:
                                        ; implicit-def: $vgpr117_vgpr118
.LBB121_292:
	ds_load_b64 v[117:118], v120
.LBB121_293:
	s_and_saveexec_b32 s4, s0
	s_cbranch_execz .LBB121_297
; %bb.294:
	v_subrev_nc_u32_e32 v136, 28, v0
	s_movk_i32 s5, 0x2b0
	s_mov_b32 s0, 0
.LBB121_295:                            ; =>This Inner Loop Header: Depth=1
	scratch_load_b64 v[137:138], v135, off
	v_dual_mov_b32 v139, s5 :: v_dual_add_nc_u32 v136, -1, v136
	v_add_nc_u32_e32 v135, 8, v135
	s_add_i32 s5, s5, 8
	ds_load_b64 v[139:140], v139
	v_cmp_eq_u32_e32 vcc_lo, 0, v136
	s_or_b32 s0, vcc_lo, s0
	s_waitcnt vmcnt(0) lgkmcnt(0)
	v_fma_f64 v[117:118], v[137:138], v[139:140], v[117:118]
	s_and_not1_b32 exec_lo, exec_lo, s0
	s_cbranch_execnz .LBB121_295
; %bb.296:
	s_or_b32 exec_lo, exec_lo, s0
.LBB121_297:
	s_delay_alu instid0(SALU_CYCLE_1)
	s_or_b32 exec_lo, exec_lo, s4
	v_mov_b32_e32 v135, 0
	ds_load_b64 v[135:136], v135 offset:216
	s_waitcnt lgkmcnt(0)
	v_mul_f64 v[117:118], v[117:118], v[135:136]
	scratch_store_b64 off, v[117:118], off offset:216
.LBB121_298:
	s_or_b32 exec_lo, exec_lo, s3
	scratch_load_b64 v[117:118], off, off offset:208
	v_cmp_lt_u32_e64 s0, 26, v0
	s_waitcnt vmcnt(0)
	ds_store_b64 v120, v[117:118]
	s_waitcnt lgkmcnt(0)
	s_waitcnt_vscnt null, 0x0
	s_barrier
	buffer_gl0_inv
	s_and_saveexec_b32 s3, s0
	s_cbranch_execz .LBB121_308
; %bb.299:
	s_and_not1_b32 vcc_lo, exec_lo, s2
	s_cbranch_vccnz .LBB121_301
; %bb.300:
	scratch_load_b64 v[117:118], v121, off
	ds_load_b64 v[135:136], v120
	s_waitcnt vmcnt(0) lgkmcnt(0)
	v_mul_f64 v[117:118], v[117:118], v[135:136]
	s_cbranch_execz .LBB121_302
	s_branch .LBB121_303
.LBB121_301:
                                        ; implicit-def: $vgpr117_vgpr118
.LBB121_302:
	ds_load_b64 v[117:118], v120
.LBB121_303:
	s_and_saveexec_b32 s4, s1
	s_cbranch_execz .LBB121_307
; %bb.304:
	v_mov_b32_e32 v135, 0
	v_subrev_nc_u32_e32 v136, 27, v0
	s_movk_i32 s5, 0x2a8
	s_mov_b32 s1, 0
	s_delay_alu instid0(VALU_DEP_2)
	v_add_nc_u32_e32 v135, 0xd8, v135
.LBB121_305:                            ; =>This Inner Loop Header: Depth=1
	scratch_load_b64 v[137:138], v135, off
	v_dual_mov_b32 v139, s5 :: v_dual_add_nc_u32 v136, -1, v136
	v_add_nc_u32_e32 v135, 8, v135
	s_add_i32 s5, s5, 8
	ds_load_b64 v[139:140], v139
	v_cmp_eq_u32_e32 vcc_lo, 0, v136
	s_or_b32 s1, vcc_lo, s1
	s_waitcnt vmcnt(0) lgkmcnt(0)
	v_fma_f64 v[117:118], v[137:138], v[139:140], v[117:118]
	s_and_not1_b32 exec_lo, exec_lo, s1
	s_cbranch_execnz .LBB121_305
; %bb.306:
	s_or_b32 exec_lo, exec_lo, s1
.LBB121_307:
	s_delay_alu instid0(SALU_CYCLE_1)
	s_or_b32 exec_lo, exec_lo, s4
	v_mov_b32_e32 v135, 0
	ds_load_b64 v[135:136], v135 offset:208
	s_waitcnt lgkmcnt(0)
	v_mul_f64 v[117:118], v[117:118], v[135:136]
	scratch_store_b64 off, v[117:118], off offset:208
.LBB121_308:
	s_or_b32 exec_lo, exec_lo, s3
	scratch_load_b64 v[117:118], off, off offset:200
	v_cmp_lt_u32_e64 s1, 25, v0
	s_waitcnt vmcnt(0)
	ds_store_b64 v120, v[117:118]
	s_waitcnt lgkmcnt(0)
	s_waitcnt_vscnt null, 0x0
	s_barrier
	buffer_gl0_inv
	s_and_saveexec_b32 s3, s1
	s_cbranch_execz .LBB121_318
; %bb.309:
	s_and_not1_b32 vcc_lo, exec_lo, s2
	s_cbranch_vccnz .LBB121_311
; %bb.310:
	scratch_load_b64 v[117:118], v121, off
	ds_load_b64 v[135:136], v120
	s_waitcnt vmcnt(0) lgkmcnt(0)
	v_mul_f64 v[117:118], v[117:118], v[135:136]
	s_cbranch_execz .LBB121_312
	s_branch .LBB121_313
.LBB121_311:
                                        ; implicit-def: $vgpr117_vgpr118
.LBB121_312:
	ds_load_b64 v[117:118], v120
.LBB121_313:
	s_and_saveexec_b32 s4, s0
	s_cbranch_execz .LBB121_317
; %bb.314:
	v_subrev_nc_u32_e32 v135, 26, v0
	s_movk_i32 s5, 0x2a0
	s_mov_b32 s0, 0
.LBB121_315:                            ; =>This Inner Loop Header: Depth=1
	scratch_load_b64 v[136:137], v134, off
	v_dual_mov_b32 v138, s5 :: v_dual_add_nc_u32 v135, -1, v135
	v_add_nc_u32_e32 v134, 8, v134
	s_add_i32 s5, s5, 8
	ds_load_b64 v[138:139], v138
	v_cmp_eq_u32_e32 vcc_lo, 0, v135
	s_or_b32 s0, vcc_lo, s0
	s_waitcnt vmcnt(0) lgkmcnt(0)
	v_fma_f64 v[117:118], v[136:137], v[138:139], v[117:118]
	s_and_not1_b32 exec_lo, exec_lo, s0
	s_cbranch_execnz .LBB121_315
; %bb.316:
	s_or_b32 exec_lo, exec_lo, s0
.LBB121_317:
	s_delay_alu instid0(SALU_CYCLE_1)
	s_or_b32 exec_lo, exec_lo, s4
	v_mov_b32_e32 v134, 0
	ds_load_b64 v[134:135], v134 offset:200
	s_waitcnt lgkmcnt(0)
	v_mul_f64 v[117:118], v[117:118], v[134:135]
	scratch_store_b64 off, v[117:118], off offset:200
.LBB121_318:
	s_or_b32 exec_lo, exec_lo, s3
	scratch_load_b64 v[117:118], off, off offset:192
	v_cmp_lt_u32_e64 s0, 24, v0
	s_waitcnt vmcnt(0)
	ds_store_b64 v120, v[117:118]
	s_waitcnt lgkmcnt(0)
	s_waitcnt_vscnt null, 0x0
	s_barrier
	buffer_gl0_inv
	s_and_saveexec_b32 s3, s0
	s_cbranch_execz .LBB121_328
; %bb.319:
	s_and_not1_b32 vcc_lo, exec_lo, s2
	s_cbranch_vccnz .LBB121_321
; %bb.320:
	scratch_load_b64 v[117:118], v121, off
	ds_load_b64 v[134:135], v120
	s_waitcnt vmcnt(0) lgkmcnt(0)
	v_mul_f64 v[117:118], v[117:118], v[134:135]
	s_cbranch_execz .LBB121_322
	s_branch .LBB121_323
.LBB121_321:
                                        ; implicit-def: $vgpr117_vgpr118
.LBB121_322:
	ds_load_b64 v[117:118], v120
.LBB121_323:
	s_and_saveexec_b32 s4, s1
	s_cbranch_execz .LBB121_327
; %bb.324:
	v_mov_b32_e32 v134, 0
	v_subrev_nc_u32_e32 v135, 25, v0
	s_movk_i32 s5, 0x298
	s_mov_b32 s1, 0
	s_delay_alu instid0(VALU_DEP_2)
	v_add_nc_u32_e32 v134, 0xc8, v134
.LBB121_325:                            ; =>This Inner Loop Header: Depth=1
	scratch_load_b64 v[136:137], v134, off
	v_dual_mov_b32 v138, s5 :: v_dual_add_nc_u32 v135, -1, v135
	v_add_nc_u32_e32 v134, 8, v134
	s_add_i32 s5, s5, 8
	ds_load_b64 v[138:139], v138
	v_cmp_eq_u32_e32 vcc_lo, 0, v135
	s_or_b32 s1, vcc_lo, s1
	s_waitcnt vmcnt(0) lgkmcnt(0)
	v_fma_f64 v[117:118], v[136:137], v[138:139], v[117:118]
	s_and_not1_b32 exec_lo, exec_lo, s1
	s_cbranch_execnz .LBB121_325
; %bb.326:
	s_or_b32 exec_lo, exec_lo, s1
.LBB121_327:
	s_delay_alu instid0(SALU_CYCLE_1)
	s_or_b32 exec_lo, exec_lo, s4
	v_mov_b32_e32 v134, 0
	ds_load_b64 v[134:135], v134 offset:192
	s_waitcnt lgkmcnt(0)
	v_mul_f64 v[117:118], v[117:118], v[134:135]
	scratch_store_b64 off, v[117:118], off offset:192
.LBB121_328:
	s_or_b32 exec_lo, exec_lo, s3
	scratch_load_b64 v[117:118], off, off offset:184
	v_cmp_lt_u32_e64 s1, 23, v0
	s_waitcnt vmcnt(0)
	ds_store_b64 v120, v[117:118]
	s_waitcnt lgkmcnt(0)
	s_waitcnt_vscnt null, 0x0
	s_barrier
	buffer_gl0_inv
	s_and_saveexec_b32 s3, s1
	s_cbranch_execz .LBB121_338
; %bb.329:
	s_and_not1_b32 vcc_lo, exec_lo, s2
	s_cbranch_vccnz .LBB121_331
; %bb.330:
	scratch_load_b64 v[117:118], v121, off
	ds_load_b64 v[134:135], v120
	s_waitcnt vmcnt(0) lgkmcnt(0)
	v_mul_f64 v[117:118], v[117:118], v[134:135]
	s_cbranch_execz .LBB121_332
	s_branch .LBB121_333
.LBB121_331:
                                        ; implicit-def: $vgpr117_vgpr118
.LBB121_332:
	ds_load_b64 v[117:118], v120
.LBB121_333:
	s_and_saveexec_b32 s4, s0
	s_cbranch_execz .LBB121_337
; %bb.334:
	v_subrev_nc_u32_e32 v134, 24, v0
	s_movk_i32 s5, 0x290
	s_mov_b32 s0, 0
.LBB121_335:                            ; =>This Inner Loop Header: Depth=1
	scratch_load_b64 v[135:136], v133, off
	v_dual_mov_b32 v137, s5 :: v_dual_add_nc_u32 v134, -1, v134
	v_add_nc_u32_e32 v133, 8, v133
	s_add_i32 s5, s5, 8
	ds_load_b64 v[137:138], v137
	v_cmp_eq_u32_e32 vcc_lo, 0, v134
	s_or_b32 s0, vcc_lo, s0
	s_waitcnt vmcnt(0) lgkmcnt(0)
	v_fma_f64 v[117:118], v[135:136], v[137:138], v[117:118]
	s_and_not1_b32 exec_lo, exec_lo, s0
	s_cbranch_execnz .LBB121_335
; %bb.336:
	s_or_b32 exec_lo, exec_lo, s0
.LBB121_337:
	s_delay_alu instid0(SALU_CYCLE_1)
	s_or_b32 exec_lo, exec_lo, s4
	v_mov_b32_e32 v133, 0
	ds_load_b64 v[133:134], v133 offset:184
	s_waitcnt lgkmcnt(0)
	v_mul_f64 v[117:118], v[117:118], v[133:134]
	scratch_store_b64 off, v[117:118], off offset:184
.LBB121_338:
	s_or_b32 exec_lo, exec_lo, s3
	scratch_load_b64 v[117:118], off, off offset:176
	v_cmp_lt_u32_e64 s0, 22, v0
	s_waitcnt vmcnt(0)
	ds_store_b64 v120, v[117:118]
	s_waitcnt lgkmcnt(0)
	s_waitcnt_vscnt null, 0x0
	s_barrier
	buffer_gl0_inv
	s_and_saveexec_b32 s3, s0
	s_cbranch_execz .LBB121_348
; %bb.339:
	s_and_not1_b32 vcc_lo, exec_lo, s2
	s_cbranch_vccnz .LBB121_341
; %bb.340:
	scratch_load_b64 v[117:118], v121, off
	ds_load_b64 v[133:134], v120
	s_waitcnt vmcnt(0) lgkmcnt(0)
	v_mul_f64 v[117:118], v[117:118], v[133:134]
	s_cbranch_execz .LBB121_342
	s_branch .LBB121_343
.LBB121_341:
                                        ; implicit-def: $vgpr117_vgpr118
.LBB121_342:
	ds_load_b64 v[117:118], v120
.LBB121_343:
	s_and_saveexec_b32 s4, s1
	s_cbranch_execz .LBB121_347
; %bb.344:
	v_mov_b32_e32 v133, 0
	v_subrev_nc_u32_e32 v134, 23, v0
	s_movk_i32 s5, 0x288
	s_mov_b32 s1, 0
	s_delay_alu instid0(VALU_DEP_2)
	v_add_nc_u32_e32 v133, 0xb8, v133
.LBB121_345:                            ; =>This Inner Loop Header: Depth=1
	scratch_load_b64 v[135:136], v133, off
	v_dual_mov_b32 v137, s5 :: v_dual_add_nc_u32 v134, -1, v134
	v_add_nc_u32_e32 v133, 8, v133
	s_add_i32 s5, s5, 8
	ds_load_b64 v[137:138], v137
	v_cmp_eq_u32_e32 vcc_lo, 0, v134
	s_or_b32 s1, vcc_lo, s1
	s_waitcnt vmcnt(0) lgkmcnt(0)
	v_fma_f64 v[117:118], v[135:136], v[137:138], v[117:118]
	s_and_not1_b32 exec_lo, exec_lo, s1
	s_cbranch_execnz .LBB121_345
; %bb.346:
	s_or_b32 exec_lo, exec_lo, s1
.LBB121_347:
	s_delay_alu instid0(SALU_CYCLE_1)
	s_or_b32 exec_lo, exec_lo, s4
	v_mov_b32_e32 v133, 0
	ds_load_b64 v[133:134], v133 offset:176
	s_waitcnt lgkmcnt(0)
	v_mul_f64 v[117:118], v[117:118], v[133:134]
	scratch_store_b64 off, v[117:118], off offset:176
.LBB121_348:
	s_or_b32 exec_lo, exec_lo, s3
	scratch_load_b64 v[117:118], off, off offset:168
	v_cmp_lt_u32_e64 s1, 21, v0
	s_waitcnt vmcnt(0)
	ds_store_b64 v120, v[117:118]
	s_waitcnt lgkmcnt(0)
	s_waitcnt_vscnt null, 0x0
	s_barrier
	buffer_gl0_inv
	s_and_saveexec_b32 s3, s1
	s_cbranch_execz .LBB121_358
; %bb.349:
	s_and_not1_b32 vcc_lo, exec_lo, s2
	s_cbranch_vccnz .LBB121_351
; %bb.350:
	scratch_load_b64 v[117:118], v121, off
	ds_load_b64 v[133:134], v120
	s_waitcnt vmcnt(0) lgkmcnt(0)
	v_mul_f64 v[117:118], v[117:118], v[133:134]
	s_cbranch_execz .LBB121_352
	s_branch .LBB121_353
.LBB121_351:
                                        ; implicit-def: $vgpr117_vgpr118
.LBB121_352:
	ds_load_b64 v[117:118], v120
.LBB121_353:
	s_and_saveexec_b32 s4, s0
	s_cbranch_execz .LBB121_357
; %bb.354:
	v_subrev_nc_u32_e32 v133, 22, v0
	s_movk_i32 s5, 0x280
	s_mov_b32 s0, 0
.LBB121_355:                            ; =>This Inner Loop Header: Depth=1
	scratch_load_b64 v[134:135], v132, off
	v_dual_mov_b32 v136, s5 :: v_dual_add_nc_u32 v133, -1, v133
	v_add_nc_u32_e32 v132, 8, v132
	s_add_i32 s5, s5, 8
	ds_load_b64 v[136:137], v136
	v_cmp_eq_u32_e32 vcc_lo, 0, v133
	s_or_b32 s0, vcc_lo, s0
	s_waitcnt vmcnt(0) lgkmcnt(0)
	v_fma_f64 v[117:118], v[134:135], v[136:137], v[117:118]
	s_and_not1_b32 exec_lo, exec_lo, s0
	s_cbranch_execnz .LBB121_355
; %bb.356:
	s_or_b32 exec_lo, exec_lo, s0
.LBB121_357:
	s_delay_alu instid0(SALU_CYCLE_1)
	s_or_b32 exec_lo, exec_lo, s4
	v_mov_b32_e32 v132, 0
	ds_load_b64 v[132:133], v132 offset:168
	s_waitcnt lgkmcnt(0)
	v_mul_f64 v[117:118], v[117:118], v[132:133]
	scratch_store_b64 off, v[117:118], off offset:168
.LBB121_358:
	s_or_b32 exec_lo, exec_lo, s3
	scratch_load_b64 v[117:118], off, off offset:160
	v_cmp_lt_u32_e64 s0, 20, v0
	s_waitcnt vmcnt(0)
	ds_store_b64 v120, v[117:118]
	s_waitcnt lgkmcnt(0)
	s_waitcnt_vscnt null, 0x0
	s_barrier
	buffer_gl0_inv
	s_and_saveexec_b32 s3, s0
	s_cbranch_execz .LBB121_368
; %bb.359:
	s_and_not1_b32 vcc_lo, exec_lo, s2
	s_cbranch_vccnz .LBB121_361
; %bb.360:
	scratch_load_b64 v[117:118], v121, off
	ds_load_b64 v[132:133], v120
	s_waitcnt vmcnt(0) lgkmcnt(0)
	v_mul_f64 v[117:118], v[117:118], v[132:133]
	s_cbranch_execz .LBB121_362
	s_branch .LBB121_363
.LBB121_361:
                                        ; implicit-def: $vgpr117_vgpr118
.LBB121_362:
	ds_load_b64 v[117:118], v120
.LBB121_363:
	s_and_saveexec_b32 s4, s1
	s_cbranch_execz .LBB121_367
; %bb.364:
	v_mov_b32_e32 v132, 0
	v_subrev_nc_u32_e32 v133, 21, v0
	s_movk_i32 s5, 0x278
	s_mov_b32 s1, 0
	s_delay_alu instid0(VALU_DEP_2)
	v_add_nc_u32_e32 v132, 0xa8, v132
.LBB121_365:                            ; =>This Inner Loop Header: Depth=1
	scratch_load_b64 v[134:135], v132, off
	v_dual_mov_b32 v136, s5 :: v_dual_add_nc_u32 v133, -1, v133
	v_add_nc_u32_e32 v132, 8, v132
	s_add_i32 s5, s5, 8
	ds_load_b64 v[136:137], v136
	v_cmp_eq_u32_e32 vcc_lo, 0, v133
	s_or_b32 s1, vcc_lo, s1
	s_waitcnt vmcnt(0) lgkmcnt(0)
	v_fma_f64 v[117:118], v[134:135], v[136:137], v[117:118]
	s_and_not1_b32 exec_lo, exec_lo, s1
	s_cbranch_execnz .LBB121_365
; %bb.366:
	s_or_b32 exec_lo, exec_lo, s1
.LBB121_367:
	s_delay_alu instid0(SALU_CYCLE_1)
	s_or_b32 exec_lo, exec_lo, s4
	v_mov_b32_e32 v132, 0
	ds_load_b64 v[132:133], v132 offset:160
	s_waitcnt lgkmcnt(0)
	v_mul_f64 v[117:118], v[117:118], v[132:133]
	scratch_store_b64 off, v[117:118], off offset:160
.LBB121_368:
	s_or_b32 exec_lo, exec_lo, s3
	scratch_load_b64 v[117:118], off, off offset:152
	v_cmp_lt_u32_e64 s1, 19, v0
	s_waitcnt vmcnt(0)
	ds_store_b64 v120, v[117:118]
	s_waitcnt lgkmcnt(0)
	s_waitcnt_vscnt null, 0x0
	s_barrier
	buffer_gl0_inv
	s_and_saveexec_b32 s3, s1
	s_cbranch_execz .LBB121_378
; %bb.369:
	s_and_not1_b32 vcc_lo, exec_lo, s2
	s_cbranch_vccnz .LBB121_371
; %bb.370:
	scratch_load_b64 v[117:118], v121, off
	ds_load_b64 v[132:133], v120
	s_waitcnt vmcnt(0) lgkmcnt(0)
	v_mul_f64 v[117:118], v[117:118], v[132:133]
	s_cbranch_execz .LBB121_372
	s_branch .LBB121_373
.LBB121_371:
                                        ; implicit-def: $vgpr117_vgpr118
.LBB121_372:
	ds_load_b64 v[117:118], v120
.LBB121_373:
	s_and_saveexec_b32 s4, s0
	s_cbranch_execz .LBB121_377
; %bb.374:
	v_subrev_nc_u32_e32 v132, 20, v0
	s_movk_i32 s5, 0x270
	s_mov_b32 s0, 0
.LBB121_375:                            ; =>This Inner Loop Header: Depth=1
	scratch_load_b64 v[133:134], v131, off
	v_dual_mov_b32 v135, s5 :: v_dual_add_nc_u32 v132, -1, v132
	v_add_nc_u32_e32 v131, 8, v131
	s_add_i32 s5, s5, 8
	ds_load_b64 v[135:136], v135
	v_cmp_eq_u32_e32 vcc_lo, 0, v132
	s_or_b32 s0, vcc_lo, s0
	s_waitcnt vmcnt(0) lgkmcnt(0)
	v_fma_f64 v[117:118], v[133:134], v[135:136], v[117:118]
	s_and_not1_b32 exec_lo, exec_lo, s0
	s_cbranch_execnz .LBB121_375
; %bb.376:
	s_or_b32 exec_lo, exec_lo, s0
.LBB121_377:
	s_delay_alu instid0(SALU_CYCLE_1)
	s_or_b32 exec_lo, exec_lo, s4
	v_mov_b32_e32 v131, 0
	ds_load_b64 v[131:132], v131 offset:152
	s_waitcnt lgkmcnt(0)
	v_mul_f64 v[117:118], v[117:118], v[131:132]
	scratch_store_b64 off, v[117:118], off offset:152
.LBB121_378:
	s_or_b32 exec_lo, exec_lo, s3
	scratch_load_b64 v[117:118], off, off offset:144
	v_cmp_lt_u32_e64 s0, 18, v0
	s_waitcnt vmcnt(0)
	ds_store_b64 v120, v[117:118]
	s_waitcnt lgkmcnt(0)
	s_waitcnt_vscnt null, 0x0
	s_barrier
	buffer_gl0_inv
	s_and_saveexec_b32 s3, s0
	s_cbranch_execz .LBB121_388
; %bb.379:
	s_and_not1_b32 vcc_lo, exec_lo, s2
	s_cbranch_vccnz .LBB121_381
; %bb.380:
	scratch_load_b64 v[117:118], v121, off
	ds_load_b64 v[131:132], v120
	s_waitcnt vmcnt(0) lgkmcnt(0)
	v_mul_f64 v[117:118], v[117:118], v[131:132]
	s_cbranch_execz .LBB121_382
	s_branch .LBB121_383
.LBB121_381:
                                        ; implicit-def: $vgpr117_vgpr118
.LBB121_382:
	ds_load_b64 v[117:118], v120
.LBB121_383:
	s_and_saveexec_b32 s4, s1
	s_cbranch_execz .LBB121_387
; %bb.384:
	v_mov_b32_e32 v131, 0
	v_subrev_nc_u32_e32 v132, 19, v0
	s_movk_i32 s5, 0x268
	s_mov_b32 s1, 0
	s_delay_alu instid0(VALU_DEP_2)
	v_add_nc_u32_e32 v131, 0x98, v131
.LBB121_385:                            ; =>This Inner Loop Header: Depth=1
	scratch_load_b64 v[133:134], v131, off
	v_dual_mov_b32 v135, s5 :: v_dual_add_nc_u32 v132, -1, v132
	v_add_nc_u32_e32 v131, 8, v131
	s_add_i32 s5, s5, 8
	ds_load_b64 v[135:136], v135
	v_cmp_eq_u32_e32 vcc_lo, 0, v132
	s_or_b32 s1, vcc_lo, s1
	s_waitcnt vmcnt(0) lgkmcnt(0)
	v_fma_f64 v[117:118], v[133:134], v[135:136], v[117:118]
	s_and_not1_b32 exec_lo, exec_lo, s1
	s_cbranch_execnz .LBB121_385
; %bb.386:
	s_or_b32 exec_lo, exec_lo, s1
.LBB121_387:
	s_delay_alu instid0(SALU_CYCLE_1)
	s_or_b32 exec_lo, exec_lo, s4
	v_mov_b32_e32 v131, 0
	ds_load_b64 v[131:132], v131 offset:144
	s_waitcnt lgkmcnt(0)
	v_mul_f64 v[117:118], v[117:118], v[131:132]
	scratch_store_b64 off, v[117:118], off offset:144
.LBB121_388:
	s_or_b32 exec_lo, exec_lo, s3
	scratch_load_b64 v[117:118], off, off offset:136
	v_cmp_lt_u32_e64 s1, 17, v0
	s_waitcnt vmcnt(0)
	ds_store_b64 v120, v[117:118]
	s_waitcnt lgkmcnt(0)
	s_waitcnt_vscnt null, 0x0
	s_barrier
	buffer_gl0_inv
	s_and_saveexec_b32 s3, s1
	s_cbranch_execz .LBB121_398
; %bb.389:
	s_and_not1_b32 vcc_lo, exec_lo, s2
	s_cbranch_vccnz .LBB121_391
; %bb.390:
	scratch_load_b64 v[117:118], v121, off
	ds_load_b64 v[131:132], v120
	s_waitcnt vmcnt(0) lgkmcnt(0)
	v_mul_f64 v[117:118], v[117:118], v[131:132]
	s_cbranch_execz .LBB121_392
	s_branch .LBB121_393
.LBB121_391:
                                        ; implicit-def: $vgpr117_vgpr118
.LBB121_392:
	ds_load_b64 v[117:118], v120
.LBB121_393:
	s_and_saveexec_b32 s4, s0
	s_cbranch_execz .LBB121_397
; %bb.394:
	v_subrev_nc_u32_e32 v131, 18, v0
	s_movk_i32 s5, 0x260
	s_mov_b32 s0, 0
.LBB121_395:                            ; =>This Inner Loop Header: Depth=1
	scratch_load_b64 v[132:133], v130, off
	v_dual_mov_b32 v134, s5 :: v_dual_add_nc_u32 v131, -1, v131
	v_add_nc_u32_e32 v130, 8, v130
	s_add_i32 s5, s5, 8
	ds_load_b64 v[134:135], v134
	v_cmp_eq_u32_e32 vcc_lo, 0, v131
	s_or_b32 s0, vcc_lo, s0
	s_waitcnt vmcnt(0) lgkmcnt(0)
	v_fma_f64 v[117:118], v[132:133], v[134:135], v[117:118]
	s_and_not1_b32 exec_lo, exec_lo, s0
	s_cbranch_execnz .LBB121_395
; %bb.396:
	s_or_b32 exec_lo, exec_lo, s0
.LBB121_397:
	s_delay_alu instid0(SALU_CYCLE_1)
	s_or_b32 exec_lo, exec_lo, s4
	v_mov_b32_e32 v130, 0
	ds_load_b64 v[130:131], v130 offset:136
	s_waitcnt lgkmcnt(0)
	v_mul_f64 v[117:118], v[117:118], v[130:131]
	scratch_store_b64 off, v[117:118], off offset:136
.LBB121_398:
	s_or_b32 exec_lo, exec_lo, s3
	scratch_load_b64 v[117:118], off, off offset:128
	v_cmp_lt_u32_e64 s0, 16, v0
	s_waitcnt vmcnt(0)
	ds_store_b64 v120, v[117:118]
	s_waitcnt lgkmcnt(0)
	s_waitcnt_vscnt null, 0x0
	s_barrier
	buffer_gl0_inv
	s_and_saveexec_b32 s3, s0
	s_cbranch_execz .LBB121_408
; %bb.399:
	s_and_not1_b32 vcc_lo, exec_lo, s2
	s_cbranch_vccnz .LBB121_401
; %bb.400:
	scratch_load_b64 v[117:118], v121, off
	ds_load_b64 v[130:131], v120
	s_waitcnt vmcnt(0) lgkmcnt(0)
	v_mul_f64 v[117:118], v[117:118], v[130:131]
	s_cbranch_execz .LBB121_402
	s_branch .LBB121_403
.LBB121_401:
                                        ; implicit-def: $vgpr117_vgpr118
.LBB121_402:
	ds_load_b64 v[117:118], v120
.LBB121_403:
	s_and_saveexec_b32 s4, s1
	s_cbranch_execz .LBB121_407
; %bb.404:
	v_mov_b32_e32 v130, 0
	v_subrev_nc_u32_e32 v131, 17, v0
	s_movk_i32 s5, 0x258
	s_mov_b32 s1, 0
	s_delay_alu instid0(VALU_DEP_2)
	v_add_nc_u32_e32 v130, 0x88, v130
.LBB121_405:                            ; =>This Inner Loop Header: Depth=1
	scratch_load_b64 v[132:133], v130, off
	v_dual_mov_b32 v134, s5 :: v_dual_add_nc_u32 v131, -1, v131
	v_add_nc_u32_e32 v130, 8, v130
	s_add_i32 s5, s5, 8
	ds_load_b64 v[134:135], v134
	v_cmp_eq_u32_e32 vcc_lo, 0, v131
	s_or_b32 s1, vcc_lo, s1
	s_waitcnt vmcnt(0) lgkmcnt(0)
	v_fma_f64 v[117:118], v[132:133], v[134:135], v[117:118]
	s_and_not1_b32 exec_lo, exec_lo, s1
	s_cbranch_execnz .LBB121_405
; %bb.406:
	s_or_b32 exec_lo, exec_lo, s1
.LBB121_407:
	s_delay_alu instid0(SALU_CYCLE_1)
	s_or_b32 exec_lo, exec_lo, s4
	v_mov_b32_e32 v130, 0
	ds_load_b64 v[130:131], v130 offset:128
	s_waitcnt lgkmcnt(0)
	v_mul_f64 v[117:118], v[117:118], v[130:131]
	scratch_store_b64 off, v[117:118], off offset:128
.LBB121_408:
	s_or_b32 exec_lo, exec_lo, s3
	scratch_load_b64 v[117:118], off, off offset:120
	v_cmp_lt_u32_e64 s1, 15, v0
	s_waitcnt vmcnt(0)
	ds_store_b64 v120, v[117:118]
	s_waitcnt lgkmcnt(0)
	s_waitcnt_vscnt null, 0x0
	s_barrier
	buffer_gl0_inv
	s_and_saveexec_b32 s3, s1
	s_cbranch_execz .LBB121_418
; %bb.409:
	s_and_not1_b32 vcc_lo, exec_lo, s2
	s_cbranch_vccnz .LBB121_411
; %bb.410:
	scratch_load_b64 v[117:118], v121, off
	ds_load_b64 v[130:131], v120
	s_waitcnt vmcnt(0) lgkmcnt(0)
	v_mul_f64 v[117:118], v[117:118], v[130:131]
	s_cbranch_execz .LBB121_412
	s_branch .LBB121_413
.LBB121_411:
                                        ; implicit-def: $vgpr117_vgpr118
.LBB121_412:
	ds_load_b64 v[117:118], v120
.LBB121_413:
	s_and_saveexec_b32 s4, s0
	s_cbranch_execz .LBB121_417
; %bb.414:
	v_add_nc_u32_e32 v130, -16, v0
	s_movk_i32 s5, 0x250
	s_mov_b32 s0, 0
.LBB121_415:                            ; =>This Inner Loop Header: Depth=1
	scratch_load_b64 v[131:132], v129, off
	v_dual_mov_b32 v133, s5 :: v_dual_add_nc_u32 v130, -1, v130
	v_add_nc_u32_e32 v129, 8, v129
	s_add_i32 s5, s5, 8
	ds_load_b64 v[133:134], v133
	v_cmp_eq_u32_e32 vcc_lo, 0, v130
	s_or_b32 s0, vcc_lo, s0
	s_waitcnt vmcnt(0) lgkmcnt(0)
	v_fma_f64 v[117:118], v[131:132], v[133:134], v[117:118]
	s_and_not1_b32 exec_lo, exec_lo, s0
	s_cbranch_execnz .LBB121_415
; %bb.416:
	s_or_b32 exec_lo, exec_lo, s0
.LBB121_417:
	s_delay_alu instid0(SALU_CYCLE_1)
	s_or_b32 exec_lo, exec_lo, s4
	v_mov_b32_e32 v129, 0
	ds_load_b64 v[129:130], v129 offset:120
	s_waitcnt lgkmcnt(0)
	v_mul_f64 v[117:118], v[117:118], v[129:130]
	scratch_store_b64 off, v[117:118], off offset:120
.LBB121_418:
	s_or_b32 exec_lo, exec_lo, s3
	scratch_load_b64 v[117:118], off, off offset:112
	v_cmp_lt_u32_e64 s0, 14, v0
	s_waitcnt vmcnt(0)
	ds_store_b64 v120, v[117:118]
	s_waitcnt lgkmcnt(0)
	s_waitcnt_vscnt null, 0x0
	s_barrier
	buffer_gl0_inv
	s_and_saveexec_b32 s3, s0
	s_cbranch_execz .LBB121_428
; %bb.419:
	s_and_not1_b32 vcc_lo, exec_lo, s2
	s_cbranch_vccnz .LBB121_421
; %bb.420:
	scratch_load_b64 v[117:118], v121, off
	ds_load_b64 v[129:130], v120
	s_waitcnt vmcnt(0) lgkmcnt(0)
	v_mul_f64 v[117:118], v[117:118], v[129:130]
	s_cbranch_execz .LBB121_422
	s_branch .LBB121_423
.LBB121_421:
                                        ; implicit-def: $vgpr117_vgpr118
.LBB121_422:
	ds_load_b64 v[117:118], v120
.LBB121_423:
	s_and_saveexec_b32 s4, s1
	s_cbranch_execz .LBB121_427
; %bb.424:
	v_dual_mov_b32 v129, 0 :: v_dual_add_nc_u32 v130, -15, v0
	s_movk_i32 s5, 0x248
	s_mov_b32 s1, 0
	s_delay_alu instid0(VALU_DEP_1)
	v_add_nc_u32_e32 v129, 0x78, v129
.LBB121_425:                            ; =>This Inner Loop Header: Depth=1
	scratch_load_b64 v[131:132], v129, off
	v_dual_mov_b32 v133, s5 :: v_dual_add_nc_u32 v130, -1, v130
	v_add_nc_u32_e32 v129, 8, v129
	s_add_i32 s5, s5, 8
	ds_load_b64 v[133:134], v133
	v_cmp_eq_u32_e32 vcc_lo, 0, v130
	s_or_b32 s1, vcc_lo, s1
	s_waitcnt vmcnt(0) lgkmcnt(0)
	v_fma_f64 v[117:118], v[131:132], v[133:134], v[117:118]
	s_and_not1_b32 exec_lo, exec_lo, s1
	s_cbranch_execnz .LBB121_425
; %bb.426:
	s_or_b32 exec_lo, exec_lo, s1
.LBB121_427:
	s_delay_alu instid0(SALU_CYCLE_1)
	s_or_b32 exec_lo, exec_lo, s4
	v_mov_b32_e32 v129, 0
	ds_load_b64 v[129:130], v129 offset:112
	s_waitcnt lgkmcnt(0)
	v_mul_f64 v[117:118], v[117:118], v[129:130]
	scratch_store_b64 off, v[117:118], off offset:112
.LBB121_428:
	s_or_b32 exec_lo, exec_lo, s3
	scratch_load_b64 v[117:118], off, off offset:104
	v_cmp_lt_u32_e64 s1, 13, v0
	s_waitcnt vmcnt(0)
	ds_store_b64 v120, v[117:118]
	s_waitcnt lgkmcnt(0)
	s_waitcnt_vscnt null, 0x0
	s_barrier
	buffer_gl0_inv
	s_and_saveexec_b32 s3, s1
	s_cbranch_execz .LBB121_438
; %bb.429:
	s_and_not1_b32 vcc_lo, exec_lo, s2
	s_cbranch_vccnz .LBB121_431
; %bb.430:
	scratch_load_b64 v[117:118], v121, off
	ds_load_b64 v[129:130], v120
	s_waitcnt vmcnt(0) lgkmcnt(0)
	v_mul_f64 v[117:118], v[117:118], v[129:130]
	s_cbranch_execz .LBB121_432
	s_branch .LBB121_433
.LBB121_431:
                                        ; implicit-def: $vgpr117_vgpr118
.LBB121_432:
	ds_load_b64 v[117:118], v120
.LBB121_433:
	s_and_saveexec_b32 s4, s0
	s_cbranch_execz .LBB121_437
; %bb.434:
	v_add_nc_u32_e32 v129, -14, v0
	s_movk_i32 s5, 0x240
	s_mov_b32 s0, 0
.LBB121_435:                            ; =>This Inner Loop Header: Depth=1
	scratch_load_b64 v[130:131], v128, off
	v_dual_mov_b32 v132, s5 :: v_dual_add_nc_u32 v129, -1, v129
	v_add_nc_u32_e32 v128, 8, v128
	s_add_i32 s5, s5, 8
	ds_load_b64 v[132:133], v132
	v_cmp_eq_u32_e32 vcc_lo, 0, v129
	s_or_b32 s0, vcc_lo, s0
	s_waitcnt vmcnt(0) lgkmcnt(0)
	v_fma_f64 v[117:118], v[130:131], v[132:133], v[117:118]
	s_and_not1_b32 exec_lo, exec_lo, s0
	s_cbranch_execnz .LBB121_435
; %bb.436:
	s_or_b32 exec_lo, exec_lo, s0
.LBB121_437:
	s_delay_alu instid0(SALU_CYCLE_1)
	s_or_b32 exec_lo, exec_lo, s4
	v_mov_b32_e32 v128, 0
	ds_load_b64 v[128:129], v128 offset:104
	s_waitcnt lgkmcnt(0)
	v_mul_f64 v[117:118], v[117:118], v[128:129]
	scratch_store_b64 off, v[117:118], off offset:104
.LBB121_438:
	s_or_b32 exec_lo, exec_lo, s3
	scratch_load_b64 v[117:118], off, off offset:96
	v_cmp_lt_u32_e64 s0, 12, v0
	s_waitcnt vmcnt(0)
	ds_store_b64 v120, v[117:118]
	s_waitcnt lgkmcnt(0)
	s_waitcnt_vscnt null, 0x0
	s_barrier
	buffer_gl0_inv
	s_and_saveexec_b32 s3, s0
	s_cbranch_execz .LBB121_448
; %bb.439:
	s_and_not1_b32 vcc_lo, exec_lo, s2
	s_cbranch_vccnz .LBB121_441
; %bb.440:
	scratch_load_b64 v[117:118], v121, off
	ds_load_b64 v[128:129], v120
	s_waitcnt vmcnt(0) lgkmcnt(0)
	v_mul_f64 v[117:118], v[117:118], v[128:129]
	s_cbranch_execz .LBB121_442
	s_branch .LBB121_443
.LBB121_441:
                                        ; implicit-def: $vgpr117_vgpr118
.LBB121_442:
	ds_load_b64 v[117:118], v120
.LBB121_443:
	s_and_saveexec_b32 s4, s1
	s_cbranch_execz .LBB121_447
; %bb.444:
	v_dual_mov_b32 v128, 0 :: v_dual_add_nc_u32 v129, -13, v0
	s_movk_i32 s5, 0x238
	s_mov_b32 s1, 0
	s_delay_alu instid0(VALU_DEP_1)
	v_add_nc_u32_e32 v128, 0x68, v128
.LBB121_445:                            ; =>This Inner Loop Header: Depth=1
	scratch_load_b64 v[130:131], v128, off
	v_dual_mov_b32 v132, s5 :: v_dual_add_nc_u32 v129, -1, v129
	v_add_nc_u32_e32 v128, 8, v128
	s_add_i32 s5, s5, 8
	ds_load_b64 v[132:133], v132
	v_cmp_eq_u32_e32 vcc_lo, 0, v129
	s_or_b32 s1, vcc_lo, s1
	s_waitcnt vmcnt(0) lgkmcnt(0)
	v_fma_f64 v[117:118], v[130:131], v[132:133], v[117:118]
	s_and_not1_b32 exec_lo, exec_lo, s1
	s_cbranch_execnz .LBB121_445
; %bb.446:
	s_or_b32 exec_lo, exec_lo, s1
.LBB121_447:
	s_delay_alu instid0(SALU_CYCLE_1)
	s_or_b32 exec_lo, exec_lo, s4
	v_mov_b32_e32 v128, 0
	ds_load_b64 v[128:129], v128 offset:96
	s_waitcnt lgkmcnt(0)
	v_mul_f64 v[117:118], v[117:118], v[128:129]
	scratch_store_b64 off, v[117:118], off offset:96
.LBB121_448:
	s_or_b32 exec_lo, exec_lo, s3
	scratch_load_b64 v[117:118], off, off offset:88
	v_cmp_lt_u32_e64 s1, 11, v0
	s_waitcnt vmcnt(0)
	ds_store_b64 v120, v[117:118]
	s_waitcnt lgkmcnt(0)
	s_waitcnt_vscnt null, 0x0
	s_barrier
	buffer_gl0_inv
	s_and_saveexec_b32 s3, s1
	s_cbranch_execz .LBB121_458
; %bb.449:
	s_and_not1_b32 vcc_lo, exec_lo, s2
	s_cbranch_vccnz .LBB121_451
; %bb.450:
	scratch_load_b64 v[117:118], v121, off
	ds_load_b64 v[128:129], v120
	s_waitcnt vmcnt(0) lgkmcnt(0)
	v_mul_f64 v[117:118], v[117:118], v[128:129]
	s_cbranch_execz .LBB121_452
	s_branch .LBB121_453
.LBB121_451:
                                        ; implicit-def: $vgpr117_vgpr118
.LBB121_452:
	ds_load_b64 v[117:118], v120
.LBB121_453:
	s_and_saveexec_b32 s4, s0
	s_cbranch_execz .LBB121_457
; %bb.454:
	v_add_nc_u32_e32 v128, -12, v0
	s_movk_i32 s5, 0x230
	s_mov_b32 s0, 0
.LBB121_455:                            ; =>This Inner Loop Header: Depth=1
	scratch_load_b64 v[129:130], v127, off
	v_dual_mov_b32 v131, s5 :: v_dual_add_nc_u32 v128, -1, v128
	v_add_nc_u32_e32 v127, 8, v127
	s_add_i32 s5, s5, 8
	ds_load_b64 v[131:132], v131
	v_cmp_eq_u32_e32 vcc_lo, 0, v128
	s_or_b32 s0, vcc_lo, s0
	s_waitcnt vmcnt(0) lgkmcnt(0)
	v_fma_f64 v[117:118], v[129:130], v[131:132], v[117:118]
	s_and_not1_b32 exec_lo, exec_lo, s0
	s_cbranch_execnz .LBB121_455
; %bb.456:
	s_or_b32 exec_lo, exec_lo, s0
.LBB121_457:
	s_delay_alu instid0(SALU_CYCLE_1)
	s_or_b32 exec_lo, exec_lo, s4
	v_mov_b32_e32 v127, 0
	ds_load_b64 v[127:128], v127 offset:88
	s_waitcnt lgkmcnt(0)
	v_mul_f64 v[117:118], v[117:118], v[127:128]
	scratch_store_b64 off, v[117:118], off offset:88
.LBB121_458:
	s_or_b32 exec_lo, exec_lo, s3
	scratch_load_b64 v[117:118], off, off offset:80
	v_cmp_lt_u32_e64 s0, 10, v0
	s_waitcnt vmcnt(0)
	ds_store_b64 v120, v[117:118]
	s_waitcnt lgkmcnt(0)
	s_waitcnt_vscnt null, 0x0
	s_barrier
	buffer_gl0_inv
	s_and_saveexec_b32 s3, s0
	s_cbranch_execz .LBB121_468
; %bb.459:
	s_and_not1_b32 vcc_lo, exec_lo, s2
	s_cbranch_vccnz .LBB121_461
; %bb.460:
	scratch_load_b64 v[117:118], v121, off
	ds_load_b64 v[127:128], v120
	s_waitcnt vmcnt(0) lgkmcnt(0)
	v_mul_f64 v[117:118], v[117:118], v[127:128]
	s_cbranch_execz .LBB121_462
	s_branch .LBB121_463
.LBB121_461:
                                        ; implicit-def: $vgpr117_vgpr118
.LBB121_462:
	ds_load_b64 v[117:118], v120
.LBB121_463:
	s_and_saveexec_b32 s4, s1
	s_cbranch_execz .LBB121_467
; %bb.464:
	v_dual_mov_b32 v127, 0 :: v_dual_add_nc_u32 v128, -11, v0
	s_movk_i32 s5, 0x228
	s_mov_b32 s1, 0
	s_delay_alu instid0(VALU_DEP_1)
	v_add_nc_u32_e32 v127, 0x58, v127
.LBB121_465:                            ; =>This Inner Loop Header: Depth=1
	scratch_load_b64 v[129:130], v127, off
	v_dual_mov_b32 v131, s5 :: v_dual_add_nc_u32 v128, -1, v128
	v_add_nc_u32_e32 v127, 8, v127
	s_add_i32 s5, s5, 8
	ds_load_b64 v[131:132], v131
	v_cmp_eq_u32_e32 vcc_lo, 0, v128
	s_or_b32 s1, vcc_lo, s1
	s_waitcnt vmcnt(0) lgkmcnt(0)
	v_fma_f64 v[117:118], v[129:130], v[131:132], v[117:118]
	s_and_not1_b32 exec_lo, exec_lo, s1
	s_cbranch_execnz .LBB121_465
; %bb.466:
	s_or_b32 exec_lo, exec_lo, s1
.LBB121_467:
	s_delay_alu instid0(SALU_CYCLE_1)
	s_or_b32 exec_lo, exec_lo, s4
	v_mov_b32_e32 v127, 0
	ds_load_b64 v[127:128], v127 offset:80
	s_waitcnt lgkmcnt(0)
	v_mul_f64 v[117:118], v[117:118], v[127:128]
	scratch_store_b64 off, v[117:118], off offset:80
.LBB121_468:
	s_or_b32 exec_lo, exec_lo, s3
	scratch_load_b64 v[117:118], off, off offset:72
	v_cmp_lt_u32_e64 s1, 9, v0
	s_waitcnt vmcnt(0)
	ds_store_b64 v120, v[117:118]
	s_waitcnt lgkmcnt(0)
	s_waitcnt_vscnt null, 0x0
	s_barrier
	buffer_gl0_inv
	s_and_saveexec_b32 s3, s1
	s_cbranch_execz .LBB121_478
; %bb.469:
	s_and_not1_b32 vcc_lo, exec_lo, s2
	s_cbranch_vccnz .LBB121_471
; %bb.470:
	scratch_load_b64 v[117:118], v121, off
	ds_load_b64 v[127:128], v120
	s_waitcnt vmcnt(0) lgkmcnt(0)
	v_mul_f64 v[117:118], v[117:118], v[127:128]
	s_cbranch_execz .LBB121_472
	s_branch .LBB121_473
.LBB121_471:
                                        ; implicit-def: $vgpr117_vgpr118
.LBB121_472:
	ds_load_b64 v[117:118], v120
.LBB121_473:
	s_and_saveexec_b32 s4, s0
	s_cbranch_execz .LBB121_477
; %bb.474:
	v_add_nc_u32_e32 v127, -10, v0
	s_movk_i32 s5, 0x220
	s_mov_b32 s0, 0
.LBB121_475:                            ; =>This Inner Loop Header: Depth=1
	scratch_load_b64 v[128:129], v126, off
	v_dual_mov_b32 v130, s5 :: v_dual_add_nc_u32 v127, -1, v127
	v_add_nc_u32_e32 v126, 8, v126
	s_add_i32 s5, s5, 8
	ds_load_b64 v[130:131], v130
	v_cmp_eq_u32_e32 vcc_lo, 0, v127
	s_or_b32 s0, vcc_lo, s0
	s_waitcnt vmcnt(0) lgkmcnt(0)
	v_fma_f64 v[117:118], v[128:129], v[130:131], v[117:118]
	s_and_not1_b32 exec_lo, exec_lo, s0
	s_cbranch_execnz .LBB121_475
; %bb.476:
	s_or_b32 exec_lo, exec_lo, s0
.LBB121_477:
	s_delay_alu instid0(SALU_CYCLE_1)
	s_or_b32 exec_lo, exec_lo, s4
	v_mov_b32_e32 v126, 0
	ds_load_b64 v[126:127], v126 offset:72
	s_waitcnt lgkmcnt(0)
	v_mul_f64 v[117:118], v[117:118], v[126:127]
	scratch_store_b64 off, v[117:118], off offset:72
.LBB121_478:
	s_or_b32 exec_lo, exec_lo, s3
	scratch_load_b64 v[117:118], off, off offset:64
	v_cmp_lt_u32_e64 s0, 8, v0
	s_waitcnt vmcnt(0)
	ds_store_b64 v120, v[117:118]
	s_waitcnt lgkmcnt(0)
	s_waitcnt_vscnt null, 0x0
	s_barrier
	buffer_gl0_inv
	s_and_saveexec_b32 s3, s0
	s_cbranch_execz .LBB121_488
; %bb.479:
	s_and_not1_b32 vcc_lo, exec_lo, s2
	s_cbranch_vccnz .LBB121_481
; %bb.480:
	scratch_load_b64 v[117:118], v121, off
	ds_load_b64 v[126:127], v120
	s_waitcnt vmcnt(0) lgkmcnt(0)
	v_mul_f64 v[117:118], v[117:118], v[126:127]
	s_cbranch_execz .LBB121_482
	s_branch .LBB121_483
.LBB121_481:
                                        ; implicit-def: $vgpr117_vgpr118
.LBB121_482:
	ds_load_b64 v[117:118], v120
.LBB121_483:
	s_and_saveexec_b32 s4, s1
	s_cbranch_execz .LBB121_487
; %bb.484:
	v_dual_mov_b32 v126, 0 :: v_dual_add_nc_u32 v127, -9, v0
	s_movk_i32 s5, 0x218
	s_mov_b32 s1, 0
	s_delay_alu instid0(VALU_DEP_1)
	v_add_nc_u32_e32 v126, 0x48, v126
.LBB121_485:                            ; =>This Inner Loop Header: Depth=1
	scratch_load_b64 v[128:129], v126, off
	v_dual_mov_b32 v130, s5 :: v_dual_add_nc_u32 v127, -1, v127
	v_add_nc_u32_e32 v126, 8, v126
	s_add_i32 s5, s5, 8
	ds_load_b64 v[130:131], v130
	v_cmp_eq_u32_e32 vcc_lo, 0, v127
	s_or_b32 s1, vcc_lo, s1
	s_waitcnt vmcnt(0) lgkmcnt(0)
	v_fma_f64 v[117:118], v[128:129], v[130:131], v[117:118]
	s_and_not1_b32 exec_lo, exec_lo, s1
	s_cbranch_execnz .LBB121_485
; %bb.486:
	s_or_b32 exec_lo, exec_lo, s1
.LBB121_487:
	s_delay_alu instid0(SALU_CYCLE_1)
	s_or_b32 exec_lo, exec_lo, s4
	v_mov_b32_e32 v126, 0
	ds_load_b64 v[126:127], v126 offset:64
	s_waitcnt lgkmcnt(0)
	v_mul_f64 v[117:118], v[117:118], v[126:127]
	scratch_store_b64 off, v[117:118], off offset:64
.LBB121_488:
	s_or_b32 exec_lo, exec_lo, s3
	scratch_load_b64 v[117:118], off, off offset:56
	v_cmp_lt_u32_e64 s1, 7, v0
	s_waitcnt vmcnt(0)
	ds_store_b64 v120, v[117:118]
	s_waitcnt lgkmcnt(0)
	s_waitcnt_vscnt null, 0x0
	s_barrier
	buffer_gl0_inv
	s_and_saveexec_b32 s3, s1
	s_cbranch_execz .LBB121_498
; %bb.489:
	s_and_not1_b32 vcc_lo, exec_lo, s2
	s_cbranch_vccnz .LBB121_491
; %bb.490:
	scratch_load_b64 v[117:118], v121, off
	ds_load_b64 v[126:127], v120
	s_waitcnt vmcnt(0) lgkmcnt(0)
	v_mul_f64 v[117:118], v[117:118], v[126:127]
	s_cbranch_execz .LBB121_492
	s_branch .LBB121_493
.LBB121_491:
                                        ; implicit-def: $vgpr117_vgpr118
.LBB121_492:
	ds_load_b64 v[117:118], v120
.LBB121_493:
	s_and_saveexec_b32 s4, s0
	s_cbranch_execz .LBB121_497
; %bb.494:
	v_add_nc_u32_e32 v126, -8, v0
	s_movk_i32 s5, 0x210
	s_mov_b32 s0, 0
.LBB121_495:                            ; =>This Inner Loop Header: Depth=1
	scratch_load_b64 v[127:128], v125, off
	v_dual_mov_b32 v129, s5 :: v_dual_add_nc_u32 v126, -1, v126
	v_add_nc_u32_e32 v125, 8, v125
	s_add_i32 s5, s5, 8
	ds_load_b64 v[129:130], v129
	v_cmp_eq_u32_e32 vcc_lo, 0, v126
	s_or_b32 s0, vcc_lo, s0
	s_waitcnt vmcnt(0) lgkmcnt(0)
	v_fma_f64 v[117:118], v[127:128], v[129:130], v[117:118]
	s_and_not1_b32 exec_lo, exec_lo, s0
	s_cbranch_execnz .LBB121_495
; %bb.496:
	s_or_b32 exec_lo, exec_lo, s0
.LBB121_497:
	s_delay_alu instid0(SALU_CYCLE_1)
	s_or_b32 exec_lo, exec_lo, s4
	v_mov_b32_e32 v125, 0
	ds_load_b64 v[125:126], v125 offset:56
	s_waitcnt lgkmcnt(0)
	v_mul_f64 v[117:118], v[117:118], v[125:126]
	scratch_store_b64 off, v[117:118], off offset:56
.LBB121_498:
	s_or_b32 exec_lo, exec_lo, s3
	scratch_load_b64 v[117:118], off, off offset:48
	v_cmp_lt_u32_e64 s0, 6, v0
	s_waitcnt vmcnt(0)
	ds_store_b64 v120, v[117:118]
	s_waitcnt lgkmcnt(0)
	s_waitcnt_vscnt null, 0x0
	s_barrier
	buffer_gl0_inv
	s_and_saveexec_b32 s3, s0
	s_cbranch_execz .LBB121_508
; %bb.499:
	s_and_not1_b32 vcc_lo, exec_lo, s2
	s_cbranch_vccnz .LBB121_501
; %bb.500:
	scratch_load_b64 v[117:118], v121, off
	ds_load_b64 v[125:126], v120
	s_waitcnt vmcnt(0) lgkmcnt(0)
	v_mul_f64 v[117:118], v[117:118], v[125:126]
	s_cbranch_execz .LBB121_502
	s_branch .LBB121_503
.LBB121_501:
                                        ; implicit-def: $vgpr117_vgpr118
.LBB121_502:
	ds_load_b64 v[117:118], v120
.LBB121_503:
	s_and_saveexec_b32 s4, s1
	s_cbranch_execz .LBB121_507
; %bb.504:
	v_add_nc_u32_e64 v125, 0, 56
	v_add_nc_u32_e32 v126, -7, v0
	s_movk_i32 s5, 0x208
	s_mov_b32 s1, 0
.LBB121_505:                            ; =>This Inner Loop Header: Depth=1
	scratch_load_b64 v[127:128], v125, off
	v_dual_mov_b32 v129, s5 :: v_dual_add_nc_u32 v126, -1, v126
	v_add_nc_u32_e32 v125, 8, v125
	s_add_i32 s5, s5, 8
	ds_load_b64 v[129:130], v129
	v_cmp_eq_u32_e32 vcc_lo, 0, v126
	s_or_b32 s1, vcc_lo, s1
	s_waitcnt vmcnt(0) lgkmcnt(0)
	v_fma_f64 v[117:118], v[127:128], v[129:130], v[117:118]
	s_and_not1_b32 exec_lo, exec_lo, s1
	s_cbranch_execnz .LBB121_505
; %bb.506:
	s_or_b32 exec_lo, exec_lo, s1
.LBB121_507:
	s_delay_alu instid0(SALU_CYCLE_1)
	s_or_b32 exec_lo, exec_lo, s4
	v_mov_b32_e32 v125, 0
	ds_load_b64 v[125:126], v125 offset:48
	s_waitcnt lgkmcnt(0)
	v_mul_f64 v[117:118], v[117:118], v[125:126]
	scratch_store_b64 off, v[117:118], off offset:48
.LBB121_508:
	s_or_b32 exec_lo, exec_lo, s3
	scratch_load_b64 v[117:118], off, off offset:40
	v_cmp_lt_u32_e64 s1, 5, v0
	s_waitcnt vmcnt(0)
	ds_store_b64 v120, v[117:118]
	s_waitcnt lgkmcnt(0)
	s_waitcnt_vscnt null, 0x0
	s_barrier
	buffer_gl0_inv
	s_and_saveexec_b32 s3, s1
	s_cbranch_execz .LBB121_518
; %bb.509:
	s_and_not1_b32 vcc_lo, exec_lo, s2
	s_cbranch_vccnz .LBB121_511
; %bb.510:
	scratch_load_b64 v[117:118], v121, off
	ds_load_b64 v[125:126], v120
	s_waitcnt vmcnt(0) lgkmcnt(0)
	v_mul_f64 v[117:118], v[117:118], v[125:126]
	s_cbranch_execz .LBB121_512
	s_branch .LBB121_513
.LBB121_511:
                                        ; implicit-def: $vgpr117_vgpr118
.LBB121_512:
	ds_load_b64 v[117:118], v120
.LBB121_513:
	s_and_saveexec_b32 s4, s0
	s_cbranch_execz .LBB121_517
; %bb.514:
	v_add_nc_u32_e32 v125, -6, v0
	s_movk_i32 s5, 0x200
	s_mov_b32 s0, 0
.LBB121_515:                            ; =>This Inner Loop Header: Depth=1
	scratch_load_b64 v[126:127], v124, off
	v_dual_mov_b32 v128, s5 :: v_dual_add_nc_u32 v125, -1, v125
	v_add_nc_u32_e32 v124, 8, v124
	s_add_i32 s5, s5, 8
	ds_load_b64 v[128:129], v128
	v_cmp_eq_u32_e32 vcc_lo, 0, v125
	s_or_b32 s0, vcc_lo, s0
	s_waitcnt vmcnt(0) lgkmcnt(0)
	v_fma_f64 v[117:118], v[126:127], v[128:129], v[117:118]
	s_and_not1_b32 exec_lo, exec_lo, s0
	s_cbranch_execnz .LBB121_515
; %bb.516:
	s_or_b32 exec_lo, exec_lo, s0
.LBB121_517:
	s_delay_alu instid0(SALU_CYCLE_1)
	s_or_b32 exec_lo, exec_lo, s4
	v_mov_b32_e32 v124, 0
	ds_load_b64 v[124:125], v124 offset:40
	s_waitcnt lgkmcnt(0)
	v_mul_f64 v[117:118], v[117:118], v[124:125]
	scratch_store_b64 off, v[117:118], off offset:40
.LBB121_518:
	s_or_b32 exec_lo, exec_lo, s3
	scratch_load_b64 v[117:118], off, off offset:32
	v_cmp_lt_u32_e64 s0, 4, v0
	s_waitcnt vmcnt(0)
	ds_store_b64 v120, v[117:118]
	s_waitcnt lgkmcnt(0)
	s_waitcnt_vscnt null, 0x0
	s_barrier
	buffer_gl0_inv
	s_and_saveexec_b32 s3, s0
	s_cbranch_execz .LBB121_528
; %bb.519:
	s_and_not1_b32 vcc_lo, exec_lo, s2
	s_cbranch_vccnz .LBB121_521
; %bb.520:
	scratch_load_b64 v[117:118], v121, off
	ds_load_b64 v[124:125], v120
	s_waitcnt vmcnt(0) lgkmcnt(0)
	v_mul_f64 v[117:118], v[117:118], v[124:125]
	s_cbranch_execz .LBB121_522
	s_branch .LBB121_523
.LBB121_521:
                                        ; implicit-def: $vgpr117_vgpr118
.LBB121_522:
	ds_load_b64 v[117:118], v120
.LBB121_523:
	s_and_saveexec_b32 s4, s1
	s_cbranch_execz .LBB121_527
; %bb.524:
	v_add_nc_u32_e64 v124, 0, 40
	v_add_nc_u32_e32 v125, -5, v0
	s_movk_i32 s5, 0x1f8
	s_mov_b32 s1, 0
.LBB121_525:                            ; =>This Inner Loop Header: Depth=1
	scratch_load_b64 v[126:127], v124, off
	v_dual_mov_b32 v128, s5 :: v_dual_add_nc_u32 v125, -1, v125
	v_add_nc_u32_e32 v124, 8, v124
	s_add_i32 s5, s5, 8
	ds_load_b64 v[128:129], v128
	v_cmp_eq_u32_e32 vcc_lo, 0, v125
	s_or_b32 s1, vcc_lo, s1
	s_waitcnt vmcnt(0) lgkmcnt(0)
	v_fma_f64 v[117:118], v[126:127], v[128:129], v[117:118]
	s_and_not1_b32 exec_lo, exec_lo, s1
	s_cbranch_execnz .LBB121_525
; %bb.526:
	s_or_b32 exec_lo, exec_lo, s1
.LBB121_527:
	s_delay_alu instid0(SALU_CYCLE_1)
	s_or_b32 exec_lo, exec_lo, s4
	v_mov_b32_e32 v124, 0
	ds_load_b64 v[124:125], v124 offset:32
	s_waitcnt lgkmcnt(0)
	v_mul_f64 v[117:118], v[117:118], v[124:125]
	scratch_store_b64 off, v[117:118], off offset:32
.LBB121_528:
	s_or_b32 exec_lo, exec_lo, s3
	scratch_load_b64 v[117:118], off, off offset:24
	v_cmp_lt_u32_e64 s1, 3, v0
	s_waitcnt vmcnt(0)
	ds_store_b64 v120, v[117:118]
	s_waitcnt lgkmcnt(0)
	s_waitcnt_vscnt null, 0x0
	s_barrier
	buffer_gl0_inv
	s_and_saveexec_b32 s3, s1
	s_cbranch_execz .LBB121_538
; %bb.529:
	s_and_not1_b32 vcc_lo, exec_lo, s2
	s_cbranch_vccnz .LBB121_531
; %bb.530:
	scratch_load_b64 v[117:118], v121, off
	ds_load_b64 v[124:125], v120
	s_waitcnt vmcnt(0) lgkmcnt(0)
	v_mul_f64 v[117:118], v[117:118], v[124:125]
	s_cbranch_execz .LBB121_532
	s_branch .LBB121_533
.LBB121_531:
                                        ; implicit-def: $vgpr117_vgpr118
.LBB121_532:
	ds_load_b64 v[117:118], v120
.LBB121_533:
	s_and_saveexec_b32 s4, s0
	s_cbranch_execz .LBB121_537
; %bb.534:
	v_add_nc_u32_e32 v124, -4, v0
	s_movk_i32 s5, 0x1f0
	s_mov_b32 s0, 0
.LBB121_535:                            ; =>This Inner Loop Header: Depth=1
	scratch_load_b64 v[125:126], v123, off
	v_dual_mov_b32 v127, s5 :: v_dual_add_nc_u32 v124, -1, v124
	v_add_nc_u32_e32 v123, 8, v123
	s_add_i32 s5, s5, 8
	ds_load_b64 v[127:128], v127
	v_cmp_eq_u32_e32 vcc_lo, 0, v124
	s_or_b32 s0, vcc_lo, s0
	s_waitcnt vmcnt(0) lgkmcnt(0)
	v_fma_f64 v[117:118], v[125:126], v[127:128], v[117:118]
	s_and_not1_b32 exec_lo, exec_lo, s0
	s_cbranch_execnz .LBB121_535
; %bb.536:
	s_or_b32 exec_lo, exec_lo, s0
.LBB121_537:
	s_delay_alu instid0(SALU_CYCLE_1)
	s_or_b32 exec_lo, exec_lo, s4
	v_mov_b32_e32 v123, 0
	ds_load_b64 v[123:124], v123 offset:24
	s_waitcnt lgkmcnt(0)
	v_mul_f64 v[117:118], v[117:118], v[123:124]
	scratch_store_b64 off, v[117:118], off offset:24
.LBB121_538:
	s_or_b32 exec_lo, exec_lo, s3
	scratch_load_b64 v[117:118], off, off offset:16
	v_cmp_lt_u32_e64 s0, 2, v0
	s_waitcnt vmcnt(0)
	ds_store_b64 v120, v[117:118]
	s_waitcnt lgkmcnt(0)
	s_waitcnt_vscnt null, 0x0
	s_barrier
	buffer_gl0_inv
	s_and_saveexec_b32 s3, s0
	s_cbranch_execz .LBB121_548
; %bb.539:
	s_and_not1_b32 vcc_lo, exec_lo, s2
	s_cbranch_vccnz .LBB121_541
; %bb.540:
	scratch_load_b64 v[117:118], v121, off
	ds_load_b64 v[123:124], v120
	s_waitcnt vmcnt(0) lgkmcnt(0)
	v_mul_f64 v[117:118], v[117:118], v[123:124]
	s_cbranch_execz .LBB121_542
	s_branch .LBB121_543
.LBB121_541:
                                        ; implicit-def: $vgpr117_vgpr118
.LBB121_542:
	ds_load_b64 v[117:118], v120
.LBB121_543:
	s_and_saveexec_b32 s4, s1
	s_cbranch_execz .LBB121_547
; %bb.544:
	v_add_nc_u32_e64 v123, 0, 24
	v_add_nc_u32_e32 v124, -3, v0
	s_movk_i32 s5, 0x1e8
	s_mov_b32 s1, 0
.LBB121_545:                            ; =>This Inner Loop Header: Depth=1
	scratch_load_b64 v[125:126], v123, off
	v_dual_mov_b32 v127, s5 :: v_dual_add_nc_u32 v124, -1, v124
	v_add_nc_u32_e32 v123, 8, v123
	s_add_i32 s5, s5, 8
	ds_load_b64 v[127:128], v127
	v_cmp_eq_u32_e32 vcc_lo, 0, v124
	s_or_b32 s1, vcc_lo, s1
	s_waitcnt vmcnt(0) lgkmcnt(0)
	v_fma_f64 v[117:118], v[125:126], v[127:128], v[117:118]
	s_and_not1_b32 exec_lo, exec_lo, s1
	s_cbranch_execnz .LBB121_545
; %bb.546:
	s_or_b32 exec_lo, exec_lo, s1
.LBB121_547:
	s_delay_alu instid0(SALU_CYCLE_1)
	s_or_b32 exec_lo, exec_lo, s4
	v_mov_b32_e32 v123, 0
	ds_load_b64 v[123:124], v123 offset:16
	s_waitcnt lgkmcnt(0)
	v_mul_f64 v[117:118], v[117:118], v[123:124]
	scratch_store_b64 off, v[117:118], off offset:16
.LBB121_548:
	s_or_b32 exec_lo, exec_lo, s3
	scratch_load_b64 v[117:118], off, off offset:8
	v_cmp_lt_u32_e64 s1, 1, v0
	s_waitcnt vmcnt(0)
	ds_store_b64 v120, v[117:118]
	s_waitcnt lgkmcnt(0)
	s_waitcnt_vscnt null, 0x0
	s_barrier
	buffer_gl0_inv
	s_and_saveexec_b32 s3, s1
	s_cbranch_execz .LBB121_558
; %bb.549:
	s_and_not1_b32 vcc_lo, exec_lo, s2
	s_cbranch_vccnz .LBB121_551
; %bb.550:
	scratch_load_b64 v[117:118], v121, off
	ds_load_b64 v[123:124], v120
	s_waitcnt vmcnt(0) lgkmcnt(0)
	v_mul_f64 v[117:118], v[117:118], v[123:124]
	s_cbranch_execz .LBB121_552
	s_branch .LBB121_553
.LBB121_551:
                                        ; implicit-def: $vgpr117_vgpr118
.LBB121_552:
	ds_load_b64 v[117:118], v120
.LBB121_553:
	s_and_saveexec_b32 s4, s0
	s_cbranch_execz .LBB121_557
; %bb.554:
	v_add_nc_u32_e32 v123, -2, v0
	s_movk_i32 s5, 0x1e0
	s_mov_b32 s0, 0
.LBB121_555:                            ; =>This Inner Loop Header: Depth=1
	scratch_load_b64 v[124:125], v122, off
	v_dual_mov_b32 v126, s5 :: v_dual_add_nc_u32 v123, -1, v123
	v_add_nc_u32_e32 v122, 8, v122
	s_add_i32 s5, s5, 8
	ds_load_b64 v[126:127], v126
	v_cmp_eq_u32_e32 vcc_lo, 0, v123
	s_or_b32 s0, vcc_lo, s0
	s_waitcnt vmcnt(0) lgkmcnt(0)
	v_fma_f64 v[117:118], v[124:125], v[126:127], v[117:118]
	s_and_not1_b32 exec_lo, exec_lo, s0
	s_cbranch_execnz .LBB121_555
; %bb.556:
	s_or_b32 exec_lo, exec_lo, s0
.LBB121_557:
	s_delay_alu instid0(SALU_CYCLE_1)
	s_or_b32 exec_lo, exec_lo, s4
	v_mov_b32_e32 v122, 0
	ds_load_b64 v[122:123], v122 offset:8
	s_waitcnt lgkmcnt(0)
	v_mul_f64 v[117:118], v[117:118], v[122:123]
	scratch_store_b64 off, v[117:118], off offset:8
.LBB121_558:
	s_or_b32 exec_lo, exec_lo, s3
	scratch_load_b64 v[117:118], off, off
	s_mov_b32 s0, 0
	s_mov_b32 s3, exec_lo
	s_waitcnt vmcnt(0)
	ds_store_b64 v120, v[117:118]
	s_waitcnt lgkmcnt(0)
	s_waitcnt_vscnt null, 0x0
	s_barrier
	buffer_gl0_inv
	v_cmpx_ne_u32_e32 0, v0
	s_cbranch_execz .LBB121_568
; %bb.559:
	s_and_not1_b32 vcc_lo, exec_lo, s2
	s_cbranch_vccnz .LBB121_561
; %bb.560:
	scratch_load_b64 v[117:118], v121, off
	ds_load_b64 v[122:123], v120
	s_waitcnt vmcnt(0) lgkmcnt(0)
	v_mul_f64 v[117:118], v[117:118], v[122:123]
	s_cbranch_execz .LBB121_562
	s_branch .LBB121_563
.LBB121_561:
                                        ; implicit-def: $vgpr117_vgpr118
.LBB121_562:
	ds_load_b64 v[117:118], v120
.LBB121_563:
	s_and_saveexec_b32 s4, s1
	s_cbranch_execz .LBB121_567
; %bb.564:
	v_or_b32_e64 v122, 0, 8
	v_add_nc_u32_e32 v123, -1, v0
	s_movk_i32 s5, 0x1d8
	s_mov_b32 s1, 0
.LBB121_565:                            ; =>This Inner Loop Header: Depth=1
	scratch_load_b64 v[124:125], v122, off
	v_dual_mov_b32 v126, s5 :: v_dual_add_nc_u32 v123, -1, v123
	v_add_nc_u32_e32 v122, 8, v122
	s_add_i32 s5, s5, 8
	ds_load_b64 v[126:127], v126
	v_cmp_eq_u32_e32 vcc_lo, 0, v123
	s_or_b32 s1, vcc_lo, s1
	s_waitcnt vmcnt(0) lgkmcnt(0)
	v_fma_f64 v[117:118], v[124:125], v[126:127], v[117:118]
	s_and_not1_b32 exec_lo, exec_lo, s1
	s_cbranch_execnz .LBB121_565
; %bb.566:
	s_or_b32 exec_lo, exec_lo, s1
.LBB121_567:
	s_delay_alu instid0(SALU_CYCLE_1)
	s_or_b32 exec_lo, exec_lo, s4
	v_mov_b32_e32 v122, 0
	ds_load_b64 v[122:123], v122
	s_waitcnt lgkmcnt(0)
	v_mul_f64 v[117:118], v[117:118], v[122:123]
	scratch_store_b64 off, v[117:118], off
.LBB121_568:
	s_or_b32 exec_lo, exec_lo, s3
.LBB121_569:
	s_delay_alu instid0(SALU_CYCLE_1)
	s_and_b32 vcc_lo, exec_lo, s0
	s_cbranch_vccz .LBB121_1135
; %bb.570:
	scratch_load_b64 v[117:118], off, off offset:8
	v_cmp_eq_u32_e64 s0, 0, v0
	s_waitcnt vmcnt(0)
	ds_store_b64 v120, v[117:118]
	s_waitcnt lgkmcnt(0)
	s_waitcnt_vscnt null, 0x0
	s_barrier
	buffer_gl0_inv
	s_and_saveexec_b32 s1, s0
	s_cbranch_execz .LBB121_576
; %bb.571:
	s_and_b32 vcc_lo, exec_lo, s2
	s_cbranch_vccz .LBB121_573
; %bb.572:
	scratch_load_b64 v[117:118], v121, off
	ds_load_b64 v[122:123], v120
	s_waitcnt vmcnt(0) lgkmcnt(0)
	v_mul_f64 v[117:118], v[117:118], v[122:123]
	s_cbranch_execz .LBB121_574
	s_branch .LBB121_575
.LBB121_573:
                                        ; implicit-def: $vgpr117_vgpr118
.LBB121_574:
	ds_load_b64 v[117:118], v120
.LBB121_575:
	v_mov_b32_e32 v122, 0
	ds_load_b64 v[122:123], v122 offset:8
	s_waitcnt lgkmcnt(0)
	v_mul_f64 v[117:118], v[117:118], v[122:123]
	scratch_store_b64 off, v[117:118], off offset:8
.LBB121_576:
	s_or_b32 exec_lo, exec_lo, s1
	scratch_load_b64 v[117:118], off, off offset:16
	v_cndmask_b32_e64 v122, 0, 1, s2
	s_mov_b32 s1, exec_lo
	s_waitcnt vmcnt(0)
	ds_store_b64 v120, v[117:118]
	s_waitcnt lgkmcnt(0)
	s_waitcnt_vscnt null, 0x0
	s_barrier
	buffer_gl0_inv
	v_cmpx_gt_u32_e32 2, v0
	s_cbranch_execz .LBB121_584
; %bb.577:
	s_and_not1_b32 vcc_lo, exec_lo, s2
	s_cbranch_vccnz .LBB121_579
; %bb.578:
	scratch_load_b64 v[117:118], v121, off
	ds_load_b64 v[123:124], v120
	s_waitcnt vmcnt(0) lgkmcnt(0)
	v_mul_f64 v[117:118], v[117:118], v[123:124]
	s_cbranch_execz .LBB121_580
	s_branch .LBB121_581
.LBB121_579:
                                        ; implicit-def: $vgpr117_vgpr118
.LBB121_580:
	ds_load_b64 v[117:118], v120
.LBB121_581:
	s_and_saveexec_b32 s2, s0
	s_cbranch_execz .LBB121_583
; %bb.582:
	scratch_load_b64 v[123:124], v121, off offset:8
	ds_load_b64 v[125:126], v120 offset:8
	s_waitcnt vmcnt(0) lgkmcnt(0)
	v_fma_f64 v[117:118], v[123:124], v[125:126], v[117:118]
.LBB121_583:
	s_or_b32 exec_lo, exec_lo, s2
	v_mov_b32_e32 v123, 0
	ds_load_b64 v[123:124], v123 offset:16
	s_waitcnt lgkmcnt(0)
	v_mul_f64 v[117:118], v[117:118], v[123:124]
	scratch_store_b64 off, v[117:118], off offset:16
.LBB121_584:
	s_or_b32 exec_lo, exec_lo, s1
	scratch_load_b64 v[117:118], off, off offset:24
	s_mov_b32 s1, exec_lo
	s_waitcnt vmcnt(0)
	ds_store_b64 v120, v[117:118]
	s_waitcnt lgkmcnt(0)
	s_waitcnt_vscnt null, 0x0
	s_barrier
	buffer_gl0_inv
	v_cmpx_gt_u32_e32 3, v0
	s_cbranch_execz .LBB121_594
; %bb.585:
	v_cmp_ne_u32_e32 vcc_lo, 1, v122
	s_cbranch_vccnz .LBB121_587
; %bb.586:
	scratch_load_b64 v[117:118], v121, off
	ds_load_b64 v[123:124], v120
	s_waitcnt vmcnt(0) lgkmcnt(0)
	v_mul_f64 v[117:118], v[117:118], v[123:124]
	s_cbranch_execz .LBB121_588
	s_branch .LBB121_589
.LBB121_587:
                                        ; implicit-def: $vgpr117_vgpr118
.LBB121_588:
	ds_load_b64 v[117:118], v120
.LBB121_589:
	s_mov_b32 s2, exec_lo
	v_cmpx_ne_u32_e32 2, v0
	s_cbranch_execz .LBB121_593
; %bb.590:
	scratch_load_b64 v[123:124], v121, off offset:8
	ds_load_b64 v[125:126], v120 offset:8
	s_waitcnt vmcnt(0) lgkmcnt(0)
	v_fma_f64 v[117:118], v[123:124], v[125:126], v[117:118]
	s_and_saveexec_b32 s3, s0
	s_cbranch_execz .LBB121_592
; %bb.591:
	scratch_load_b64 v[123:124], off, off offset:16
	v_mov_b32_e32 v125, 0
	ds_load_b64 v[125:126], v125 offset:480
	s_waitcnt vmcnt(0) lgkmcnt(0)
	v_fma_f64 v[117:118], v[123:124], v[125:126], v[117:118]
.LBB121_592:
	s_or_b32 exec_lo, exec_lo, s3
.LBB121_593:
	s_delay_alu instid0(SALU_CYCLE_1)
	s_or_b32 exec_lo, exec_lo, s2
	v_mov_b32_e32 v123, 0
	ds_load_b64 v[123:124], v123 offset:24
	s_waitcnt lgkmcnt(0)
	v_mul_f64 v[117:118], v[117:118], v[123:124]
	scratch_store_b64 off, v[117:118], off offset:24
.LBB121_594:
	s_or_b32 exec_lo, exec_lo, s1
	scratch_load_b64 v[117:118], off, off offset:32
	s_mov_b32 s0, exec_lo
	s_waitcnt vmcnt(0)
	ds_store_b64 v120, v[117:118]
	s_waitcnt lgkmcnt(0)
	s_waitcnt_vscnt null, 0x0
	s_barrier
	buffer_gl0_inv
	v_cmpx_gt_u32_e32 4, v0
	s_cbranch_execz .LBB121_604
; %bb.595:
	v_cmp_ne_u32_e32 vcc_lo, 1, v122
	s_cbranch_vccnz .LBB121_597
; %bb.596:
	scratch_load_b64 v[117:118], v121, off
	ds_load_b64 v[123:124], v120
	s_waitcnt vmcnt(0) lgkmcnt(0)
	v_mul_f64 v[117:118], v[117:118], v[123:124]
	s_cbranch_execz .LBB121_598
	s_branch .LBB121_599
.LBB121_597:
                                        ; implicit-def: $vgpr117_vgpr118
.LBB121_598:
	ds_load_b64 v[117:118], v120
.LBB121_599:
	s_mov_b32 s1, exec_lo
	v_cmpx_ne_u32_e32 3, v0
	s_cbranch_execz .LBB121_603
; %bb.600:
	v_add_nc_u32_e32 v123, 0x1d8, v119
	v_add3_u32 v124, 0, v119, 8
	v_mov_b32_e32 v125, v0
	s_mov_b32 s2, 0
.LBB121_601:                            ; =>This Inner Loop Header: Depth=1
	scratch_load_b64 v[126:127], v124, off
	ds_load_b64 v[128:129], v123
	v_add_nc_u32_e32 v125, 1, v125
	v_add_nc_u32_e32 v123, 8, v123
	v_add_nc_u32_e32 v124, 8, v124
	s_delay_alu instid0(VALU_DEP_3)
	v_cmp_lt_u32_e32 vcc_lo, 2, v125
	s_or_b32 s2, vcc_lo, s2
	s_waitcnt vmcnt(0) lgkmcnt(0)
	v_fma_f64 v[117:118], v[126:127], v[128:129], v[117:118]
	s_and_not1_b32 exec_lo, exec_lo, s2
	s_cbranch_execnz .LBB121_601
; %bb.602:
	s_or_b32 exec_lo, exec_lo, s2
.LBB121_603:
	s_delay_alu instid0(SALU_CYCLE_1)
	s_or_b32 exec_lo, exec_lo, s1
	v_mov_b32_e32 v123, 0
	ds_load_b64 v[123:124], v123 offset:32
	s_waitcnt lgkmcnt(0)
	v_mul_f64 v[117:118], v[117:118], v[123:124]
	scratch_store_b64 off, v[117:118], off offset:32
.LBB121_604:
	s_or_b32 exec_lo, exec_lo, s0
	scratch_load_b64 v[117:118], off, off offset:40
	s_mov_b32 s0, exec_lo
	s_waitcnt vmcnt(0)
	ds_store_b64 v120, v[117:118]
	s_waitcnt lgkmcnt(0)
	s_waitcnt_vscnt null, 0x0
	s_barrier
	buffer_gl0_inv
	v_cmpx_gt_u32_e32 5, v0
	s_cbranch_execz .LBB121_614
; %bb.605:
	v_cmp_ne_u32_e32 vcc_lo, 1, v122
	s_cbranch_vccnz .LBB121_607
; %bb.606:
	scratch_load_b64 v[117:118], v121, off
	ds_load_b64 v[123:124], v120
	s_waitcnt vmcnt(0) lgkmcnt(0)
	v_mul_f64 v[117:118], v[117:118], v[123:124]
	s_cbranch_execz .LBB121_608
	s_branch .LBB121_609
.LBB121_607:
                                        ; implicit-def: $vgpr117_vgpr118
.LBB121_608:
	ds_load_b64 v[117:118], v120
.LBB121_609:
	s_mov_b32 s1, exec_lo
	v_cmpx_ne_u32_e32 4, v0
	s_cbranch_execz .LBB121_613
; %bb.610:
	v_add_nc_u32_e32 v123, 0x1d8, v119
	v_add3_u32 v124, 0, v119, 8
	v_mov_b32_e32 v125, v0
	s_mov_b32 s2, 0
.LBB121_611:                            ; =>This Inner Loop Header: Depth=1
	scratch_load_b64 v[126:127], v124, off
	ds_load_b64 v[128:129], v123
	v_add_nc_u32_e32 v125, 1, v125
	v_add_nc_u32_e32 v123, 8, v123
	v_add_nc_u32_e32 v124, 8, v124
	s_delay_alu instid0(VALU_DEP_3)
	v_cmp_lt_u32_e32 vcc_lo, 3, v125
	s_or_b32 s2, vcc_lo, s2
	s_waitcnt vmcnt(0) lgkmcnt(0)
	v_fma_f64 v[117:118], v[126:127], v[128:129], v[117:118]
	s_and_not1_b32 exec_lo, exec_lo, s2
	s_cbranch_execnz .LBB121_611
; %bb.612:
	s_or_b32 exec_lo, exec_lo, s2
.LBB121_613:
	s_delay_alu instid0(SALU_CYCLE_1)
	s_or_b32 exec_lo, exec_lo, s1
	v_mov_b32_e32 v123, 0
	ds_load_b64 v[123:124], v123 offset:40
	s_waitcnt lgkmcnt(0)
	v_mul_f64 v[117:118], v[117:118], v[123:124]
	scratch_store_b64 off, v[117:118], off offset:40
.LBB121_614:
	;; [unrolled: 58-line block ×40, first 2 shown]
	s_or_b32 exec_lo, exec_lo, s0
	scratch_load_b64 v[117:118], off, off offset:352
	s_mov_b32 s0, exec_lo
	s_waitcnt vmcnt(0)
	ds_store_b64 v120, v[117:118]
	s_waitcnt lgkmcnt(0)
	s_waitcnt_vscnt null, 0x0
	s_barrier
	buffer_gl0_inv
	v_cmpx_gt_u32_e32 44, v0
	s_cbranch_execz .LBB121_1004
; %bb.995:
	v_cmp_ne_u32_e32 vcc_lo, 1, v122
	s_cbranch_vccnz .LBB121_997
; %bb.996:
	scratch_load_b64 v[117:118], v121, off
	ds_load_b64 v[123:124], v120
	s_waitcnt vmcnt(0) lgkmcnt(0)
	v_mul_f64 v[117:118], v[117:118], v[123:124]
	s_cbranch_execz .LBB121_998
	s_branch .LBB121_999
.LBB121_997:
                                        ; implicit-def: $vgpr117_vgpr118
.LBB121_998:
	ds_load_b64 v[117:118], v120
.LBB121_999:
	s_mov_b32 s1, exec_lo
	v_cmpx_ne_u32_e32 43, v0
	s_cbranch_execz .LBB121_1003
; %bb.1000:
	v_add_nc_u32_e32 v123, 0x1d8, v119
	v_add3_u32 v124, 0, v119, 8
	v_mov_b32_e32 v125, v0
	s_mov_b32 s2, 0
.LBB121_1001:                           ; =>This Inner Loop Header: Depth=1
	scratch_load_b64 v[126:127], v124, off
	ds_load_b64 v[128:129], v123
	v_add_nc_u32_e32 v125, 1, v125
	v_add_nc_u32_e32 v123, 8, v123
	v_add_nc_u32_e32 v124, 8, v124
	s_delay_alu instid0(VALU_DEP_3)
	v_cmp_lt_u32_e32 vcc_lo, 42, v125
	s_or_b32 s2, vcc_lo, s2
	s_waitcnt vmcnt(0) lgkmcnt(0)
	v_fma_f64 v[117:118], v[126:127], v[128:129], v[117:118]
	s_and_not1_b32 exec_lo, exec_lo, s2
	s_cbranch_execnz .LBB121_1001
; %bb.1002:
	s_or_b32 exec_lo, exec_lo, s2
.LBB121_1003:
	s_delay_alu instid0(SALU_CYCLE_1)
	s_or_b32 exec_lo, exec_lo, s1
	v_mov_b32_e32 v123, 0
	ds_load_b64 v[123:124], v123 offset:352
	s_waitcnt lgkmcnt(0)
	v_mul_f64 v[117:118], v[117:118], v[123:124]
	scratch_store_b64 off, v[117:118], off offset:352
.LBB121_1004:
	s_or_b32 exec_lo, exec_lo, s0
	scratch_load_b64 v[117:118], off, off offset:360
	s_mov_b32 s0, exec_lo
	s_waitcnt vmcnt(0)
	ds_store_b64 v120, v[117:118]
	s_waitcnt lgkmcnt(0)
	s_waitcnt_vscnt null, 0x0
	s_barrier
	buffer_gl0_inv
	v_cmpx_gt_u32_e32 45, v0
	s_cbranch_execz .LBB121_1014
; %bb.1005:
	v_cmp_ne_u32_e32 vcc_lo, 1, v122
	s_cbranch_vccnz .LBB121_1007
; %bb.1006:
	scratch_load_b64 v[117:118], v121, off
	ds_load_b64 v[123:124], v120
	s_waitcnt vmcnt(0) lgkmcnt(0)
	v_mul_f64 v[117:118], v[117:118], v[123:124]
	s_cbranch_execz .LBB121_1008
	s_branch .LBB121_1009
.LBB121_1007:
                                        ; implicit-def: $vgpr117_vgpr118
.LBB121_1008:
	ds_load_b64 v[117:118], v120
.LBB121_1009:
	s_mov_b32 s1, exec_lo
	v_cmpx_ne_u32_e32 44, v0
	s_cbranch_execz .LBB121_1013
; %bb.1010:
	v_add_nc_u32_e32 v123, 0x1d8, v119
	v_add3_u32 v124, 0, v119, 8
	v_mov_b32_e32 v125, v0
	s_mov_b32 s2, 0
.LBB121_1011:                           ; =>This Inner Loop Header: Depth=1
	scratch_load_b64 v[126:127], v124, off
	ds_load_b64 v[128:129], v123
	v_add_nc_u32_e32 v125, 1, v125
	v_add_nc_u32_e32 v123, 8, v123
	v_add_nc_u32_e32 v124, 8, v124
	s_delay_alu instid0(VALU_DEP_3)
	v_cmp_lt_u32_e32 vcc_lo, 43, v125
	s_or_b32 s2, vcc_lo, s2
	s_waitcnt vmcnt(0) lgkmcnt(0)
	v_fma_f64 v[117:118], v[126:127], v[128:129], v[117:118]
	s_and_not1_b32 exec_lo, exec_lo, s2
	s_cbranch_execnz .LBB121_1011
; %bb.1012:
	s_or_b32 exec_lo, exec_lo, s2
.LBB121_1013:
	s_delay_alu instid0(SALU_CYCLE_1)
	s_or_b32 exec_lo, exec_lo, s1
	v_mov_b32_e32 v123, 0
	ds_load_b64 v[123:124], v123 offset:360
	s_waitcnt lgkmcnt(0)
	v_mul_f64 v[117:118], v[117:118], v[123:124]
	scratch_store_b64 off, v[117:118], off offset:360
.LBB121_1014:
	;; [unrolled: 58-line block ×12, first 2 shown]
	s_or_b32 exec_lo, exec_lo, s0
	scratch_load_b64 v[117:118], off, off offset:448
	v_cmp_gt_u32_e64 s0, 56, v0
	s_waitcnt vmcnt(0)
	ds_store_b64 v120, v[117:118]
	s_waitcnt lgkmcnt(0)
	s_waitcnt_vscnt null, 0x0
	s_barrier
	buffer_gl0_inv
	s_and_saveexec_b32 s1, s0
	s_cbranch_execz .LBB121_1124
; %bb.1115:
	v_cmp_ne_u32_e32 vcc_lo, 1, v122
	s_cbranch_vccnz .LBB121_1117
; %bb.1116:
	scratch_load_b64 v[117:118], v121, off
	ds_load_b64 v[123:124], v120
	s_waitcnt vmcnt(0) lgkmcnt(0)
	v_mul_f64 v[117:118], v[117:118], v[123:124]
	s_cbranch_execz .LBB121_1118
	s_branch .LBB121_1119
.LBB121_1117:
                                        ; implicit-def: $vgpr117_vgpr118
.LBB121_1118:
	ds_load_b64 v[117:118], v120
.LBB121_1119:
	s_mov_b32 s2, exec_lo
	v_cmpx_ne_u32_e32 55, v0
	s_cbranch_execz .LBB121_1123
; %bb.1120:
	v_add_nc_u32_e32 v123, 0x1d8, v119
	v_add3_u32 v124, 0, v119, 8
	v_mov_b32_e32 v125, v0
	s_mov_b32 s3, 0
.LBB121_1121:                           ; =>This Inner Loop Header: Depth=1
	scratch_load_b64 v[126:127], v124, off
	ds_load_b64 v[128:129], v123
	v_add_nc_u32_e32 v125, 1, v125
	v_add_nc_u32_e32 v123, 8, v123
	;; [unrolled: 1-line block ×3, first 2 shown]
	s_delay_alu instid0(VALU_DEP_3)
	v_cmp_lt_u32_e32 vcc_lo, 54, v125
	s_or_b32 s3, vcc_lo, s3
	s_waitcnt vmcnt(0) lgkmcnt(0)
	v_fma_f64 v[117:118], v[126:127], v[128:129], v[117:118]
	s_and_not1_b32 exec_lo, exec_lo, s3
	s_cbranch_execnz .LBB121_1121
; %bb.1122:
	s_or_b32 exec_lo, exec_lo, s3
.LBB121_1123:
	s_delay_alu instid0(SALU_CYCLE_1)
	s_or_b32 exec_lo, exec_lo, s2
	v_mov_b32_e32 v123, 0
	ds_load_b64 v[123:124], v123 offset:448
	s_waitcnt lgkmcnt(0)
	v_mul_f64 v[117:118], v[117:118], v[123:124]
	scratch_store_b64 off, v[117:118], off offset:448
.LBB121_1124:
	s_or_b32 exec_lo, exec_lo, s1
	scratch_load_b64 v[117:118], off, off offset:456
	s_mov_b32 s1, exec_lo
	s_waitcnt vmcnt(0)
	ds_store_b64 v120, v[117:118]
	s_waitcnt lgkmcnt(0)
	s_waitcnt_vscnt null, 0x0
	s_barrier
	buffer_gl0_inv
	v_cmpx_ne_u32_e32 57, v0
	s_cbranch_execz .LBB121_1134
; %bb.1125:
	v_cmp_ne_u32_e32 vcc_lo, 1, v122
	s_cbranch_vccnz .LBB121_1127
; %bb.1126:
	scratch_load_b64 v[117:118], v121, off
	ds_load_b64 v[121:122], v120
	s_waitcnt vmcnt(0) lgkmcnt(0)
	v_mul_f64 v[117:118], v[117:118], v[121:122]
	s_cbranch_execz .LBB121_1128
	s_branch .LBB121_1129
.LBB121_1127:
                                        ; implicit-def: $vgpr117_vgpr118
.LBB121_1128:
	ds_load_b64 v[117:118], v120
.LBB121_1129:
	s_and_saveexec_b32 s2, s0
	s_cbranch_execz .LBB121_1133
; %bb.1130:
	v_add_nc_u32_e32 v120, 0x1d8, v119
	v_add3_u32 v119, 0, v119, 8
	s_mov_b32 s0, 0
.LBB121_1131:                           ; =>This Inner Loop Header: Depth=1
	scratch_load_b64 v[121:122], v119, off
	ds_load_b64 v[123:124], v120
	v_add_nc_u32_e32 v0, 1, v0
	v_add_nc_u32_e32 v120, 8, v120
	v_add_nc_u32_e32 v119, 8, v119
	s_delay_alu instid0(VALU_DEP_3)
	v_cmp_lt_u32_e32 vcc_lo, 55, v0
	s_or_b32 s0, vcc_lo, s0
	s_waitcnt vmcnt(0) lgkmcnt(0)
	v_fma_f64 v[117:118], v[121:122], v[123:124], v[117:118]
	s_and_not1_b32 exec_lo, exec_lo, s0
	s_cbranch_execnz .LBB121_1131
; %bb.1132:
	s_or_b32 exec_lo, exec_lo, s0
.LBB121_1133:
	s_delay_alu instid0(SALU_CYCLE_1)
	s_or_b32 exec_lo, exec_lo, s2
	v_mov_b32_e32 v0, 0
	ds_load_b64 v[119:120], v0 offset:456
	s_waitcnt lgkmcnt(0)
	v_mul_f64 v[117:118], v[117:118], v[119:120]
	scratch_store_b64 off, v[117:118], off offset:456
.LBB121_1134:
	s_or_b32 exec_lo, exec_lo, s1
.LBB121_1135:
	s_clause 0xb
	scratch_load_b128 v[117:120], off, off
	scratch_load_b128 v[121:124], off, off offset:16
	scratch_load_b128 v[125:128], off, off offset:32
	;; [unrolled: 1-line block ×11, first 2 shown]
	s_waitcnt vmcnt(11)
	s_clause 0x1
	global_store_b64 v[31:32], v[117:118], off
	global_store_b64 v[33:34], v[119:120], off
	s_clause 0x1
	scratch_load_b128 v[31:34], off, off offset:192
	scratch_load_b128 v[117:120], off, off offset:208
	s_waitcnt vmcnt(12)
	s_clause 0x1
	global_store_b64 v[35:36], v[121:122], off
	global_store_b64 v[37:38], v[123:124], off
	s_clause 0x1
	scratch_load_b128 v[35:38], off, off offset:224
	scratch_load_b128 v[121:124], off, off offset:240
	;; [unrolled: 7-line block ×8, first 2 shown]
	s_waitcnt vmcnt(19)
	s_clause 0x1
	global_store_b64 v[27:28], v[149:150], off
	global_store_b64 v[39:40], v[151:152], off
	scratch_load_b128 v[25:28], off, off offset:448
	s_waitcnt vmcnt(19)
	s_clause 0x1
	global_store_b64 v[29:30], v[153:154], off
	global_store_b64 v[41:42], v[155:156], off
	s_waitcnt vmcnt(18)
	s_clause 0x1
	global_store_b64 v[43:44], v[157:158], off
	global_store_b64 v[45:46], v[159:160], off
	;; [unrolled: 4-line block ×20, first 2 shown]
.LBB121_1136:
	s_endpgm
	.section	.rodata,"a",@progbits
	.p2align	6, 0x0
	.amdhsa_kernel _ZN9rocsolver6v33100L18trti2_kernel_smallILi58EdPKPdEEv13rocblas_fill_17rocblas_diagonal_T1_iil
		.amdhsa_group_segment_fixed_size 928
		.amdhsa_private_segment_fixed_size 480
		.amdhsa_kernarg_size 32
		.amdhsa_user_sgpr_count 15
		.amdhsa_user_sgpr_dispatch_ptr 0
		.amdhsa_user_sgpr_queue_ptr 0
		.amdhsa_user_sgpr_kernarg_segment_ptr 1
		.amdhsa_user_sgpr_dispatch_id 0
		.amdhsa_user_sgpr_private_segment_size 0
		.amdhsa_wavefront_size32 1
		.amdhsa_uses_dynamic_stack 0
		.amdhsa_enable_private_segment 1
		.amdhsa_system_sgpr_workgroup_id_x 1
		.amdhsa_system_sgpr_workgroup_id_y 0
		.amdhsa_system_sgpr_workgroup_id_z 0
		.amdhsa_system_sgpr_workgroup_info 0
		.amdhsa_system_vgpr_workitem_id 0
		.amdhsa_next_free_vgpr 170
		.amdhsa_next_free_sgpr 26
		.amdhsa_reserve_vcc 1
		.amdhsa_float_round_mode_32 0
		.amdhsa_float_round_mode_16_64 0
		.amdhsa_float_denorm_mode_32 3
		.amdhsa_float_denorm_mode_16_64 3
		.amdhsa_dx10_clamp 1
		.amdhsa_ieee_mode 1
		.amdhsa_fp16_overflow 0
		.amdhsa_workgroup_processor_mode 1
		.amdhsa_memory_ordered 1
		.amdhsa_forward_progress 0
		.amdhsa_shared_vgpr_count 0
		.amdhsa_exception_fp_ieee_invalid_op 0
		.amdhsa_exception_fp_denorm_src 0
		.amdhsa_exception_fp_ieee_div_zero 0
		.amdhsa_exception_fp_ieee_overflow 0
		.amdhsa_exception_fp_ieee_underflow 0
		.amdhsa_exception_fp_ieee_inexact 0
		.amdhsa_exception_int_div_zero 0
	.end_amdhsa_kernel
	.section	.text._ZN9rocsolver6v33100L18trti2_kernel_smallILi58EdPKPdEEv13rocblas_fill_17rocblas_diagonal_T1_iil,"axG",@progbits,_ZN9rocsolver6v33100L18trti2_kernel_smallILi58EdPKPdEEv13rocblas_fill_17rocblas_diagonal_T1_iil,comdat
.Lfunc_end121:
	.size	_ZN9rocsolver6v33100L18trti2_kernel_smallILi58EdPKPdEEv13rocblas_fill_17rocblas_diagonal_T1_iil, .Lfunc_end121-_ZN9rocsolver6v33100L18trti2_kernel_smallILi58EdPKPdEEv13rocblas_fill_17rocblas_diagonal_T1_iil
                                        ; -- End function
	.section	.AMDGPU.csdata,"",@progbits
; Kernel info:
; codeLenInByte = 31872
; NumSgprs: 28
; NumVgprs: 170
; ScratchSize: 480
; MemoryBound: 0
; FloatMode: 240
; IeeeMode: 1
; LDSByteSize: 928 bytes/workgroup (compile time only)
; SGPRBlocks: 3
; VGPRBlocks: 21
; NumSGPRsForWavesPerEU: 28
; NumVGPRsForWavesPerEU: 170
; Occupancy: 8
; WaveLimiterHint : 1
; COMPUTE_PGM_RSRC2:SCRATCH_EN: 1
; COMPUTE_PGM_RSRC2:USER_SGPR: 15
; COMPUTE_PGM_RSRC2:TRAP_HANDLER: 0
; COMPUTE_PGM_RSRC2:TGID_X_EN: 1
; COMPUTE_PGM_RSRC2:TGID_Y_EN: 0
; COMPUTE_PGM_RSRC2:TGID_Z_EN: 0
; COMPUTE_PGM_RSRC2:TIDIG_COMP_CNT: 0
	.section	.text._ZN9rocsolver6v33100L18trti2_kernel_smallILi59EdPKPdEEv13rocblas_fill_17rocblas_diagonal_T1_iil,"axG",@progbits,_ZN9rocsolver6v33100L18trti2_kernel_smallILi59EdPKPdEEv13rocblas_fill_17rocblas_diagonal_T1_iil,comdat
	.globl	_ZN9rocsolver6v33100L18trti2_kernel_smallILi59EdPKPdEEv13rocblas_fill_17rocblas_diagonal_T1_iil ; -- Begin function _ZN9rocsolver6v33100L18trti2_kernel_smallILi59EdPKPdEEv13rocblas_fill_17rocblas_diagonal_T1_iil
	.p2align	8
	.type	_ZN9rocsolver6v33100L18trti2_kernel_smallILi59EdPKPdEEv13rocblas_fill_17rocblas_diagonal_T1_iil,@function
_ZN9rocsolver6v33100L18trti2_kernel_smallILi59EdPKPdEEv13rocblas_fill_17rocblas_diagonal_T1_iil: ; @_ZN9rocsolver6v33100L18trti2_kernel_smallILi59EdPKPdEEv13rocblas_fill_17rocblas_diagonal_T1_iil
; %bb.0:
	s_mov_b32 s2, exec_lo
	v_cmpx_gt_u32_e32 59, v0
	s_cbranch_execz .LBB122_1156
; %bb.1:
	s_clause 0x1
	s_load_b64 s[4:5], s[0:1], 0x10
	s_load_b128 s[0:3], s[0:1], 0x0
	s_mov_b32 s6, s15
	s_ashr_i32 s7, s15, 31
	v_lshlrev_b32_e32 v121, 3, v0
	s_lshl_b64 s[8:9], s[6:7], 3
	s_waitcnt lgkmcnt(0)
	s_ashr_i32 s7, s4, 31
	s_add_u32 s2, s2, s8
	s_addc_u32 s3, s3, s9
	v_add3_u32 v1, s5, s5, v0
	s_load_b64 s[2:3], s[2:3], 0x0
	s_mov_b32 s6, s4
	s_mov_b32 s8, s5
	s_lshl_b64 s[6:7], s[6:7], 3
	v_add_nc_u32_e32 v3, s5, v1
	v_ashrrev_i32_e32 v2, 31, v1
	s_delay_alu instid0(VALU_DEP_2) | instskip(SKIP_1) | instid1(VALU_DEP_3)
	v_add_nc_u32_e32 v5, s5, v3
	v_ashrrev_i32_e32 v4, 31, v3
	v_lshlrev_b64 v[1:2], 3, v[1:2]
	s_delay_alu instid0(VALU_DEP_3) | instskip(SKIP_1) | instid1(VALU_DEP_4)
	v_add_nc_u32_e32 v7, s5, v5
	v_ashrrev_i32_e32 v6, 31, v5
	v_lshlrev_b64 v[3:4], 3, v[3:4]
	s_delay_alu instid0(VALU_DEP_3)
	v_add_nc_u32_e32 v9, s5, v7
	s_waitcnt lgkmcnt(0)
	s_add_u32 s2, s2, s6
	s_addc_u32 s3, s3, s7
	v_add_co_u32 v45, s4, s2, v121
	s_ashr_i32 s9, s5, 31
	v_add_co_ci_u32_e64 v46, null, s3, 0, s4
	s_lshl_b64 s[6:7], s[8:9], 3
	v_add_nc_u32_e32 v11, s5, v9
	v_add_co_u32 v43, vcc_lo, v45, s6
	s_delay_alu instid0(VALU_DEP_3)
	v_add_co_ci_u32_e32 v44, vcc_lo, s7, v46, vcc_lo
	v_lshlrev_b64 v[5:6], 3, v[5:6]
	v_add_co_u32 v39, vcc_lo, s2, v1
	v_add_nc_u32_e32 v1, s5, v11
	v_ashrrev_i32_e32 v8, 31, v7
	v_add_co_ci_u32_e32 v40, vcc_lo, s3, v2, vcc_lo
	v_add_co_u32 v35, vcc_lo, s2, v3
	v_ashrrev_i32_e32 v10, 31, v9
	v_add_co_ci_u32_e32 v36, vcc_lo, s3, v4, vcc_lo
	v_add_co_u32 v31, vcc_lo, s2, v5
	v_add_nc_u32_e32 v5, s5, v1
	v_lshlrev_b64 v[7:8], 3, v[7:8]
	v_ashrrev_i32_e32 v12, 31, v11
	v_lshlrev_b64 v[3:4], 3, v[9:10]
	v_add_co_ci_u32_e32 v32, vcc_lo, s3, v6, vcc_lo
	v_add_nc_u32_e32 v9, s5, v5
	s_clause 0x1
	global_load_b64 v[47:48], v121, s[2:3]
	global_load_b64 v[49:50], v[43:44], off
	v_add_co_u32 v23, vcc_lo, s2, v7
	v_ashrrev_i32_e32 v2, 31, v1
	v_add_co_ci_u32_e32 v24, vcc_lo, s3, v8, vcc_lo
	v_lshlrev_b64 v[7:8], 3, v[11:12]
	v_add_co_u32 v27, vcc_lo, s2, v3
	v_add_nc_u32_e32 v3, s5, v9
	v_lshlrev_b64 v[1:2], 3, v[1:2]
	v_ashrrev_i32_e32 v6, 31, v5
	v_add_co_ci_u32_e32 v28, vcc_lo, s3, v4, vcc_lo
	v_add_co_u32 v25, vcc_lo, s2, v7
	v_ashrrev_i32_e32 v10, 31, v9
	v_add_nc_u32_e32 v7, s5, v3
	v_add_co_ci_u32_e32 v26, vcc_lo, s3, v8, vcc_lo
	v_lshlrev_b64 v[5:6], 3, v[5:6]
	v_add_co_u32 v21, vcc_lo, s2, v1
	s_clause 0x3
	global_load_b64 v[57:58], v[23:24], off
	global_load_b64 v[59:60], v[39:40], off
	;; [unrolled: 1-line block ×4, first 2 shown]
	v_ashrrev_i32_e32 v4, 31, v3
	v_add_co_ci_u32_e32 v22, vcc_lo, s3, v2, vcc_lo
	v_lshlrev_b64 v[1:2], 3, v[9:10]
	v_add_nc_u32_e32 v9, s5, v7
	v_add_co_u32 v15, vcc_lo, s2, v5
	v_lshlrev_b64 v[3:4], 3, v[3:4]
	v_ashrrev_i32_e32 v8, 31, v7
	s_delay_alu instid0(VALU_DEP_4)
	v_add_nc_u32_e32 v5, s5, v9
	v_add_co_ci_u32_e32 v16, vcc_lo, s3, v6, vcc_lo
	v_add_co_u32 v19, vcc_lo, s2, v1
	v_ashrrev_i32_e32 v10, 31, v9
	v_add_co_ci_u32_e32 v20, vcc_lo, s3, v2, vcc_lo
	v_lshlrev_b64 v[1:2], 3, v[7:8]
	v_add_nc_u32_e32 v13, s5, v5
	v_add_co_u32 v17, vcc_lo, s2, v3
	v_add_co_ci_u32_e32 v18, vcc_lo, s3, v4, vcc_lo
	v_lshlrev_b64 v[3:4], 3, v[9:10]
	s_clause 0x2
	global_load_b64 v[63:64], v[27:28], off
	global_load_b64 v[65:66], v[25:26], off
	;; [unrolled: 1-line block ×3, first 2 shown]
	v_ashrrev_i32_e32 v6, 31, v5
	global_load_b64 v[69:70], v[15:16], off
	v_add_nc_u32_e32 v7, s5, v13
	v_add_co_u32 v11, vcc_lo, s2, v1
	v_add_co_ci_u32_e32 v12, vcc_lo, s3, v2, vcc_lo
	v_lshlrev_b64 v[1:2], 3, v[5:6]
	v_add_co_u32 v5, vcc_lo, s2, v3
	v_ashrrev_i32_e32 v14, 31, v13
	v_add_nc_u32_e32 v9, s5, v7
	v_add_co_ci_u32_e32 v6, vcc_lo, s3, v4, vcc_lo
	v_ashrrev_i32_e32 v8, 31, v7
	s_clause 0x2
	global_load_b64 v[71:72], v[19:20], off
	global_load_b64 v[73:74], v[17:18], off
	;; [unrolled: 1-line block ×3, first 2 shown]
	v_lshlrev_b64 v[3:4], 3, v[13:14]
	global_load_b64 v[77:78], v[5:6], off
	v_add_co_u32 v13, vcc_lo, s2, v1
	v_ashrrev_i32_e32 v10, 31, v9
	v_add_co_ci_u32_e32 v14, vcc_lo, s3, v2, vcc_lo
	v_lshlrev_b64 v[1:2], 3, v[7:8]
	v_add_nc_u32_e32 v29, s5, v9
	v_add_co_u32 v7, vcc_lo, s2, v3
	v_lshlrev_b64 v[9:10], 3, v[9:10]
	v_add_co_ci_u32_e32 v8, vcc_lo, s3, v4, vcc_lo
	v_add_co_u32 v3, vcc_lo, s2, v1
	v_add_co_ci_u32_e32 v4, vcc_lo, s3, v2, vcc_lo
	s_delay_alu instid0(VALU_DEP_4)
	v_add_co_u32 v1, vcc_lo, s2, v9
	v_add_co_ci_u32_e32 v2, vcc_lo, s3, v10, vcc_lo
	s_clause 0x2
	global_load_b64 v[79:80], v[13:14], off
	global_load_b64 v[81:82], v[7:8], off
	;; [unrolled: 1-line block ×3, first 2 shown]
	v_add_nc_u32_e32 v33, s5, v29
	v_ashrrev_i32_e32 v30, 31, v29
	global_load_b64 v[85:86], v[1:2], off
	s_cmpk_lg_i32 s1, 0x84
	v_add_nc_u32_e32 v37, s5, v33
	v_ashrrev_i32_e32 v34, 31, v33
	v_lshlrev_b64 v[9:10], 3, v[29:30]
	s_delay_alu instid0(VALU_DEP_3) | instskip(SKIP_1) | instid1(VALU_DEP_4)
	v_add_nc_u32_e32 v41, s5, v37
	v_ashrrev_i32_e32 v38, 31, v37
	v_lshlrev_b64 v[33:34], 3, v[33:34]
	s_delay_alu instid0(VALU_DEP_4) | instskip(NEXT) | instid1(VALU_DEP_4)
	v_add_co_u32 v29, vcc_lo, s2, v9
	v_add_nc_u32_e32 v51, s5, v41
	v_add_co_ci_u32_e32 v30, vcc_lo, s3, v10, vcc_lo
	v_lshlrev_b64 v[9:10], 3, v[37:38]
	v_ashrrev_i32_e32 v42, 31, v41
	s_delay_alu instid0(VALU_DEP_4) | instskip(SKIP_3) | instid1(VALU_DEP_4)
	v_add_nc_u32_e32 v53, s5, v51
	v_add_co_u32 v33, vcc_lo, s2, v33
	v_ashrrev_i32_e32 v52, 31, v51
	v_add_co_ci_u32_e32 v34, vcc_lo, s3, v34, vcc_lo
	v_add_nc_u32_e32 v95, s5, v53
	v_lshlrev_b64 v[41:42], 3, v[41:42]
	v_add_co_u32 v37, vcc_lo, s2, v9
	v_add_co_ci_u32_e32 v38, vcc_lo, s3, v10, vcc_lo
	s_delay_alu instid0(VALU_DEP_4) | instskip(SKIP_3) | instid1(VALU_DEP_4)
	v_add_nc_u32_e32 v97, s5, v95
	v_lshlrev_b64 v[51:52], 3, v[51:52]
	v_ashrrev_i32_e32 v54, 31, v53
	v_ashrrev_i32_e32 v96, 31, v95
	v_add_nc_u32_e32 v99, s5, v97
	v_ashrrev_i32_e32 v98, 31, v97
	s_delay_alu instid0(VALU_DEP_2) | instskip(SKIP_1) | instid1(VALU_DEP_2)
	v_add_nc_u32_e32 v103, s5, v99
	v_ashrrev_i32_e32 v100, 31, v99
	v_add_nc_u32_e32 v105, s5, v103
	v_ashrrev_i32_e32 v104, 31, v103
	s_delay_alu instid0(VALU_DEP_3) | instskip(NEXT) | instid1(VALU_DEP_3)
	v_lshlrev_b64 v[116:117], 3, v[99:100]
	v_add_nc_u32_e32 v107, s5, v105
	v_ashrrev_i32_e32 v106, 31, v105
	s_delay_alu instid0(VALU_DEP_2) | instskip(SKIP_1) | instid1(VALU_DEP_2)
	v_add_nc_u32_e32 v109, s5, v107
	v_ashrrev_i32_e32 v108, 31, v107
	v_add_nc_u32_e32 v111, s5, v109
	v_ashrrev_i32_e32 v110, 31, v109
	s_delay_alu instid0(VALU_DEP_2) | instskip(SKIP_1) | instid1(VALU_DEP_2)
	v_add_nc_u32_e32 v113, s5, v111
	v_ashrrev_i32_e32 v112, 31, v111
	v_add_nc_u32_e32 v115, s5, v113
	v_ashrrev_i32_e32 v114, 31, v113
	s_delay_alu instid0(VALU_DEP_2) | instskip(NEXT) | instid1(VALU_DEP_1)
	v_add_nc_u32_e32 v119, s5, v115
	v_add_nc_u32_e32 v122, s5, v119
	v_ashrrev_i32_e32 v120, 31, v119
	s_delay_alu instid0(VALU_DEP_2) | instskip(SKIP_1) | instid1(VALU_DEP_2)
	v_add_nc_u32_e32 v124, s5, v122
	v_ashrrev_i32_e32 v123, 31, v122
	v_add_nc_u32_e32 v126, s5, v124
	v_ashrrev_i32_e32 v125, 31, v124
	s_delay_alu instid0(VALU_DEP_2) | instskip(SKIP_1) | instid1(VALU_DEP_2)
	v_add_nc_u32_e32 v130, s5, v126
	v_ashrrev_i32_e32 v127, 31, v126
	;; [unrolled: 5-line block ×12, first 2 shown]
	v_ashrrev_i32_e32 v88, 31, v87
	s_delay_alu instid0(VALU_DEP_1) | instskip(NEXT) | instid1(VALU_DEP_1)
	v_lshlrev_b64 v[87:88], 3, v[87:88]
	v_add_co_u32 v9, vcc_lo, s2, v87
	s_delay_alu instid0(VALU_DEP_2)
	v_add_co_ci_u32_e32 v10, vcc_lo, s3, v88, vcc_lo
	v_add_co_u32 v41, vcc_lo, s2, v41
	v_add_co_ci_u32_e32 v42, vcc_lo, s3, v42, vcc_lo
	global_load_b64 v[170:171], v[9:10], off
	s_waitcnt vmcnt(17)
	scratch_store_b128 off, v[47:50], off
	v_lshlrev_b64 v[49:50], 3, v[53:54]
	v_add_co_u32 v47, vcc_lo, s2, v51
	v_add_co_ci_u32_e32 v48, vcc_lo, s3, v52, vcc_lo
	v_lshlrev_b64 v[51:52], 3, v[95:96]
	s_clause 0x2
	global_load_b64 v[87:88], v[29:30], off
	global_load_b64 v[89:90], v[33:34], off
	;; [unrolled: 1-line block ×3, first 2 shown]
	v_add_co_u32 v49, vcc_lo, s2, v49
	v_lshlrev_b64 v[53:54], 3, v[97:98]
	global_load_b64 v[93:94], v[41:42], off
	v_add_co_ci_u32_e32 v50, vcc_lo, s3, v50, vcc_lo
	v_add_co_u32 v51, vcc_lo, s2, v51
	v_add_co_ci_u32_e32 v52, vcc_lo, s3, v52, vcc_lo
	v_add_co_u32 v53, vcc_lo, s2, v53
	s_waitcnt vmcnt(18)
	scratch_store_b128 off, v[59:62], off offset:16
	s_waitcnt vmcnt(17)
	scratch_store_b128 off, v[55:58], off offset:32
	v_lshlrev_b64 v[57:58], 3, v[103:104]
	v_add_co_ci_u32_e32 v54, vcc_lo, s3, v54, vcc_lo
	v_add_co_u32 v55, vcc_lo, s2, v116
	v_lshlrev_b64 v[59:60], 3, v[105:106]
	v_add_co_ci_u32_e32 v56, vcc_lo, s3, v117, vcc_lo
	s_clause 0x3
	global_load_b64 v[95:96], v[47:48], off
	global_load_b64 v[97:98], v[49:50], off
	;; [unrolled: 1-line block ×4, first 2 shown]
	v_add_co_u32 v57, vcc_lo, s2, v57
	v_lshlrev_b64 v[61:62], 3, v[107:108]
	v_add_co_ci_u32_e32 v58, vcc_lo, s3, v58, vcc_lo
	v_add_co_u32 v59, vcc_lo, s2, v59
	v_lshlrev_b64 v[116:117], 3, v[109:110]
	v_add_co_ci_u32_e32 v60, vcc_lo, s3, v60, vcc_lo
	v_add_co_u32 v61, vcc_lo, s2, v61
	v_add_co_ci_u32_e32 v62, vcc_lo, s3, v62, vcc_lo
	s_waitcnt vmcnt(19)
	scratch_store_b128 off, v[63:66], off offset:48
	s_waitcnt vmcnt(17)
	scratch_store_b128 off, v[67:70], off offset:64
	v_lshlrev_b64 v[65:66], 3, v[111:112]
	v_add_co_u32 v63, vcc_lo, s2, v116
	v_ashrrev_i32_e32 v116, 31, v115
	v_lshlrev_b64 v[67:68], 3, v[113:114]
	s_clause 0x3
	global_load_b64 v[103:104], v[55:56], off
	global_load_b64 v[105:106], v[57:58], off
	;; [unrolled: 1-line block ×4, first 2 shown]
	v_add_co_ci_u32_e32 v64, vcc_lo, s3, v117, vcc_lo
	v_add_co_u32 v65, vcc_lo, s2, v65
	v_lshlrev_b64 v[69:70], 3, v[115:116]
	v_add_co_ci_u32_e32 v66, vcc_lo, s3, v66, vcc_lo
	v_add_co_u32 v67, vcc_lo, s2, v67
	v_add_co_ci_u32_e32 v68, vcc_lo, s3, v68, vcc_lo
	s_waitcnt vmcnt(19)
	scratch_store_b128 off, v[71:74], off offset:80
	s_waitcnt vmcnt(17)
	scratch_store_b128 off, v[75:78], off offset:96
	v_lshlrev_b64 v[71:72], 3, v[119:120]
	v_add_co_u32 v69, vcc_lo, s2, v69
	v_add_co_ci_u32_e32 v70, vcc_lo, s3, v70, vcc_lo
	v_lshlrev_b64 v[73:74], 3, v[122:123]
	s_clause 0x3
	global_load_b64 v[111:112], v[63:64], off
	global_load_b64 v[113:114], v[65:66], off
	;; [unrolled: 1-line block ×4, first 2 shown]
	v_add_co_u32 v71, vcc_lo, s2, v71
	v_lshlrev_b64 v[75:76], 3, v[124:125]
	v_add_co_ci_u32_e32 v72, vcc_lo, s3, v72, vcc_lo
	v_add_co_u32 v73, vcc_lo, s2, v73
	v_lshlrev_b64 v[77:78], 3, v[126:127]
	v_add_co_ci_u32_e32 v74, vcc_lo, s3, v74, vcc_lo
	v_add_co_u32 v75, vcc_lo, s2, v75
	v_add_co_ci_u32_e32 v76, vcc_lo, s3, v76, vcc_lo
	s_delay_alu instid0(VALU_DEP_4)
	v_add_co_u32 v77, vcc_lo, s2, v77
	v_add_co_ci_u32_e32 v78, vcc_lo, s3, v78, vcc_lo
	s_waitcnt vmcnt(19)
	scratch_store_b128 off, v[79:82], off offset:112
	s_waitcnt vmcnt(17)
	scratch_store_b128 off, v[83:86], off offset:128
	s_clause 0x3
	global_load_b64 v[122:123], v[71:72], off
	global_load_b64 v[124:125], v[73:74], off
	;; [unrolled: 1-line block ×4, first 2 shown]
	v_lshlrev_b64 v[79:80], 3, v[130:131]
	v_lshlrev_b64 v[81:82], 3, v[132:133]
	;; [unrolled: 1-line block ×5, first 2 shown]
	s_waitcnt vmcnt(18)
	scratch_store_b128 off, v[87:90], off offset:144
	s_waitcnt vmcnt(16)
	scratch_store_b128 off, v[91:94], off offset:160
	v_add_co_u32 v79, vcc_lo, s2, v79
	v_add_co_ci_u32_e32 v80, vcc_lo, s3, v80, vcc_lo
	v_add_co_u32 v81, vcc_lo, s2, v81
	v_add_co_ci_u32_e32 v82, vcc_lo, s3, v82, vcc_lo
	;; [unrolled: 2-line block ×3, first 2 shown]
	v_add_co_u32 v85, vcc_lo, s2, v85
	v_lshlrev_b64 v[89:90], 3, v[140:141]
	v_add_co_ci_u32_e32 v86, vcc_lo, s3, v86, vcc_lo
	v_add_co_u32 v87, vcc_lo, s2, v119
	v_lshlrev_b64 v[91:92], 3, v[142:143]
	v_add_co_ci_u32_e32 v88, vcc_lo, s3, v120, vcc_lo
	;; [unrolled: 3-line block ×4, first 2 shown]
	s_clause 0x2
	global_load_b64 v[130:131], v[79:80], off
	global_load_b64 v[132:133], v[81:82], off
	global_load_b64 v[134:135], v[83:84], off
	s_waitcnt vmcnt(17)
	scratch_store_b128 off, v[95:98], off offset:176
	s_waitcnt vmcnt(15)
	scratch_store_b128 off, v[99:102], off offset:192
	v_add_co_u32 v93, vcc_lo, s2, v93
	v_lshlrev_b64 v[97:98], 3, v[148:149]
	v_add_co_ci_u32_e32 v94, vcc_lo, s3, v94, vcc_lo
	v_add_co_u32 v95, vcc_lo, s2, v119
	v_lshlrev_b64 v[99:100], 3, v[150:151]
	v_add_co_ci_u32_e32 v96, vcc_lo, s3, v120, vcc_lo
	;; [unrolled: 3-line block ×4, first 2 shown]
	s_clause 0x3
	global_load_b64 v[136:137], v[85:86], off
	global_load_b64 v[138:139], v[87:88], off
	;; [unrolled: 1-line block ×4, first 2 shown]
	s_waitcnt vmcnt(17)
	scratch_store_b128 off, v[103:106], off offset:208
	s_waitcnt vmcnt(15)
	scratch_store_b128 off, v[107:110], off offset:224
	v_add_co_u32 v101, vcc_lo, s2, v101
	v_lshlrev_b64 v[105:106], 3, v[156:157]
	v_add_co_ci_u32_e32 v102, vcc_lo, s3, v102, vcc_lo
	v_add_co_u32 v103, vcc_lo, s2, v119
	v_lshlrev_b64 v[107:108], 3, v[158:159]
	v_add_co_ci_u32_e32 v104, vcc_lo, s3, v120, vcc_lo
	;; [unrolled: 3-line block ×4, first 2 shown]
	s_clause 0x3
	global_load_b64 v[144:145], v[93:94], off
	global_load_b64 v[146:147], v[95:96], off
	;; [unrolled: 1-line block ×4, first 2 shown]
	s_waitcnt vmcnt(17)
	scratch_store_b128 off, v[111:114], off offset:240
	s_waitcnt vmcnt(15)
	scratch_store_b128 off, v[115:118], off offset:256
	v_add_co_u32 v109, vcc_lo, s2, v109
	v_lshlrev_b64 v[113:114], 3, v[164:165]
	v_add_co_ci_u32_e32 v110, vcc_lo, s3, v110, vcc_lo
	v_add_co_u32 v111, vcc_lo, s2, v119
	v_lshlrev_b64 v[115:116], 3, v[166:167]
	v_add_co_ci_u32_e32 v112, vcc_lo, s3, v120, vcc_lo
	v_mov_b32_e32 v119, 0
	v_add_co_u32 v113, vcc_lo, s2, v113
	v_lshlrev_b64 v[117:118], 3, v[168:169]
	v_add_co_ci_u32_e32 v114, vcc_lo, s3, v114, vcc_lo
	v_add_co_u32 v115, vcc_lo, s2, v115
	v_add_co_ci_u32_e32 v116, vcc_lo, s3, v116, vcc_lo
	s_delay_alu instid0(VALU_DEP_4)
	v_add_co_u32 v117, vcc_lo, s2, v117
	s_clause 0x3
	global_load_b64 v[152:153], v[101:102], off
	global_load_b64 v[154:155], v[103:104], off
	;; [unrolled: 1-line block ×4, first 2 shown]
	v_add_co_ci_u32_e32 v118, vcc_lo, s3, v118, vcc_lo
	s_waitcnt vmcnt(17)
	scratch_store_b128 off, v[122:125], off offset:272
	s_waitcnt vmcnt(15)
	scratch_store_b128 off, v[126:129], off offset:288
	s_clause 0x4
	global_load_b64 v[160:161], v[109:110], off
	global_load_b64 v[122:123], v[111:112], off
	;; [unrolled: 1-line block ×5, first 2 shown]
	v_mov_b32_e32 v120, 0xbff00000
	s_cselect_b32 s3, -1, 0
	s_cmpk_eq_i32 s1, 0x84
	s_waitcnt vmcnt(18)
	scratch_store_b128 off, v[130:133], off offset:304
	s_waitcnt vmcnt(16)
	scratch_store_b128 off, v[134:137], off offset:320
	;; [unrolled: 2-line block ×9, first 2 shown]
	s_waitcnt vmcnt(0)
	s_clause 0x1
	scratch_store_b128 off, v[126:129], off offset:448
	scratch_store_b64 off, v[170:171], off offset:464
	s_cbranch_scc1 .LBB122_3
; %bb.2:
	scratch_load_b64 v[119:120], v121, off
	s_waitcnt vmcnt(0)
	v_div_scale_f64 v[122:123], null, v[119:120], v[119:120], 1.0
	v_div_scale_f64 v[128:129], vcc_lo, 1.0, v[119:120], 1.0
	s_delay_alu instid0(VALU_DEP_2) | instskip(SKIP_2) | instid1(VALU_DEP_1)
	v_rcp_f64_e32 v[124:125], v[122:123]
	s_waitcnt_depctr 0xfff
	v_fma_f64 v[126:127], -v[122:123], v[124:125], 1.0
	v_fma_f64 v[124:125], v[124:125], v[126:127], v[124:125]
	s_delay_alu instid0(VALU_DEP_1) | instskip(NEXT) | instid1(VALU_DEP_1)
	v_fma_f64 v[126:127], -v[122:123], v[124:125], 1.0
	v_fma_f64 v[124:125], v[124:125], v[126:127], v[124:125]
	s_delay_alu instid0(VALU_DEP_1) | instskip(NEXT) | instid1(VALU_DEP_1)
	v_mul_f64 v[126:127], v[128:129], v[124:125]
	v_fma_f64 v[122:123], -v[122:123], v[126:127], v[128:129]
	s_delay_alu instid0(VALU_DEP_1) | instskip(NEXT) | instid1(VALU_DEP_1)
	v_div_fmas_f64 v[122:123], v[122:123], v[124:125], v[126:127]
	v_div_fixup_f64 v[119:120], v[122:123], v[119:120], 1.0
	scratch_store_b64 v121, v[119:120], off
	v_xor_b32_e32 v120, 0x80000000, v120
.LBB122_3:
	v_add_nc_u32_e32 v122, 0x1e0, v121
	v_add_nc_u32_e32 v123, 0, v121
	s_cmpk_eq_i32 s0, 0x79
	s_mov_b32 s0, -1
	ds_store_b64 v121, v[119:120]
	s_cbranch_scc1 .LBB122_579
; %bb.4:
	scratch_load_b64 v[119:120], off, off offset:456
	v_cmp_eq_u32_e64 s0, 58, v0
	s_movk_i32 s1, 0x50
	s_movk_i32 s2, 0x60
	;; [unrolled: 1-line block ×24, first 2 shown]
	s_waitcnt vmcnt(0)
	ds_store_b64 v122, v[119:120]
	s_waitcnt lgkmcnt(0)
	s_waitcnt_vscnt null, 0x0
	s_barrier
	buffer_gl0_inv
	s_and_saveexec_b32 s26, s0
	s_cbranch_execz .LBB122_10
; %bb.5:
	s_and_b32 vcc_lo, exec_lo, s3
	s_cbranch_vccz .LBB122_7
; %bb.6:
	scratch_load_b64 v[119:120], v123, off
	ds_load_b64 v[124:125], v122
	s_waitcnt vmcnt(0) lgkmcnt(0)
	v_mul_f64 v[119:120], v[119:120], v[124:125]
	s_cbranch_execz .LBB122_8
	s_branch .LBB122_9
.LBB122_7:
                                        ; implicit-def: $vgpr119_vgpr120
.LBB122_8:
	ds_load_b64 v[119:120], v122
.LBB122_9:
	v_mov_b32_e32 v124, 0
	ds_load_b64 v[124:125], v124 offset:456
	s_waitcnt lgkmcnt(0)
	v_mul_f64 v[119:120], v[119:120], v[124:125]
	scratch_store_b64 off, v[119:120], off offset:456
.LBB122_10:
	s_or_b32 exec_lo, exec_lo, s26
	scratch_load_b64 v[119:120], off, off offset:448
	v_add_nc_u32_e64 v124, 0, 16
	v_add_nc_u32_e64 v125, 0, 32
	;; [unrolled: 1-line block ×28, first 2 shown]
	v_cmp_lt_u32_e64 s2, 56, v0
	s_waitcnt vmcnt(0)
	ds_store_b64 v122, v[119:120]
	s_waitcnt lgkmcnt(0)
	s_waitcnt_vscnt null, 0x0
	s_barrier
	buffer_gl0_inv
	s_and_saveexec_b32 s1, s2
	s_cbranch_execz .LBB122_18
; %bb.11:
	s_and_not1_b32 vcc_lo, exec_lo, s3
	s_cbranch_vccnz .LBB122_13
; %bb.12:
	scratch_load_b64 v[119:120], v123, off
	ds_load_b64 v[152:153], v122
	s_waitcnt vmcnt(0) lgkmcnt(0)
	v_mul_f64 v[119:120], v[119:120], v[152:153]
	s_cbranch_execz .LBB122_14
	s_branch .LBB122_15
.LBB122_13:
                                        ; implicit-def: $vgpr119_vgpr120
.LBB122_14:
	ds_load_b64 v[119:120], v122
.LBB122_15:
	s_and_saveexec_b32 s4, s0
	s_cbranch_execz .LBB122_17
; %bb.16:
	scratch_load_b64 v[152:153], off, off offset:456
	v_mov_b32_e32 v154, 0
	ds_load_b64 v[154:155], v154 offset:936
	s_waitcnt vmcnt(0) lgkmcnt(0)
	v_fma_f64 v[119:120], v[152:153], v[154:155], v[119:120]
.LBB122_17:
	s_or_b32 exec_lo, exec_lo, s4
	v_mov_b32_e32 v152, 0
	ds_load_b64 v[152:153], v152 offset:448
	s_waitcnt lgkmcnt(0)
	v_mul_f64 v[119:120], v[119:120], v[152:153]
	scratch_store_b64 off, v[119:120], off offset:448
.LBB122_18:
	s_or_b32 exec_lo, exec_lo, s1
	scratch_load_b64 v[119:120], off, off offset:440
	v_cmp_lt_u32_e64 s1, 55, v0
	s_waitcnt vmcnt(0)
	ds_store_b64 v122, v[119:120]
	s_waitcnt lgkmcnt(0)
	s_waitcnt_vscnt null, 0x0
	s_barrier
	buffer_gl0_inv
	s_and_saveexec_b32 s0, s1
	s_cbranch_execz .LBB122_28
; %bb.19:
	s_and_not1_b32 vcc_lo, exec_lo, s3
	s_cbranch_vccnz .LBB122_21
; %bb.20:
	scratch_load_b64 v[119:120], v123, off
	ds_load_b64 v[152:153], v122
	s_waitcnt vmcnt(0) lgkmcnt(0)
	v_mul_f64 v[119:120], v[119:120], v[152:153]
	s_cbranch_execz .LBB122_22
	s_branch .LBB122_23
.LBB122_21:
                                        ; implicit-def: $vgpr119_vgpr120
.LBB122_22:
	ds_load_b64 v[119:120], v122
.LBB122_23:
	s_and_saveexec_b32 s4, s2
	s_cbranch_execz .LBB122_27
; %bb.24:
	v_subrev_nc_u32_e32 v152, 56, v0
	s_movk_i32 s5, 0x3a0
	s_mov_b32 s2, 0
.LBB122_25:                             ; =>This Inner Loop Header: Depth=1
	scratch_load_b64 v[153:154], v151, off
	v_dual_mov_b32 v155, s5 :: v_dual_add_nc_u32 v152, -1, v152
	v_add_nc_u32_e32 v151, 8, v151
	s_add_i32 s5, s5, 8
	ds_load_b64 v[155:156], v155
	v_cmp_eq_u32_e32 vcc_lo, 0, v152
	s_or_b32 s2, vcc_lo, s2
	s_waitcnt vmcnt(0) lgkmcnt(0)
	v_fma_f64 v[119:120], v[153:154], v[155:156], v[119:120]
	s_and_not1_b32 exec_lo, exec_lo, s2
	s_cbranch_execnz .LBB122_25
; %bb.26:
	s_or_b32 exec_lo, exec_lo, s2
.LBB122_27:
	s_delay_alu instid0(SALU_CYCLE_1)
	s_or_b32 exec_lo, exec_lo, s4
	v_mov_b32_e32 v151, 0
	ds_load_b64 v[151:152], v151 offset:440
	s_waitcnt lgkmcnt(0)
	v_mul_f64 v[119:120], v[119:120], v[151:152]
	scratch_store_b64 off, v[119:120], off offset:440
.LBB122_28:
	s_or_b32 exec_lo, exec_lo, s0
	scratch_load_b64 v[119:120], off, off offset:432
	v_cmp_lt_u32_e64 s0, 54, v0
	s_waitcnt vmcnt(0)
	ds_store_b64 v122, v[119:120]
	s_waitcnt lgkmcnt(0)
	s_waitcnt_vscnt null, 0x0
	s_barrier
	buffer_gl0_inv
	s_and_saveexec_b32 s2, s0
	s_cbranch_execz .LBB122_38
; %bb.29:
	s_and_not1_b32 vcc_lo, exec_lo, s3
	s_cbranch_vccnz .LBB122_31
; %bb.30:
	scratch_load_b64 v[119:120], v123, off
	ds_load_b64 v[151:152], v122
	s_waitcnt vmcnt(0) lgkmcnt(0)
	v_mul_f64 v[119:120], v[119:120], v[151:152]
	s_cbranch_execz .LBB122_32
	s_branch .LBB122_33
.LBB122_31:
                                        ; implicit-def: $vgpr119_vgpr120
.LBB122_32:
	ds_load_b64 v[119:120], v122
.LBB122_33:
	s_and_saveexec_b32 s4, s1
	s_cbranch_execz .LBB122_37
; %bb.34:
	v_mov_b32_e32 v151, 0
	v_subrev_nc_u32_e32 v152, 55, v0
	s_movk_i32 s5, 0x398
	s_mov_b32 s1, 0
	s_delay_alu instid0(VALU_DEP_2)
	v_add_nc_u32_e32 v151, 0x1b8, v151
.LBB122_35:                             ; =>This Inner Loop Header: Depth=1
	scratch_load_b64 v[153:154], v151, off
	v_dual_mov_b32 v155, s5 :: v_dual_add_nc_u32 v152, -1, v152
	v_add_nc_u32_e32 v151, 8, v151
	s_add_i32 s5, s5, 8
	ds_load_b64 v[155:156], v155
	v_cmp_eq_u32_e32 vcc_lo, 0, v152
	s_or_b32 s1, vcc_lo, s1
	s_waitcnt vmcnt(0) lgkmcnt(0)
	v_fma_f64 v[119:120], v[153:154], v[155:156], v[119:120]
	s_and_not1_b32 exec_lo, exec_lo, s1
	s_cbranch_execnz .LBB122_35
; %bb.36:
	s_or_b32 exec_lo, exec_lo, s1
.LBB122_37:
	s_delay_alu instid0(SALU_CYCLE_1)
	s_or_b32 exec_lo, exec_lo, s4
	v_mov_b32_e32 v151, 0
	ds_load_b64 v[151:152], v151 offset:432
	s_waitcnt lgkmcnt(0)
	v_mul_f64 v[119:120], v[119:120], v[151:152]
	scratch_store_b64 off, v[119:120], off offset:432
.LBB122_38:
	s_or_b32 exec_lo, exec_lo, s2
	scratch_load_b64 v[119:120], off, off offset:424
	v_cmp_lt_u32_e64 s1, 53, v0
	s_waitcnt vmcnt(0)
	ds_store_b64 v122, v[119:120]
	s_waitcnt lgkmcnt(0)
	s_waitcnt_vscnt null, 0x0
	s_barrier
	buffer_gl0_inv
	s_and_saveexec_b32 s2, s1
	s_cbranch_execz .LBB122_48
; %bb.39:
	s_and_not1_b32 vcc_lo, exec_lo, s3
	s_cbranch_vccnz .LBB122_41
; %bb.40:
	scratch_load_b64 v[119:120], v123, off
	ds_load_b64 v[151:152], v122
	s_waitcnt vmcnt(0) lgkmcnt(0)
	v_mul_f64 v[119:120], v[119:120], v[151:152]
	s_cbranch_execz .LBB122_42
	s_branch .LBB122_43
.LBB122_41:
                                        ; implicit-def: $vgpr119_vgpr120
.LBB122_42:
	ds_load_b64 v[119:120], v122
.LBB122_43:
	s_and_saveexec_b32 s4, s0
	s_cbranch_execz .LBB122_47
; %bb.44:
	v_subrev_nc_u32_e32 v151, 54, v0
	s_movk_i32 s5, 0x390
	s_mov_b32 s0, 0
.LBB122_45:                             ; =>This Inner Loop Header: Depth=1
	scratch_load_b64 v[152:153], v150, off
	v_dual_mov_b32 v154, s5 :: v_dual_add_nc_u32 v151, -1, v151
	v_add_nc_u32_e32 v150, 8, v150
	s_add_i32 s5, s5, 8
	ds_load_b64 v[154:155], v154
	v_cmp_eq_u32_e32 vcc_lo, 0, v151
	s_or_b32 s0, vcc_lo, s0
	s_waitcnt vmcnt(0) lgkmcnt(0)
	v_fma_f64 v[119:120], v[152:153], v[154:155], v[119:120]
	s_and_not1_b32 exec_lo, exec_lo, s0
	s_cbranch_execnz .LBB122_45
; %bb.46:
	s_or_b32 exec_lo, exec_lo, s0
.LBB122_47:
	s_delay_alu instid0(SALU_CYCLE_1)
	s_or_b32 exec_lo, exec_lo, s4
	v_mov_b32_e32 v150, 0
	ds_load_b64 v[150:151], v150 offset:424
	s_waitcnt lgkmcnt(0)
	v_mul_f64 v[119:120], v[119:120], v[150:151]
	scratch_store_b64 off, v[119:120], off offset:424
.LBB122_48:
	s_or_b32 exec_lo, exec_lo, s2
	scratch_load_b64 v[119:120], off, off offset:416
	v_cmp_lt_u32_e64 s0, 52, v0
	s_waitcnt vmcnt(0)
	ds_store_b64 v122, v[119:120]
	s_waitcnt lgkmcnt(0)
	s_waitcnt_vscnt null, 0x0
	s_barrier
	buffer_gl0_inv
	s_and_saveexec_b32 s2, s0
	s_cbranch_execz .LBB122_58
; %bb.49:
	s_and_not1_b32 vcc_lo, exec_lo, s3
	s_cbranch_vccnz .LBB122_51
; %bb.50:
	scratch_load_b64 v[119:120], v123, off
	ds_load_b64 v[150:151], v122
	s_waitcnt vmcnt(0) lgkmcnt(0)
	v_mul_f64 v[119:120], v[119:120], v[150:151]
	s_cbranch_execz .LBB122_52
	s_branch .LBB122_53
.LBB122_51:
                                        ; implicit-def: $vgpr119_vgpr120
.LBB122_52:
	ds_load_b64 v[119:120], v122
.LBB122_53:
	s_and_saveexec_b32 s4, s1
	s_cbranch_execz .LBB122_57
; %bb.54:
	v_mov_b32_e32 v150, 0
	v_subrev_nc_u32_e32 v151, 53, v0
	s_movk_i32 s5, 0x388
	s_mov_b32 s1, 0
	s_delay_alu instid0(VALU_DEP_2)
	v_add_nc_u32_e32 v150, 0x1a8, v150
.LBB122_55:                             ; =>This Inner Loop Header: Depth=1
	scratch_load_b64 v[152:153], v150, off
	v_dual_mov_b32 v154, s5 :: v_dual_add_nc_u32 v151, -1, v151
	v_add_nc_u32_e32 v150, 8, v150
	s_add_i32 s5, s5, 8
	ds_load_b64 v[154:155], v154
	v_cmp_eq_u32_e32 vcc_lo, 0, v151
	s_or_b32 s1, vcc_lo, s1
	s_waitcnt vmcnt(0) lgkmcnt(0)
	v_fma_f64 v[119:120], v[152:153], v[154:155], v[119:120]
	s_and_not1_b32 exec_lo, exec_lo, s1
	s_cbranch_execnz .LBB122_55
; %bb.56:
	s_or_b32 exec_lo, exec_lo, s1
.LBB122_57:
	s_delay_alu instid0(SALU_CYCLE_1)
	s_or_b32 exec_lo, exec_lo, s4
	v_mov_b32_e32 v150, 0
	ds_load_b64 v[150:151], v150 offset:416
	s_waitcnt lgkmcnt(0)
	v_mul_f64 v[119:120], v[119:120], v[150:151]
	scratch_store_b64 off, v[119:120], off offset:416
.LBB122_58:
	s_or_b32 exec_lo, exec_lo, s2
	scratch_load_b64 v[119:120], off, off offset:408
	v_cmp_lt_u32_e64 s1, 51, v0
	s_waitcnt vmcnt(0)
	ds_store_b64 v122, v[119:120]
	s_waitcnt lgkmcnt(0)
	s_waitcnt_vscnt null, 0x0
	s_barrier
	buffer_gl0_inv
	s_and_saveexec_b32 s2, s1
	s_cbranch_execz .LBB122_68
; %bb.59:
	s_and_not1_b32 vcc_lo, exec_lo, s3
	s_cbranch_vccnz .LBB122_61
; %bb.60:
	scratch_load_b64 v[119:120], v123, off
	ds_load_b64 v[150:151], v122
	s_waitcnt vmcnt(0) lgkmcnt(0)
	v_mul_f64 v[119:120], v[119:120], v[150:151]
	s_cbranch_execz .LBB122_62
	s_branch .LBB122_63
.LBB122_61:
                                        ; implicit-def: $vgpr119_vgpr120
.LBB122_62:
	ds_load_b64 v[119:120], v122
.LBB122_63:
	s_and_saveexec_b32 s4, s0
	s_cbranch_execz .LBB122_67
; %bb.64:
	v_subrev_nc_u32_e32 v150, 52, v0
	s_movk_i32 s5, 0x380
	s_mov_b32 s0, 0
.LBB122_65:                             ; =>This Inner Loop Header: Depth=1
	scratch_load_b64 v[151:152], v149, off
	v_dual_mov_b32 v153, s5 :: v_dual_add_nc_u32 v150, -1, v150
	v_add_nc_u32_e32 v149, 8, v149
	s_add_i32 s5, s5, 8
	ds_load_b64 v[153:154], v153
	v_cmp_eq_u32_e32 vcc_lo, 0, v150
	s_or_b32 s0, vcc_lo, s0
	s_waitcnt vmcnt(0) lgkmcnt(0)
	v_fma_f64 v[119:120], v[151:152], v[153:154], v[119:120]
	s_and_not1_b32 exec_lo, exec_lo, s0
	s_cbranch_execnz .LBB122_65
; %bb.66:
	s_or_b32 exec_lo, exec_lo, s0
.LBB122_67:
	s_delay_alu instid0(SALU_CYCLE_1)
	s_or_b32 exec_lo, exec_lo, s4
	v_mov_b32_e32 v149, 0
	ds_load_b64 v[149:150], v149 offset:408
	s_waitcnt lgkmcnt(0)
	v_mul_f64 v[119:120], v[119:120], v[149:150]
	scratch_store_b64 off, v[119:120], off offset:408
.LBB122_68:
	s_or_b32 exec_lo, exec_lo, s2
	scratch_load_b64 v[119:120], off, off offset:400
	v_cmp_lt_u32_e64 s0, 50, v0
	s_waitcnt vmcnt(0)
	ds_store_b64 v122, v[119:120]
	s_waitcnt lgkmcnt(0)
	s_waitcnt_vscnt null, 0x0
	s_barrier
	buffer_gl0_inv
	s_and_saveexec_b32 s2, s0
	s_cbranch_execz .LBB122_78
; %bb.69:
	s_and_not1_b32 vcc_lo, exec_lo, s3
	s_cbranch_vccnz .LBB122_71
; %bb.70:
	scratch_load_b64 v[119:120], v123, off
	ds_load_b64 v[149:150], v122
	s_waitcnt vmcnt(0) lgkmcnt(0)
	v_mul_f64 v[119:120], v[119:120], v[149:150]
	s_cbranch_execz .LBB122_72
	s_branch .LBB122_73
.LBB122_71:
                                        ; implicit-def: $vgpr119_vgpr120
.LBB122_72:
	ds_load_b64 v[119:120], v122
.LBB122_73:
	s_and_saveexec_b32 s4, s1
	s_cbranch_execz .LBB122_77
; %bb.74:
	v_mov_b32_e32 v149, 0
	v_subrev_nc_u32_e32 v150, 51, v0
	s_movk_i32 s5, 0x378
	s_mov_b32 s1, 0
	s_delay_alu instid0(VALU_DEP_2)
	v_add_nc_u32_e32 v149, 0x198, v149
.LBB122_75:                             ; =>This Inner Loop Header: Depth=1
	scratch_load_b64 v[151:152], v149, off
	v_dual_mov_b32 v153, s5 :: v_dual_add_nc_u32 v150, -1, v150
	v_add_nc_u32_e32 v149, 8, v149
	s_add_i32 s5, s5, 8
	ds_load_b64 v[153:154], v153
	v_cmp_eq_u32_e32 vcc_lo, 0, v150
	s_or_b32 s1, vcc_lo, s1
	s_waitcnt vmcnt(0) lgkmcnt(0)
	v_fma_f64 v[119:120], v[151:152], v[153:154], v[119:120]
	s_and_not1_b32 exec_lo, exec_lo, s1
	s_cbranch_execnz .LBB122_75
; %bb.76:
	s_or_b32 exec_lo, exec_lo, s1
.LBB122_77:
	s_delay_alu instid0(SALU_CYCLE_1)
	s_or_b32 exec_lo, exec_lo, s4
	v_mov_b32_e32 v149, 0
	ds_load_b64 v[149:150], v149 offset:400
	s_waitcnt lgkmcnt(0)
	v_mul_f64 v[119:120], v[119:120], v[149:150]
	scratch_store_b64 off, v[119:120], off offset:400
.LBB122_78:
	s_or_b32 exec_lo, exec_lo, s2
	scratch_load_b64 v[119:120], off, off offset:392
	v_cmp_lt_u32_e64 s1, 49, v0
	s_waitcnt vmcnt(0)
	ds_store_b64 v122, v[119:120]
	s_waitcnt lgkmcnt(0)
	s_waitcnt_vscnt null, 0x0
	s_barrier
	buffer_gl0_inv
	s_and_saveexec_b32 s2, s1
	s_cbranch_execz .LBB122_88
; %bb.79:
	s_and_not1_b32 vcc_lo, exec_lo, s3
	s_cbranch_vccnz .LBB122_81
; %bb.80:
	scratch_load_b64 v[119:120], v123, off
	ds_load_b64 v[149:150], v122
	s_waitcnt vmcnt(0) lgkmcnt(0)
	v_mul_f64 v[119:120], v[119:120], v[149:150]
	s_cbranch_execz .LBB122_82
	s_branch .LBB122_83
.LBB122_81:
                                        ; implicit-def: $vgpr119_vgpr120
.LBB122_82:
	ds_load_b64 v[119:120], v122
.LBB122_83:
	s_and_saveexec_b32 s4, s0
	s_cbranch_execz .LBB122_87
; %bb.84:
	v_subrev_nc_u32_e32 v149, 50, v0
	s_movk_i32 s5, 0x370
	s_mov_b32 s0, 0
.LBB122_85:                             ; =>This Inner Loop Header: Depth=1
	scratch_load_b64 v[150:151], v148, off
	v_dual_mov_b32 v152, s5 :: v_dual_add_nc_u32 v149, -1, v149
	v_add_nc_u32_e32 v148, 8, v148
	s_add_i32 s5, s5, 8
	ds_load_b64 v[152:153], v152
	v_cmp_eq_u32_e32 vcc_lo, 0, v149
	s_or_b32 s0, vcc_lo, s0
	s_waitcnt vmcnt(0) lgkmcnt(0)
	v_fma_f64 v[119:120], v[150:151], v[152:153], v[119:120]
	s_and_not1_b32 exec_lo, exec_lo, s0
	s_cbranch_execnz .LBB122_85
; %bb.86:
	s_or_b32 exec_lo, exec_lo, s0
.LBB122_87:
	s_delay_alu instid0(SALU_CYCLE_1)
	s_or_b32 exec_lo, exec_lo, s4
	v_mov_b32_e32 v148, 0
	ds_load_b64 v[148:149], v148 offset:392
	s_waitcnt lgkmcnt(0)
	v_mul_f64 v[119:120], v[119:120], v[148:149]
	scratch_store_b64 off, v[119:120], off offset:392
.LBB122_88:
	s_or_b32 exec_lo, exec_lo, s2
	scratch_load_b64 v[119:120], off, off offset:384
	v_cmp_lt_u32_e64 s0, 48, v0
	s_waitcnt vmcnt(0)
	ds_store_b64 v122, v[119:120]
	s_waitcnt lgkmcnt(0)
	s_waitcnt_vscnt null, 0x0
	s_barrier
	buffer_gl0_inv
	s_and_saveexec_b32 s2, s0
	s_cbranch_execz .LBB122_98
; %bb.89:
	s_and_not1_b32 vcc_lo, exec_lo, s3
	s_cbranch_vccnz .LBB122_91
; %bb.90:
	scratch_load_b64 v[119:120], v123, off
	ds_load_b64 v[148:149], v122
	s_waitcnt vmcnt(0) lgkmcnt(0)
	v_mul_f64 v[119:120], v[119:120], v[148:149]
	s_cbranch_execz .LBB122_92
	s_branch .LBB122_93
.LBB122_91:
                                        ; implicit-def: $vgpr119_vgpr120
.LBB122_92:
	ds_load_b64 v[119:120], v122
.LBB122_93:
	s_and_saveexec_b32 s4, s1
	s_cbranch_execz .LBB122_97
; %bb.94:
	v_mov_b32_e32 v148, 0
	v_subrev_nc_u32_e32 v149, 49, v0
	s_movk_i32 s5, 0x368
	s_mov_b32 s1, 0
	s_delay_alu instid0(VALU_DEP_2)
	v_add_nc_u32_e32 v148, 0x188, v148
.LBB122_95:                             ; =>This Inner Loop Header: Depth=1
	scratch_load_b64 v[150:151], v148, off
	v_dual_mov_b32 v152, s5 :: v_dual_add_nc_u32 v149, -1, v149
	v_add_nc_u32_e32 v148, 8, v148
	s_add_i32 s5, s5, 8
	ds_load_b64 v[152:153], v152
	v_cmp_eq_u32_e32 vcc_lo, 0, v149
	s_or_b32 s1, vcc_lo, s1
	s_waitcnt vmcnt(0) lgkmcnt(0)
	v_fma_f64 v[119:120], v[150:151], v[152:153], v[119:120]
	s_and_not1_b32 exec_lo, exec_lo, s1
	s_cbranch_execnz .LBB122_95
; %bb.96:
	s_or_b32 exec_lo, exec_lo, s1
.LBB122_97:
	s_delay_alu instid0(SALU_CYCLE_1)
	s_or_b32 exec_lo, exec_lo, s4
	v_mov_b32_e32 v148, 0
	ds_load_b64 v[148:149], v148 offset:384
	s_waitcnt lgkmcnt(0)
	v_mul_f64 v[119:120], v[119:120], v[148:149]
	scratch_store_b64 off, v[119:120], off offset:384
.LBB122_98:
	s_or_b32 exec_lo, exec_lo, s2
	scratch_load_b64 v[119:120], off, off offset:376
	v_cmp_lt_u32_e64 s1, 47, v0
	s_waitcnt vmcnt(0)
	ds_store_b64 v122, v[119:120]
	s_waitcnt lgkmcnt(0)
	s_waitcnt_vscnt null, 0x0
	s_barrier
	buffer_gl0_inv
	s_and_saveexec_b32 s2, s1
	s_cbranch_execz .LBB122_108
; %bb.99:
	s_and_not1_b32 vcc_lo, exec_lo, s3
	s_cbranch_vccnz .LBB122_101
; %bb.100:
	scratch_load_b64 v[119:120], v123, off
	ds_load_b64 v[148:149], v122
	s_waitcnt vmcnt(0) lgkmcnt(0)
	v_mul_f64 v[119:120], v[119:120], v[148:149]
	s_cbranch_execz .LBB122_102
	s_branch .LBB122_103
.LBB122_101:
                                        ; implicit-def: $vgpr119_vgpr120
.LBB122_102:
	ds_load_b64 v[119:120], v122
.LBB122_103:
	s_and_saveexec_b32 s4, s0
	s_cbranch_execz .LBB122_107
; %bb.104:
	v_subrev_nc_u32_e32 v148, 48, v0
	s_movk_i32 s5, 0x360
	s_mov_b32 s0, 0
.LBB122_105:                            ; =>This Inner Loop Header: Depth=1
	scratch_load_b64 v[149:150], v147, off
	v_dual_mov_b32 v151, s5 :: v_dual_add_nc_u32 v148, -1, v148
	v_add_nc_u32_e32 v147, 8, v147
	s_add_i32 s5, s5, 8
	ds_load_b64 v[151:152], v151
	v_cmp_eq_u32_e32 vcc_lo, 0, v148
	s_or_b32 s0, vcc_lo, s0
	s_waitcnt vmcnt(0) lgkmcnt(0)
	v_fma_f64 v[119:120], v[149:150], v[151:152], v[119:120]
	s_and_not1_b32 exec_lo, exec_lo, s0
	s_cbranch_execnz .LBB122_105
; %bb.106:
	s_or_b32 exec_lo, exec_lo, s0
.LBB122_107:
	s_delay_alu instid0(SALU_CYCLE_1)
	s_or_b32 exec_lo, exec_lo, s4
	v_mov_b32_e32 v147, 0
	ds_load_b64 v[147:148], v147 offset:376
	s_waitcnt lgkmcnt(0)
	v_mul_f64 v[119:120], v[119:120], v[147:148]
	scratch_store_b64 off, v[119:120], off offset:376
.LBB122_108:
	s_or_b32 exec_lo, exec_lo, s2
	scratch_load_b64 v[119:120], off, off offset:368
	v_cmp_lt_u32_e64 s0, 46, v0
	s_waitcnt vmcnt(0)
	ds_store_b64 v122, v[119:120]
	s_waitcnt lgkmcnt(0)
	s_waitcnt_vscnt null, 0x0
	s_barrier
	buffer_gl0_inv
	s_and_saveexec_b32 s2, s0
	s_cbranch_execz .LBB122_118
; %bb.109:
	s_and_not1_b32 vcc_lo, exec_lo, s3
	s_cbranch_vccnz .LBB122_111
; %bb.110:
	scratch_load_b64 v[119:120], v123, off
	ds_load_b64 v[147:148], v122
	s_waitcnt vmcnt(0) lgkmcnt(0)
	v_mul_f64 v[119:120], v[119:120], v[147:148]
	s_cbranch_execz .LBB122_112
	s_branch .LBB122_113
.LBB122_111:
                                        ; implicit-def: $vgpr119_vgpr120
.LBB122_112:
	ds_load_b64 v[119:120], v122
.LBB122_113:
	s_and_saveexec_b32 s4, s1
	s_cbranch_execz .LBB122_117
; %bb.114:
	v_mov_b32_e32 v147, 0
	v_subrev_nc_u32_e32 v148, 47, v0
	s_movk_i32 s5, 0x358
	s_mov_b32 s1, 0
	s_delay_alu instid0(VALU_DEP_2)
	v_add_nc_u32_e32 v147, 0x178, v147
.LBB122_115:                            ; =>This Inner Loop Header: Depth=1
	scratch_load_b64 v[149:150], v147, off
	v_dual_mov_b32 v151, s5 :: v_dual_add_nc_u32 v148, -1, v148
	v_add_nc_u32_e32 v147, 8, v147
	s_add_i32 s5, s5, 8
	ds_load_b64 v[151:152], v151
	v_cmp_eq_u32_e32 vcc_lo, 0, v148
	s_or_b32 s1, vcc_lo, s1
	s_waitcnt vmcnt(0) lgkmcnt(0)
	v_fma_f64 v[119:120], v[149:150], v[151:152], v[119:120]
	s_and_not1_b32 exec_lo, exec_lo, s1
	s_cbranch_execnz .LBB122_115
; %bb.116:
	s_or_b32 exec_lo, exec_lo, s1
.LBB122_117:
	s_delay_alu instid0(SALU_CYCLE_1)
	s_or_b32 exec_lo, exec_lo, s4
	v_mov_b32_e32 v147, 0
	ds_load_b64 v[147:148], v147 offset:368
	s_waitcnt lgkmcnt(0)
	v_mul_f64 v[119:120], v[119:120], v[147:148]
	scratch_store_b64 off, v[119:120], off offset:368
.LBB122_118:
	s_or_b32 exec_lo, exec_lo, s2
	scratch_load_b64 v[119:120], off, off offset:360
	v_cmp_lt_u32_e64 s1, 45, v0
	s_waitcnt vmcnt(0)
	ds_store_b64 v122, v[119:120]
	s_waitcnt lgkmcnt(0)
	s_waitcnt_vscnt null, 0x0
	s_barrier
	buffer_gl0_inv
	s_and_saveexec_b32 s2, s1
	s_cbranch_execz .LBB122_128
; %bb.119:
	s_and_not1_b32 vcc_lo, exec_lo, s3
	s_cbranch_vccnz .LBB122_121
; %bb.120:
	scratch_load_b64 v[119:120], v123, off
	ds_load_b64 v[147:148], v122
	s_waitcnt vmcnt(0) lgkmcnt(0)
	v_mul_f64 v[119:120], v[119:120], v[147:148]
	s_cbranch_execz .LBB122_122
	s_branch .LBB122_123
.LBB122_121:
                                        ; implicit-def: $vgpr119_vgpr120
.LBB122_122:
	ds_load_b64 v[119:120], v122
.LBB122_123:
	s_and_saveexec_b32 s4, s0
	s_cbranch_execz .LBB122_127
; %bb.124:
	v_subrev_nc_u32_e32 v147, 46, v0
	s_movk_i32 s5, 0x350
	s_mov_b32 s0, 0
.LBB122_125:                            ; =>This Inner Loop Header: Depth=1
	scratch_load_b64 v[148:149], v146, off
	v_dual_mov_b32 v150, s5 :: v_dual_add_nc_u32 v147, -1, v147
	v_add_nc_u32_e32 v146, 8, v146
	s_add_i32 s5, s5, 8
	ds_load_b64 v[150:151], v150
	v_cmp_eq_u32_e32 vcc_lo, 0, v147
	s_or_b32 s0, vcc_lo, s0
	s_waitcnt vmcnt(0) lgkmcnt(0)
	v_fma_f64 v[119:120], v[148:149], v[150:151], v[119:120]
	s_and_not1_b32 exec_lo, exec_lo, s0
	s_cbranch_execnz .LBB122_125
; %bb.126:
	s_or_b32 exec_lo, exec_lo, s0
.LBB122_127:
	s_delay_alu instid0(SALU_CYCLE_1)
	s_or_b32 exec_lo, exec_lo, s4
	v_mov_b32_e32 v146, 0
	ds_load_b64 v[146:147], v146 offset:360
	s_waitcnt lgkmcnt(0)
	v_mul_f64 v[119:120], v[119:120], v[146:147]
	scratch_store_b64 off, v[119:120], off offset:360
.LBB122_128:
	s_or_b32 exec_lo, exec_lo, s2
	scratch_load_b64 v[119:120], off, off offset:352
	v_cmp_lt_u32_e64 s0, 44, v0
	s_waitcnt vmcnt(0)
	ds_store_b64 v122, v[119:120]
	s_waitcnt lgkmcnt(0)
	s_waitcnt_vscnt null, 0x0
	s_barrier
	buffer_gl0_inv
	s_and_saveexec_b32 s2, s0
	s_cbranch_execz .LBB122_138
; %bb.129:
	s_and_not1_b32 vcc_lo, exec_lo, s3
	s_cbranch_vccnz .LBB122_131
; %bb.130:
	scratch_load_b64 v[119:120], v123, off
	ds_load_b64 v[146:147], v122
	s_waitcnt vmcnt(0) lgkmcnt(0)
	v_mul_f64 v[119:120], v[119:120], v[146:147]
	s_cbranch_execz .LBB122_132
	s_branch .LBB122_133
.LBB122_131:
                                        ; implicit-def: $vgpr119_vgpr120
.LBB122_132:
	ds_load_b64 v[119:120], v122
.LBB122_133:
	s_and_saveexec_b32 s4, s1
	s_cbranch_execz .LBB122_137
; %bb.134:
	v_mov_b32_e32 v146, 0
	v_subrev_nc_u32_e32 v147, 45, v0
	s_movk_i32 s5, 0x348
	s_mov_b32 s1, 0
	s_delay_alu instid0(VALU_DEP_2)
	v_add_nc_u32_e32 v146, 0x168, v146
.LBB122_135:                            ; =>This Inner Loop Header: Depth=1
	scratch_load_b64 v[148:149], v146, off
	v_dual_mov_b32 v150, s5 :: v_dual_add_nc_u32 v147, -1, v147
	v_add_nc_u32_e32 v146, 8, v146
	s_add_i32 s5, s5, 8
	ds_load_b64 v[150:151], v150
	v_cmp_eq_u32_e32 vcc_lo, 0, v147
	s_or_b32 s1, vcc_lo, s1
	s_waitcnt vmcnt(0) lgkmcnt(0)
	v_fma_f64 v[119:120], v[148:149], v[150:151], v[119:120]
	s_and_not1_b32 exec_lo, exec_lo, s1
	s_cbranch_execnz .LBB122_135
; %bb.136:
	s_or_b32 exec_lo, exec_lo, s1
.LBB122_137:
	s_delay_alu instid0(SALU_CYCLE_1)
	s_or_b32 exec_lo, exec_lo, s4
	v_mov_b32_e32 v146, 0
	ds_load_b64 v[146:147], v146 offset:352
	s_waitcnt lgkmcnt(0)
	v_mul_f64 v[119:120], v[119:120], v[146:147]
	scratch_store_b64 off, v[119:120], off offset:352
.LBB122_138:
	s_or_b32 exec_lo, exec_lo, s2
	scratch_load_b64 v[119:120], off, off offset:344
	v_cmp_lt_u32_e64 s1, 43, v0
	s_waitcnt vmcnt(0)
	ds_store_b64 v122, v[119:120]
	s_waitcnt lgkmcnt(0)
	s_waitcnt_vscnt null, 0x0
	s_barrier
	buffer_gl0_inv
	s_and_saveexec_b32 s2, s1
	s_cbranch_execz .LBB122_148
; %bb.139:
	s_and_not1_b32 vcc_lo, exec_lo, s3
	s_cbranch_vccnz .LBB122_141
; %bb.140:
	scratch_load_b64 v[119:120], v123, off
	ds_load_b64 v[146:147], v122
	s_waitcnt vmcnt(0) lgkmcnt(0)
	v_mul_f64 v[119:120], v[119:120], v[146:147]
	s_cbranch_execz .LBB122_142
	s_branch .LBB122_143
.LBB122_141:
                                        ; implicit-def: $vgpr119_vgpr120
.LBB122_142:
	ds_load_b64 v[119:120], v122
.LBB122_143:
	s_and_saveexec_b32 s4, s0
	s_cbranch_execz .LBB122_147
; %bb.144:
	v_subrev_nc_u32_e32 v146, 44, v0
	s_movk_i32 s5, 0x340
	s_mov_b32 s0, 0
.LBB122_145:                            ; =>This Inner Loop Header: Depth=1
	scratch_load_b64 v[147:148], v145, off
	v_dual_mov_b32 v149, s5 :: v_dual_add_nc_u32 v146, -1, v146
	v_add_nc_u32_e32 v145, 8, v145
	s_add_i32 s5, s5, 8
	ds_load_b64 v[149:150], v149
	v_cmp_eq_u32_e32 vcc_lo, 0, v146
	s_or_b32 s0, vcc_lo, s0
	s_waitcnt vmcnt(0) lgkmcnt(0)
	v_fma_f64 v[119:120], v[147:148], v[149:150], v[119:120]
	s_and_not1_b32 exec_lo, exec_lo, s0
	s_cbranch_execnz .LBB122_145
; %bb.146:
	s_or_b32 exec_lo, exec_lo, s0
.LBB122_147:
	s_delay_alu instid0(SALU_CYCLE_1)
	s_or_b32 exec_lo, exec_lo, s4
	v_mov_b32_e32 v145, 0
	ds_load_b64 v[145:146], v145 offset:344
	s_waitcnt lgkmcnt(0)
	v_mul_f64 v[119:120], v[119:120], v[145:146]
	scratch_store_b64 off, v[119:120], off offset:344
.LBB122_148:
	s_or_b32 exec_lo, exec_lo, s2
	scratch_load_b64 v[119:120], off, off offset:336
	v_cmp_lt_u32_e64 s0, 42, v0
	s_waitcnt vmcnt(0)
	ds_store_b64 v122, v[119:120]
	s_waitcnt lgkmcnt(0)
	s_waitcnt_vscnt null, 0x0
	s_barrier
	buffer_gl0_inv
	s_and_saveexec_b32 s2, s0
	s_cbranch_execz .LBB122_158
; %bb.149:
	s_and_not1_b32 vcc_lo, exec_lo, s3
	s_cbranch_vccnz .LBB122_151
; %bb.150:
	scratch_load_b64 v[119:120], v123, off
	ds_load_b64 v[145:146], v122
	s_waitcnt vmcnt(0) lgkmcnt(0)
	v_mul_f64 v[119:120], v[119:120], v[145:146]
	s_cbranch_execz .LBB122_152
	s_branch .LBB122_153
.LBB122_151:
                                        ; implicit-def: $vgpr119_vgpr120
.LBB122_152:
	ds_load_b64 v[119:120], v122
.LBB122_153:
	s_and_saveexec_b32 s4, s1
	s_cbranch_execz .LBB122_157
; %bb.154:
	v_mov_b32_e32 v145, 0
	v_subrev_nc_u32_e32 v146, 43, v0
	s_movk_i32 s5, 0x338
	s_mov_b32 s1, 0
	s_delay_alu instid0(VALU_DEP_2)
	v_add_nc_u32_e32 v145, 0x158, v145
.LBB122_155:                            ; =>This Inner Loop Header: Depth=1
	scratch_load_b64 v[147:148], v145, off
	v_dual_mov_b32 v149, s5 :: v_dual_add_nc_u32 v146, -1, v146
	v_add_nc_u32_e32 v145, 8, v145
	s_add_i32 s5, s5, 8
	ds_load_b64 v[149:150], v149
	v_cmp_eq_u32_e32 vcc_lo, 0, v146
	s_or_b32 s1, vcc_lo, s1
	s_waitcnt vmcnt(0) lgkmcnt(0)
	v_fma_f64 v[119:120], v[147:148], v[149:150], v[119:120]
	s_and_not1_b32 exec_lo, exec_lo, s1
	s_cbranch_execnz .LBB122_155
; %bb.156:
	s_or_b32 exec_lo, exec_lo, s1
.LBB122_157:
	s_delay_alu instid0(SALU_CYCLE_1)
	s_or_b32 exec_lo, exec_lo, s4
	v_mov_b32_e32 v145, 0
	ds_load_b64 v[145:146], v145 offset:336
	s_waitcnt lgkmcnt(0)
	v_mul_f64 v[119:120], v[119:120], v[145:146]
	scratch_store_b64 off, v[119:120], off offset:336
.LBB122_158:
	s_or_b32 exec_lo, exec_lo, s2
	scratch_load_b64 v[119:120], off, off offset:328
	v_cmp_lt_u32_e64 s1, 41, v0
	s_waitcnt vmcnt(0)
	ds_store_b64 v122, v[119:120]
	s_waitcnt lgkmcnt(0)
	s_waitcnt_vscnt null, 0x0
	s_barrier
	buffer_gl0_inv
	s_and_saveexec_b32 s2, s1
	s_cbranch_execz .LBB122_168
; %bb.159:
	s_and_not1_b32 vcc_lo, exec_lo, s3
	s_cbranch_vccnz .LBB122_161
; %bb.160:
	scratch_load_b64 v[119:120], v123, off
	ds_load_b64 v[145:146], v122
	s_waitcnt vmcnt(0) lgkmcnt(0)
	v_mul_f64 v[119:120], v[119:120], v[145:146]
	s_cbranch_execz .LBB122_162
	s_branch .LBB122_163
.LBB122_161:
                                        ; implicit-def: $vgpr119_vgpr120
.LBB122_162:
	ds_load_b64 v[119:120], v122
.LBB122_163:
	s_and_saveexec_b32 s4, s0
	s_cbranch_execz .LBB122_167
; %bb.164:
	v_subrev_nc_u32_e32 v145, 42, v0
	s_movk_i32 s5, 0x330
	s_mov_b32 s0, 0
.LBB122_165:                            ; =>This Inner Loop Header: Depth=1
	scratch_load_b64 v[146:147], v144, off
	v_dual_mov_b32 v148, s5 :: v_dual_add_nc_u32 v145, -1, v145
	v_add_nc_u32_e32 v144, 8, v144
	s_add_i32 s5, s5, 8
	ds_load_b64 v[148:149], v148
	v_cmp_eq_u32_e32 vcc_lo, 0, v145
	s_or_b32 s0, vcc_lo, s0
	s_waitcnt vmcnt(0) lgkmcnt(0)
	v_fma_f64 v[119:120], v[146:147], v[148:149], v[119:120]
	s_and_not1_b32 exec_lo, exec_lo, s0
	s_cbranch_execnz .LBB122_165
; %bb.166:
	s_or_b32 exec_lo, exec_lo, s0
.LBB122_167:
	s_delay_alu instid0(SALU_CYCLE_1)
	s_or_b32 exec_lo, exec_lo, s4
	v_mov_b32_e32 v144, 0
	ds_load_b64 v[144:145], v144 offset:328
	s_waitcnt lgkmcnt(0)
	v_mul_f64 v[119:120], v[119:120], v[144:145]
	scratch_store_b64 off, v[119:120], off offset:328
.LBB122_168:
	s_or_b32 exec_lo, exec_lo, s2
	scratch_load_b64 v[119:120], off, off offset:320
	v_cmp_lt_u32_e64 s0, 40, v0
	s_waitcnt vmcnt(0)
	ds_store_b64 v122, v[119:120]
	s_waitcnt lgkmcnt(0)
	s_waitcnt_vscnt null, 0x0
	s_barrier
	buffer_gl0_inv
	s_and_saveexec_b32 s2, s0
	s_cbranch_execz .LBB122_178
; %bb.169:
	s_and_not1_b32 vcc_lo, exec_lo, s3
	s_cbranch_vccnz .LBB122_171
; %bb.170:
	scratch_load_b64 v[119:120], v123, off
	ds_load_b64 v[144:145], v122
	s_waitcnt vmcnt(0) lgkmcnt(0)
	v_mul_f64 v[119:120], v[119:120], v[144:145]
	s_cbranch_execz .LBB122_172
	s_branch .LBB122_173
.LBB122_171:
                                        ; implicit-def: $vgpr119_vgpr120
.LBB122_172:
	ds_load_b64 v[119:120], v122
.LBB122_173:
	s_and_saveexec_b32 s4, s1
	s_cbranch_execz .LBB122_177
; %bb.174:
	v_mov_b32_e32 v144, 0
	v_subrev_nc_u32_e32 v145, 41, v0
	s_movk_i32 s5, 0x328
	s_mov_b32 s1, 0
	s_delay_alu instid0(VALU_DEP_2)
	v_add_nc_u32_e32 v144, 0x148, v144
.LBB122_175:                            ; =>This Inner Loop Header: Depth=1
	scratch_load_b64 v[146:147], v144, off
	v_dual_mov_b32 v148, s5 :: v_dual_add_nc_u32 v145, -1, v145
	v_add_nc_u32_e32 v144, 8, v144
	s_add_i32 s5, s5, 8
	ds_load_b64 v[148:149], v148
	v_cmp_eq_u32_e32 vcc_lo, 0, v145
	s_or_b32 s1, vcc_lo, s1
	s_waitcnt vmcnt(0) lgkmcnt(0)
	v_fma_f64 v[119:120], v[146:147], v[148:149], v[119:120]
	s_and_not1_b32 exec_lo, exec_lo, s1
	s_cbranch_execnz .LBB122_175
; %bb.176:
	s_or_b32 exec_lo, exec_lo, s1
.LBB122_177:
	s_delay_alu instid0(SALU_CYCLE_1)
	s_or_b32 exec_lo, exec_lo, s4
	v_mov_b32_e32 v144, 0
	ds_load_b64 v[144:145], v144 offset:320
	s_waitcnt lgkmcnt(0)
	v_mul_f64 v[119:120], v[119:120], v[144:145]
	scratch_store_b64 off, v[119:120], off offset:320
.LBB122_178:
	s_or_b32 exec_lo, exec_lo, s2
	scratch_load_b64 v[119:120], off, off offset:312
	v_cmp_lt_u32_e64 s1, 39, v0
	s_waitcnt vmcnt(0)
	ds_store_b64 v122, v[119:120]
	s_waitcnt lgkmcnt(0)
	s_waitcnt_vscnt null, 0x0
	s_barrier
	buffer_gl0_inv
	s_and_saveexec_b32 s2, s1
	s_cbranch_execz .LBB122_188
; %bb.179:
	s_and_not1_b32 vcc_lo, exec_lo, s3
	s_cbranch_vccnz .LBB122_181
; %bb.180:
	scratch_load_b64 v[119:120], v123, off
	ds_load_b64 v[144:145], v122
	s_waitcnt vmcnt(0) lgkmcnt(0)
	v_mul_f64 v[119:120], v[119:120], v[144:145]
	s_cbranch_execz .LBB122_182
	s_branch .LBB122_183
.LBB122_181:
                                        ; implicit-def: $vgpr119_vgpr120
.LBB122_182:
	ds_load_b64 v[119:120], v122
.LBB122_183:
	s_and_saveexec_b32 s4, s0
	s_cbranch_execz .LBB122_187
; %bb.184:
	v_subrev_nc_u32_e32 v144, 40, v0
	s_movk_i32 s5, 0x320
	s_mov_b32 s0, 0
.LBB122_185:                            ; =>This Inner Loop Header: Depth=1
	scratch_load_b64 v[145:146], v143, off
	v_dual_mov_b32 v147, s5 :: v_dual_add_nc_u32 v144, -1, v144
	v_add_nc_u32_e32 v143, 8, v143
	s_add_i32 s5, s5, 8
	ds_load_b64 v[147:148], v147
	v_cmp_eq_u32_e32 vcc_lo, 0, v144
	s_or_b32 s0, vcc_lo, s0
	s_waitcnt vmcnt(0) lgkmcnt(0)
	v_fma_f64 v[119:120], v[145:146], v[147:148], v[119:120]
	s_and_not1_b32 exec_lo, exec_lo, s0
	s_cbranch_execnz .LBB122_185
; %bb.186:
	s_or_b32 exec_lo, exec_lo, s0
.LBB122_187:
	s_delay_alu instid0(SALU_CYCLE_1)
	s_or_b32 exec_lo, exec_lo, s4
	v_mov_b32_e32 v143, 0
	ds_load_b64 v[143:144], v143 offset:312
	s_waitcnt lgkmcnt(0)
	v_mul_f64 v[119:120], v[119:120], v[143:144]
	scratch_store_b64 off, v[119:120], off offset:312
.LBB122_188:
	s_or_b32 exec_lo, exec_lo, s2
	scratch_load_b64 v[119:120], off, off offset:304
	v_cmp_lt_u32_e64 s0, 38, v0
	s_waitcnt vmcnt(0)
	ds_store_b64 v122, v[119:120]
	s_waitcnt lgkmcnt(0)
	s_waitcnt_vscnt null, 0x0
	s_barrier
	buffer_gl0_inv
	s_and_saveexec_b32 s2, s0
	s_cbranch_execz .LBB122_198
; %bb.189:
	s_and_not1_b32 vcc_lo, exec_lo, s3
	s_cbranch_vccnz .LBB122_191
; %bb.190:
	scratch_load_b64 v[119:120], v123, off
	ds_load_b64 v[143:144], v122
	s_waitcnt vmcnt(0) lgkmcnt(0)
	v_mul_f64 v[119:120], v[119:120], v[143:144]
	s_cbranch_execz .LBB122_192
	s_branch .LBB122_193
.LBB122_191:
                                        ; implicit-def: $vgpr119_vgpr120
.LBB122_192:
	ds_load_b64 v[119:120], v122
.LBB122_193:
	s_and_saveexec_b32 s4, s1
	s_cbranch_execz .LBB122_197
; %bb.194:
	v_mov_b32_e32 v143, 0
	v_subrev_nc_u32_e32 v144, 39, v0
	s_movk_i32 s5, 0x318
	s_mov_b32 s1, 0
	s_delay_alu instid0(VALU_DEP_2)
	v_add_nc_u32_e32 v143, 0x138, v143
.LBB122_195:                            ; =>This Inner Loop Header: Depth=1
	scratch_load_b64 v[145:146], v143, off
	v_dual_mov_b32 v147, s5 :: v_dual_add_nc_u32 v144, -1, v144
	v_add_nc_u32_e32 v143, 8, v143
	s_add_i32 s5, s5, 8
	ds_load_b64 v[147:148], v147
	v_cmp_eq_u32_e32 vcc_lo, 0, v144
	s_or_b32 s1, vcc_lo, s1
	s_waitcnt vmcnt(0) lgkmcnt(0)
	v_fma_f64 v[119:120], v[145:146], v[147:148], v[119:120]
	s_and_not1_b32 exec_lo, exec_lo, s1
	s_cbranch_execnz .LBB122_195
; %bb.196:
	s_or_b32 exec_lo, exec_lo, s1
.LBB122_197:
	s_delay_alu instid0(SALU_CYCLE_1)
	s_or_b32 exec_lo, exec_lo, s4
	v_mov_b32_e32 v143, 0
	ds_load_b64 v[143:144], v143 offset:304
	s_waitcnt lgkmcnt(0)
	v_mul_f64 v[119:120], v[119:120], v[143:144]
	scratch_store_b64 off, v[119:120], off offset:304
.LBB122_198:
	s_or_b32 exec_lo, exec_lo, s2
	scratch_load_b64 v[119:120], off, off offset:296
	v_cmp_lt_u32_e64 s1, 37, v0
	s_waitcnt vmcnt(0)
	ds_store_b64 v122, v[119:120]
	s_waitcnt lgkmcnt(0)
	s_waitcnt_vscnt null, 0x0
	s_barrier
	buffer_gl0_inv
	s_and_saveexec_b32 s2, s1
	s_cbranch_execz .LBB122_208
; %bb.199:
	s_and_not1_b32 vcc_lo, exec_lo, s3
	s_cbranch_vccnz .LBB122_201
; %bb.200:
	scratch_load_b64 v[119:120], v123, off
	ds_load_b64 v[143:144], v122
	s_waitcnt vmcnt(0) lgkmcnt(0)
	v_mul_f64 v[119:120], v[119:120], v[143:144]
	s_cbranch_execz .LBB122_202
	s_branch .LBB122_203
.LBB122_201:
                                        ; implicit-def: $vgpr119_vgpr120
.LBB122_202:
	ds_load_b64 v[119:120], v122
.LBB122_203:
	s_and_saveexec_b32 s4, s0
	s_cbranch_execz .LBB122_207
; %bb.204:
	v_subrev_nc_u32_e32 v143, 38, v0
	s_movk_i32 s5, 0x310
	s_mov_b32 s0, 0
.LBB122_205:                            ; =>This Inner Loop Header: Depth=1
	scratch_load_b64 v[144:145], v142, off
	v_dual_mov_b32 v146, s5 :: v_dual_add_nc_u32 v143, -1, v143
	v_add_nc_u32_e32 v142, 8, v142
	s_add_i32 s5, s5, 8
	ds_load_b64 v[146:147], v146
	v_cmp_eq_u32_e32 vcc_lo, 0, v143
	s_or_b32 s0, vcc_lo, s0
	s_waitcnt vmcnt(0) lgkmcnt(0)
	v_fma_f64 v[119:120], v[144:145], v[146:147], v[119:120]
	s_and_not1_b32 exec_lo, exec_lo, s0
	s_cbranch_execnz .LBB122_205
; %bb.206:
	s_or_b32 exec_lo, exec_lo, s0
.LBB122_207:
	s_delay_alu instid0(SALU_CYCLE_1)
	s_or_b32 exec_lo, exec_lo, s4
	v_mov_b32_e32 v142, 0
	ds_load_b64 v[142:143], v142 offset:296
	s_waitcnt lgkmcnt(0)
	v_mul_f64 v[119:120], v[119:120], v[142:143]
	scratch_store_b64 off, v[119:120], off offset:296
.LBB122_208:
	s_or_b32 exec_lo, exec_lo, s2
	scratch_load_b64 v[119:120], off, off offset:288
	v_cmp_lt_u32_e64 s0, 36, v0
	s_waitcnt vmcnt(0)
	ds_store_b64 v122, v[119:120]
	s_waitcnt lgkmcnt(0)
	s_waitcnt_vscnt null, 0x0
	s_barrier
	buffer_gl0_inv
	s_and_saveexec_b32 s2, s0
	s_cbranch_execz .LBB122_218
; %bb.209:
	s_and_not1_b32 vcc_lo, exec_lo, s3
	s_cbranch_vccnz .LBB122_211
; %bb.210:
	scratch_load_b64 v[119:120], v123, off
	ds_load_b64 v[142:143], v122
	s_waitcnt vmcnt(0) lgkmcnt(0)
	v_mul_f64 v[119:120], v[119:120], v[142:143]
	s_cbranch_execz .LBB122_212
	s_branch .LBB122_213
.LBB122_211:
                                        ; implicit-def: $vgpr119_vgpr120
.LBB122_212:
	ds_load_b64 v[119:120], v122
.LBB122_213:
	s_and_saveexec_b32 s4, s1
	s_cbranch_execz .LBB122_217
; %bb.214:
	v_mov_b32_e32 v142, 0
	v_subrev_nc_u32_e32 v143, 37, v0
	s_movk_i32 s5, 0x308
	s_mov_b32 s1, 0
	s_delay_alu instid0(VALU_DEP_2)
	v_add_nc_u32_e32 v142, 0x128, v142
.LBB122_215:                            ; =>This Inner Loop Header: Depth=1
	scratch_load_b64 v[144:145], v142, off
	v_dual_mov_b32 v146, s5 :: v_dual_add_nc_u32 v143, -1, v143
	v_add_nc_u32_e32 v142, 8, v142
	s_add_i32 s5, s5, 8
	ds_load_b64 v[146:147], v146
	v_cmp_eq_u32_e32 vcc_lo, 0, v143
	s_or_b32 s1, vcc_lo, s1
	s_waitcnt vmcnt(0) lgkmcnt(0)
	v_fma_f64 v[119:120], v[144:145], v[146:147], v[119:120]
	s_and_not1_b32 exec_lo, exec_lo, s1
	s_cbranch_execnz .LBB122_215
; %bb.216:
	s_or_b32 exec_lo, exec_lo, s1
.LBB122_217:
	s_delay_alu instid0(SALU_CYCLE_1)
	s_or_b32 exec_lo, exec_lo, s4
	v_mov_b32_e32 v142, 0
	ds_load_b64 v[142:143], v142 offset:288
	s_waitcnt lgkmcnt(0)
	v_mul_f64 v[119:120], v[119:120], v[142:143]
	scratch_store_b64 off, v[119:120], off offset:288
.LBB122_218:
	s_or_b32 exec_lo, exec_lo, s2
	scratch_load_b64 v[119:120], off, off offset:280
	v_cmp_lt_u32_e64 s1, 35, v0
	s_waitcnt vmcnt(0)
	ds_store_b64 v122, v[119:120]
	s_waitcnt lgkmcnt(0)
	s_waitcnt_vscnt null, 0x0
	s_barrier
	buffer_gl0_inv
	s_and_saveexec_b32 s2, s1
	s_cbranch_execz .LBB122_228
; %bb.219:
	s_and_not1_b32 vcc_lo, exec_lo, s3
	s_cbranch_vccnz .LBB122_221
; %bb.220:
	scratch_load_b64 v[119:120], v123, off
	ds_load_b64 v[142:143], v122
	s_waitcnt vmcnt(0) lgkmcnt(0)
	v_mul_f64 v[119:120], v[119:120], v[142:143]
	s_cbranch_execz .LBB122_222
	s_branch .LBB122_223
.LBB122_221:
                                        ; implicit-def: $vgpr119_vgpr120
.LBB122_222:
	ds_load_b64 v[119:120], v122
.LBB122_223:
	s_and_saveexec_b32 s4, s0
	s_cbranch_execz .LBB122_227
; %bb.224:
	v_subrev_nc_u32_e32 v142, 36, v0
	s_movk_i32 s5, 0x300
	s_mov_b32 s0, 0
.LBB122_225:                            ; =>This Inner Loop Header: Depth=1
	scratch_load_b64 v[143:144], v141, off
	v_dual_mov_b32 v145, s5 :: v_dual_add_nc_u32 v142, -1, v142
	v_add_nc_u32_e32 v141, 8, v141
	s_add_i32 s5, s5, 8
	ds_load_b64 v[145:146], v145
	v_cmp_eq_u32_e32 vcc_lo, 0, v142
	s_or_b32 s0, vcc_lo, s0
	s_waitcnt vmcnt(0) lgkmcnt(0)
	v_fma_f64 v[119:120], v[143:144], v[145:146], v[119:120]
	s_and_not1_b32 exec_lo, exec_lo, s0
	s_cbranch_execnz .LBB122_225
; %bb.226:
	s_or_b32 exec_lo, exec_lo, s0
.LBB122_227:
	s_delay_alu instid0(SALU_CYCLE_1)
	s_or_b32 exec_lo, exec_lo, s4
	v_mov_b32_e32 v141, 0
	ds_load_b64 v[141:142], v141 offset:280
	s_waitcnt lgkmcnt(0)
	v_mul_f64 v[119:120], v[119:120], v[141:142]
	scratch_store_b64 off, v[119:120], off offset:280
.LBB122_228:
	s_or_b32 exec_lo, exec_lo, s2
	scratch_load_b64 v[119:120], off, off offset:272
	v_cmp_lt_u32_e64 s0, 34, v0
	s_waitcnt vmcnt(0)
	ds_store_b64 v122, v[119:120]
	s_waitcnt lgkmcnt(0)
	s_waitcnt_vscnt null, 0x0
	s_barrier
	buffer_gl0_inv
	s_and_saveexec_b32 s2, s0
	s_cbranch_execz .LBB122_238
; %bb.229:
	s_and_not1_b32 vcc_lo, exec_lo, s3
	s_cbranch_vccnz .LBB122_231
; %bb.230:
	scratch_load_b64 v[119:120], v123, off
	ds_load_b64 v[141:142], v122
	s_waitcnt vmcnt(0) lgkmcnt(0)
	v_mul_f64 v[119:120], v[119:120], v[141:142]
	s_cbranch_execz .LBB122_232
	s_branch .LBB122_233
.LBB122_231:
                                        ; implicit-def: $vgpr119_vgpr120
.LBB122_232:
	ds_load_b64 v[119:120], v122
.LBB122_233:
	s_and_saveexec_b32 s4, s1
	s_cbranch_execz .LBB122_237
; %bb.234:
	v_mov_b32_e32 v141, 0
	v_subrev_nc_u32_e32 v142, 35, v0
	s_movk_i32 s5, 0x2f8
	s_mov_b32 s1, 0
	s_delay_alu instid0(VALU_DEP_2)
	v_add_nc_u32_e32 v141, 0x118, v141
.LBB122_235:                            ; =>This Inner Loop Header: Depth=1
	scratch_load_b64 v[143:144], v141, off
	v_dual_mov_b32 v145, s5 :: v_dual_add_nc_u32 v142, -1, v142
	v_add_nc_u32_e32 v141, 8, v141
	s_add_i32 s5, s5, 8
	ds_load_b64 v[145:146], v145
	v_cmp_eq_u32_e32 vcc_lo, 0, v142
	s_or_b32 s1, vcc_lo, s1
	s_waitcnt vmcnt(0) lgkmcnt(0)
	v_fma_f64 v[119:120], v[143:144], v[145:146], v[119:120]
	s_and_not1_b32 exec_lo, exec_lo, s1
	s_cbranch_execnz .LBB122_235
; %bb.236:
	s_or_b32 exec_lo, exec_lo, s1
.LBB122_237:
	s_delay_alu instid0(SALU_CYCLE_1)
	s_or_b32 exec_lo, exec_lo, s4
	v_mov_b32_e32 v141, 0
	ds_load_b64 v[141:142], v141 offset:272
	s_waitcnt lgkmcnt(0)
	v_mul_f64 v[119:120], v[119:120], v[141:142]
	scratch_store_b64 off, v[119:120], off offset:272
.LBB122_238:
	s_or_b32 exec_lo, exec_lo, s2
	scratch_load_b64 v[119:120], off, off offset:264
	v_cmp_lt_u32_e64 s1, 33, v0
	s_waitcnt vmcnt(0)
	ds_store_b64 v122, v[119:120]
	s_waitcnt lgkmcnt(0)
	s_waitcnt_vscnt null, 0x0
	s_barrier
	buffer_gl0_inv
	s_and_saveexec_b32 s2, s1
	s_cbranch_execz .LBB122_248
; %bb.239:
	s_and_not1_b32 vcc_lo, exec_lo, s3
	s_cbranch_vccnz .LBB122_241
; %bb.240:
	scratch_load_b64 v[119:120], v123, off
	ds_load_b64 v[141:142], v122
	s_waitcnt vmcnt(0) lgkmcnt(0)
	v_mul_f64 v[119:120], v[119:120], v[141:142]
	s_cbranch_execz .LBB122_242
	s_branch .LBB122_243
.LBB122_241:
                                        ; implicit-def: $vgpr119_vgpr120
.LBB122_242:
	ds_load_b64 v[119:120], v122
.LBB122_243:
	s_and_saveexec_b32 s4, s0
	s_cbranch_execz .LBB122_247
; %bb.244:
	v_subrev_nc_u32_e32 v141, 34, v0
	s_movk_i32 s5, 0x2f0
	s_mov_b32 s0, 0
.LBB122_245:                            ; =>This Inner Loop Header: Depth=1
	scratch_load_b64 v[142:143], v140, off
	v_dual_mov_b32 v144, s5 :: v_dual_add_nc_u32 v141, -1, v141
	v_add_nc_u32_e32 v140, 8, v140
	s_add_i32 s5, s5, 8
	ds_load_b64 v[144:145], v144
	v_cmp_eq_u32_e32 vcc_lo, 0, v141
	s_or_b32 s0, vcc_lo, s0
	s_waitcnt vmcnt(0) lgkmcnt(0)
	v_fma_f64 v[119:120], v[142:143], v[144:145], v[119:120]
	s_and_not1_b32 exec_lo, exec_lo, s0
	s_cbranch_execnz .LBB122_245
; %bb.246:
	s_or_b32 exec_lo, exec_lo, s0
.LBB122_247:
	s_delay_alu instid0(SALU_CYCLE_1)
	s_or_b32 exec_lo, exec_lo, s4
	v_mov_b32_e32 v140, 0
	ds_load_b64 v[140:141], v140 offset:264
	s_waitcnt lgkmcnt(0)
	v_mul_f64 v[119:120], v[119:120], v[140:141]
	scratch_store_b64 off, v[119:120], off offset:264
.LBB122_248:
	s_or_b32 exec_lo, exec_lo, s2
	scratch_load_b64 v[119:120], off, off offset:256
	v_cmp_lt_u32_e64 s0, 32, v0
	s_waitcnt vmcnt(0)
	ds_store_b64 v122, v[119:120]
	s_waitcnt lgkmcnt(0)
	s_waitcnt_vscnt null, 0x0
	s_barrier
	buffer_gl0_inv
	s_and_saveexec_b32 s2, s0
	s_cbranch_execz .LBB122_258
; %bb.249:
	s_and_not1_b32 vcc_lo, exec_lo, s3
	s_cbranch_vccnz .LBB122_251
; %bb.250:
	scratch_load_b64 v[119:120], v123, off
	ds_load_b64 v[140:141], v122
	s_waitcnt vmcnt(0) lgkmcnt(0)
	v_mul_f64 v[119:120], v[119:120], v[140:141]
	s_cbranch_execz .LBB122_252
	s_branch .LBB122_253
.LBB122_251:
                                        ; implicit-def: $vgpr119_vgpr120
.LBB122_252:
	ds_load_b64 v[119:120], v122
.LBB122_253:
	s_and_saveexec_b32 s4, s1
	s_cbranch_execz .LBB122_257
; %bb.254:
	v_mov_b32_e32 v140, 0
	v_subrev_nc_u32_e32 v141, 33, v0
	s_movk_i32 s5, 0x2e8
	s_mov_b32 s1, 0
	s_delay_alu instid0(VALU_DEP_2)
	v_add_nc_u32_e32 v140, 0x108, v140
.LBB122_255:                            ; =>This Inner Loop Header: Depth=1
	scratch_load_b64 v[142:143], v140, off
	v_dual_mov_b32 v144, s5 :: v_dual_add_nc_u32 v141, -1, v141
	v_add_nc_u32_e32 v140, 8, v140
	s_add_i32 s5, s5, 8
	ds_load_b64 v[144:145], v144
	v_cmp_eq_u32_e32 vcc_lo, 0, v141
	s_or_b32 s1, vcc_lo, s1
	s_waitcnt vmcnt(0) lgkmcnt(0)
	v_fma_f64 v[119:120], v[142:143], v[144:145], v[119:120]
	s_and_not1_b32 exec_lo, exec_lo, s1
	s_cbranch_execnz .LBB122_255
; %bb.256:
	s_or_b32 exec_lo, exec_lo, s1
.LBB122_257:
	s_delay_alu instid0(SALU_CYCLE_1)
	s_or_b32 exec_lo, exec_lo, s4
	v_mov_b32_e32 v140, 0
	ds_load_b64 v[140:141], v140 offset:256
	s_waitcnt lgkmcnt(0)
	v_mul_f64 v[119:120], v[119:120], v[140:141]
	scratch_store_b64 off, v[119:120], off offset:256
.LBB122_258:
	s_or_b32 exec_lo, exec_lo, s2
	scratch_load_b64 v[119:120], off, off offset:248
	v_cmp_lt_u32_e64 s1, 31, v0
	s_waitcnt vmcnt(0)
	ds_store_b64 v122, v[119:120]
	s_waitcnt lgkmcnt(0)
	s_waitcnt_vscnt null, 0x0
	s_barrier
	buffer_gl0_inv
	s_and_saveexec_b32 s2, s1
	s_cbranch_execz .LBB122_268
; %bb.259:
	s_and_not1_b32 vcc_lo, exec_lo, s3
	s_cbranch_vccnz .LBB122_261
; %bb.260:
	scratch_load_b64 v[119:120], v123, off
	ds_load_b64 v[140:141], v122
	s_waitcnt vmcnt(0) lgkmcnt(0)
	v_mul_f64 v[119:120], v[119:120], v[140:141]
	s_cbranch_execz .LBB122_262
	s_branch .LBB122_263
.LBB122_261:
                                        ; implicit-def: $vgpr119_vgpr120
.LBB122_262:
	ds_load_b64 v[119:120], v122
.LBB122_263:
	s_and_saveexec_b32 s4, s0
	s_cbranch_execz .LBB122_267
; %bb.264:
	v_subrev_nc_u32_e32 v140, 32, v0
	s_movk_i32 s5, 0x2e0
	s_mov_b32 s0, 0
.LBB122_265:                            ; =>This Inner Loop Header: Depth=1
	scratch_load_b64 v[141:142], v139, off
	v_dual_mov_b32 v143, s5 :: v_dual_add_nc_u32 v140, -1, v140
	v_add_nc_u32_e32 v139, 8, v139
	s_add_i32 s5, s5, 8
	ds_load_b64 v[143:144], v143
	v_cmp_eq_u32_e32 vcc_lo, 0, v140
	s_or_b32 s0, vcc_lo, s0
	s_waitcnt vmcnt(0) lgkmcnt(0)
	v_fma_f64 v[119:120], v[141:142], v[143:144], v[119:120]
	s_and_not1_b32 exec_lo, exec_lo, s0
	s_cbranch_execnz .LBB122_265
; %bb.266:
	s_or_b32 exec_lo, exec_lo, s0
.LBB122_267:
	s_delay_alu instid0(SALU_CYCLE_1)
	s_or_b32 exec_lo, exec_lo, s4
	v_mov_b32_e32 v139, 0
	ds_load_b64 v[139:140], v139 offset:248
	s_waitcnt lgkmcnt(0)
	v_mul_f64 v[119:120], v[119:120], v[139:140]
	scratch_store_b64 off, v[119:120], off offset:248
.LBB122_268:
	s_or_b32 exec_lo, exec_lo, s2
	scratch_load_b64 v[119:120], off, off offset:240
	v_cmp_lt_u32_e64 s0, 30, v0
	s_waitcnt vmcnt(0)
	ds_store_b64 v122, v[119:120]
	s_waitcnt lgkmcnt(0)
	s_waitcnt_vscnt null, 0x0
	s_barrier
	buffer_gl0_inv
	s_and_saveexec_b32 s2, s0
	s_cbranch_execz .LBB122_278
; %bb.269:
	s_and_not1_b32 vcc_lo, exec_lo, s3
	s_cbranch_vccnz .LBB122_271
; %bb.270:
	scratch_load_b64 v[119:120], v123, off
	ds_load_b64 v[139:140], v122
	s_waitcnt vmcnt(0) lgkmcnt(0)
	v_mul_f64 v[119:120], v[119:120], v[139:140]
	s_cbranch_execz .LBB122_272
	s_branch .LBB122_273
.LBB122_271:
                                        ; implicit-def: $vgpr119_vgpr120
.LBB122_272:
	ds_load_b64 v[119:120], v122
.LBB122_273:
	s_and_saveexec_b32 s4, s1
	s_cbranch_execz .LBB122_277
; %bb.274:
	v_mov_b32_e32 v139, 0
	v_subrev_nc_u32_e32 v140, 31, v0
	s_movk_i32 s5, 0x2d8
	s_mov_b32 s1, 0
	s_delay_alu instid0(VALU_DEP_2)
	v_add_nc_u32_e32 v139, 0xf8, v139
.LBB122_275:                            ; =>This Inner Loop Header: Depth=1
	scratch_load_b64 v[141:142], v139, off
	v_dual_mov_b32 v143, s5 :: v_dual_add_nc_u32 v140, -1, v140
	v_add_nc_u32_e32 v139, 8, v139
	s_add_i32 s5, s5, 8
	ds_load_b64 v[143:144], v143
	v_cmp_eq_u32_e32 vcc_lo, 0, v140
	s_or_b32 s1, vcc_lo, s1
	s_waitcnt vmcnt(0) lgkmcnt(0)
	v_fma_f64 v[119:120], v[141:142], v[143:144], v[119:120]
	s_and_not1_b32 exec_lo, exec_lo, s1
	s_cbranch_execnz .LBB122_275
; %bb.276:
	s_or_b32 exec_lo, exec_lo, s1
.LBB122_277:
	s_delay_alu instid0(SALU_CYCLE_1)
	s_or_b32 exec_lo, exec_lo, s4
	v_mov_b32_e32 v139, 0
	ds_load_b64 v[139:140], v139 offset:240
	s_waitcnt lgkmcnt(0)
	v_mul_f64 v[119:120], v[119:120], v[139:140]
	scratch_store_b64 off, v[119:120], off offset:240
.LBB122_278:
	s_or_b32 exec_lo, exec_lo, s2
	scratch_load_b64 v[119:120], off, off offset:232
	v_cmp_lt_u32_e64 s1, 29, v0
	s_waitcnt vmcnt(0)
	ds_store_b64 v122, v[119:120]
	s_waitcnt lgkmcnt(0)
	s_waitcnt_vscnt null, 0x0
	s_barrier
	buffer_gl0_inv
	s_and_saveexec_b32 s2, s1
	s_cbranch_execz .LBB122_288
; %bb.279:
	s_and_not1_b32 vcc_lo, exec_lo, s3
	s_cbranch_vccnz .LBB122_281
; %bb.280:
	scratch_load_b64 v[119:120], v123, off
	ds_load_b64 v[139:140], v122
	s_waitcnt vmcnt(0) lgkmcnt(0)
	v_mul_f64 v[119:120], v[119:120], v[139:140]
	s_cbranch_execz .LBB122_282
	s_branch .LBB122_283
.LBB122_281:
                                        ; implicit-def: $vgpr119_vgpr120
.LBB122_282:
	ds_load_b64 v[119:120], v122
.LBB122_283:
	s_and_saveexec_b32 s4, s0
	s_cbranch_execz .LBB122_287
; %bb.284:
	v_subrev_nc_u32_e32 v139, 30, v0
	s_movk_i32 s5, 0x2d0
	s_mov_b32 s0, 0
.LBB122_285:                            ; =>This Inner Loop Header: Depth=1
	scratch_load_b64 v[140:141], v138, off
	v_dual_mov_b32 v142, s5 :: v_dual_add_nc_u32 v139, -1, v139
	v_add_nc_u32_e32 v138, 8, v138
	s_add_i32 s5, s5, 8
	ds_load_b64 v[142:143], v142
	v_cmp_eq_u32_e32 vcc_lo, 0, v139
	s_or_b32 s0, vcc_lo, s0
	s_waitcnt vmcnt(0) lgkmcnt(0)
	v_fma_f64 v[119:120], v[140:141], v[142:143], v[119:120]
	s_and_not1_b32 exec_lo, exec_lo, s0
	s_cbranch_execnz .LBB122_285
; %bb.286:
	s_or_b32 exec_lo, exec_lo, s0
.LBB122_287:
	s_delay_alu instid0(SALU_CYCLE_1)
	s_or_b32 exec_lo, exec_lo, s4
	v_mov_b32_e32 v138, 0
	ds_load_b64 v[138:139], v138 offset:232
	s_waitcnt lgkmcnt(0)
	v_mul_f64 v[119:120], v[119:120], v[138:139]
	scratch_store_b64 off, v[119:120], off offset:232
.LBB122_288:
	s_or_b32 exec_lo, exec_lo, s2
	scratch_load_b64 v[119:120], off, off offset:224
	v_cmp_lt_u32_e64 s0, 28, v0
	s_waitcnt vmcnt(0)
	ds_store_b64 v122, v[119:120]
	s_waitcnt lgkmcnt(0)
	s_waitcnt_vscnt null, 0x0
	s_barrier
	buffer_gl0_inv
	s_and_saveexec_b32 s2, s0
	s_cbranch_execz .LBB122_298
; %bb.289:
	s_and_not1_b32 vcc_lo, exec_lo, s3
	s_cbranch_vccnz .LBB122_291
; %bb.290:
	scratch_load_b64 v[119:120], v123, off
	ds_load_b64 v[138:139], v122
	s_waitcnt vmcnt(0) lgkmcnt(0)
	v_mul_f64 v[119:120], v[119:120], v[138:139]
	s_cbranch_execz .LBB122_292
	s_branch .LBB122_293
.LBB122_291:
                                        ; implicit-def: $vgpr119_vgpr120
.LBB122_292:
	ds_load_b64 v[119:120], v122
.LBB122_293:
	s_and_saveexec_b32 s4, s1
	s_cbranch_execz .LBB122_297
; %bb.294:
	v_mov_b32_e32 v138, 0
	v_subrev_nc_u32_e32 v139, 29, v0
	s_movk_i32 s5, 0x2c8
	s_mov_b32 s1, 0
	s_delay_alu instid0(VALU_DEP_2)
	v_add_nc_u32_e32 v138, 0xe8, v138
.LBB122_295:                            ; =>This Inner Loop Header: Depth=1
	scratch_load_b64 v[140:141], v138, off
	v_dual_mov_b32 v142, s5 :: v_dual_add_nc_u32 v139, -1, v139
	v_add_nc_u32_e32 v138, 8, v138
	s_add_i32 s5, s5, 8
	ds_load_b64 v[142:143], v142
	v_cmp_eq_u32_e32 vcc_lo, 0, v139
	s_or_b32 s1, vcc_lo, s1
	s_waitcnt vmcnt(0) lgkmcnt(0)
	v_fma_f64 v[119:120], v[140:141], v[142:143], v[119:120]
	s_and_not1_b32 exec_lo, exec_lo, s1
	s_cbranch_execnz .LBB122_295
; %bb.296:
	s_or_b32 exec_lo, exec_lo, s1
.LBB122_297:
	s_delay_alu instid0(SALU_CYCLE_1)
	s_or_b32 exec_lo, exec_lo, s4
	v_mov_b32_e32 v138, 0
	ds_load_b64 v[138:139], v138 offset:224
	s_waitcnt lgkmcnt(0)
	v_mul_f64 v[119:120], v[119:120], v[138:139]
	scratch_store_b64 off, v[119:120], off offset:224
.LBB122_298:
	s_or_b32 exec_lo, exec_lo, s2
	scratch_load_b64 v[119:120], off, off offset:216
	v_cmp_lt_u32_e64 s1, 27, v0
	s_waitcnt vmcnt(0)
	ds_store_b64 v122, v[119:120]
	s_waitcnt lgkmcnt(0)
	s_waitcnt_vscnt null, 0x0
	s_barrier
	buffer_gl0_inv
	s_and_saveexec_b32 s2, s1
	s_cbranch_execz .LBB122_308
; %bb.299:
	s_and_not1_b32 vcc_lo, exec_lo, s3
	s_cbranch_vccnz .LBB122_301
; %bb.300:
	scratch_load_b64 v[119:120], v123, off
	ds_load_b64 v[138:139], v122
	s_waitcnt vmcnt(0) lgkmcnt(0)
	v_mul_f64 v[119:120], v[119:120], v[138:139]
	s_cbranch_execz .LBB122_302
	s_branch .LBB122_303
.LBB122_301:
                                        ; implicit-def: $vgpr119_vgpr120
.LBB122_302:
	ds_load_b64 v[119:120], v122
.LBB122_303:
	s_and_saveexec_b32 s4, s0
	s_cbranch_execz .LBB122_307
; %bb.304:
	v_subrev_nc_u32_e32 v138, 28, v0
	s_movk_i32 s5, 0x2c0
	s_mov_b32 s0, 0
.LBB122_305:                            ; =>This Inner Loop Header: Depth=1
	scratch_load_b64 v[139:140], v137, off
	v_dual_mov_b32 v141, s5 :: v_dual_add_nc_u32 v138, -1, v138
	v_add_nc_u32_e32 v137, 8, v137
	s_add_i32 s5, s5, 8
	ds_load_b64 v[141:142], v141
	v_cmp_eq_u32_e32 vcc_lo, 0, v138
	s_or_b32 s0, vcc_lo, s0
	s_waitcnt vmcnt(0) lgkmcnt(0)
	v_fma_f64 v[119:120], v[139:140], v[141:142], v[119:120]
	s_and_not1_b32 exec_lo, exec_lo, s0
	s_cbranch_execnz .LBB122_305
; %bb.306:
	s_or_b32 exec_lo, exec_lo, s0
.LBB122_307:
	s_delay_alu instid0(SALU_CYCLE_1)
	s_or_b32 exec_lo, exec_lo, s4
	v_mov_b32_e32 v137, 0
	ds_load_b64 v[137:138], v137 offset:216
	s_waitcnt lgkmcnt(0)
	v_mul_f64 v[119:120], v[119:120], v[137:138]
	scratch_store_b64 off, v[119:120], off offset:216
.LBB122_308:
	s_or_b32 exec_lo, exec_lo, s2
	scratch_load_b64 v[119:120], off, off offset:208
	v_cmp_lt_u32_e64 s0, 26, v0
	s_waitcnt vmcnt(0)
	ds_store_b64 v122, v[119:120]
	s_waitcnt lgkmcnt(0)
	s_waitcnt_vscnt null, 0x0
	s_barrier
	buffer_gl0_inv
	s_and_saveexec_b32 s2, s0
	s_cbranch_execz .LBB122_318
; %bb.309:
	s_and_not1_b32 vcc_lo, exec_lo, s3
	s_cbranch_vccnz .LBB122_311
; %bb.310:
	scratch_load_b64 v[119:120], v123, off
	ds_load_b64 v[137:138], v122
	s_waitcnt vmcnt(0) lgkmcnt(0)
	v_mul_f64 v[119:120], v[119:120], v[137:138]
	s_cbranch_execz .LBB122_312
	s_branch .LBB122_313
.LBB122_311:
                                        ; implicit-def: $vgpr119_vgpr120
.LBB122_312:
	ds_load_b64 v[119:120], v122
.LBB122_313:
	s_and_saveexec_b32 s4, s1
	s_cbranch_execz .LBB122_317
; %bb.314:
	v_mov_b32_e32 v137, 0
	v_subrev_nc_u32_e32 v138, 27, v0
	s_movk_i32 s5, 0x2b8
	s_mov_b32 s1, 0
	s_delay_alu instid0(VALU_DEP_2)
	v_add_nc_u32_e32 v137, 0xd8, v137
.LBB122_315:                            ; =>This Inner Loop Header: Depth=1
	scratch_load_b64 v[139:140], v137, off
	v_dual_mov_b32 v141, s5 :: v_dual_add_nc_u32 v138, -1, v138
	v_add_nc_u32_e32 v137, 8, v137
	s_add_i32 s5, s5, 8
	ds_load_b64 v[141:142], v141
	v_cmp_eq_u32_e32 vcc_lo, 0, v138
	s_or_b32 s1, vcc_lo, s1
	s_waitcnt vmcnt(0) lgkmcnt(0)
	v_fma_f64 v[119:120], v[139:140], v[141:142], v[119:120]
	s_and_not1_b32 exec_lo, exec_lo, s1
	s_cbranch_execnz .LBB122_315
; %bb.316:
	s_or_b32 exec_lo, exec_lo, s1
.LBB122_317:
	s_delay_alu instid0(SALU_CYCLE_1)
	s_or_b32 exec_lo, exec_lo, s4
	v_mov_b32_e32 v137, 0
	ds_load_b64 v[137:138], v137 offset:208
	s_waitcnt lgkmcnt(0)
	v_mul_f64 v[119:120], v[119:120], v[137:138]
	scratch_store_b64 off, v[119:120], off offset:208
.LBB122_318:
	s_or_b32 exec_lo, exec_lo, s2
	scratch_load_b64 v[119:120], off, off offset:200
	v_cmp_lt_u32_e64 s1, 25, v0
	s_waitcnt vmcnt(0)
	ds_store_b64 v122, v[119:120]
	s_waitcnt lgkmcnt(0)
	s_waitcnt_vscnt null, 0x0
	s_barrier
	buffer_gl0_inv
	s_and_saveexec_b32 s2, s1
	s_cbranch_execz .LBB122_328
; %bb.319:
	s_and_not1_b32 vcc_lo, exec_lo, s3
	s_cbranch_vccnz .LBB122_321
; %bb.320:
	scratch_load_b64 v[119:120], v123, off
	ds_load_b64 v[137:138], v122
	s_waitcnt vmcnt(0) lgkmcnt(0)
	v_mul_f64 v[119:120], v[119:120], v[137:138]
	s_cbranch_execz .LBB122_322
	s_branch .LBB122_323
.LBB122_321:
                                        ; implicit-def: $vgpr119_vgpr120
.LBB122_322:
	ds_load_b64 v[119:120], v122
.LBB122_323:
	s_and_saveexec_b32 s4, s0
	s_cbranch_execz .LBB122_327
; %bb.324:
	v_subrev_nc_u32_e32 v137, 26, v0
	s_movk_i32 s5, 0x2b0
	s_mov_b32 s0, 0
.LBB122_325:                            ; =>This Inner Loop Header: Depth=1
	scratch_load_b64 v[138:139], v136, off
	v_dual_mov_b32 v140, s5 :: v_dual_add_nc_u32 v137, -1, v137
	v_add_nc_u32_e32 v136, 8, v136
	s_add_i32 s5, s5, 8
	ds_load_b64 v[140:141], v140
	v_cmp_eq_u32_e32 vcc_lo, 0, v137
	s_or_b32 s0, vcc_lo, s0
	s_waitcnt vmcnt(0) lgkmcnt(0)
	v_fma_f64 v[119:120], v[138:139], v[140:141], v[119:120]
	s_and_not1_b32 exec_lo, exec_lo, s0
	s_cbranch_execnz .LBB122_325
; %bb.326:
	s_or_b32 exec_lo, exec_lo, s0
.LBB122_327:
	s_delay_alu instid0(SALU_CYCLE_1)
	s_or_b32 exec_lo, exec_lo, s4
	v_mov_b32_e32 v136, 0
	ds_load_b64 v[136:137], v136 offset:200
	s_waitcnt lgkmcnt(0)
	v_mul_f64 v[119:120], v[119:120], v[136:137]
	scratch_store_b64 off, v[119:120], off offset:200
.LBB122_328:
	s_or_b32 exec_lo, exec_lo, s2
	scratch_load_b64 v[119:120], off, off offset:192
	v_cmp_lt_u32_e64 s0, 24, v0
	s_waitcnt vmcnt(0)
	ds_store_b64 v122, v[119:120]
	s_waitcnt lgkmcnt(0)
	s_waitcnt_vscnt null, 0x0
	s_barrier
	buffer_gl0_inv
	s_and_saveexec_b32 s2, s0
	s_cbranch_execz .LBB122_338
; %bb.329:
	s_and_not1_b32 vcc_lo, exec_lo, s3
	s_cbranch_vccnz .LBB122_331
; %bb.330:
	scratch_load_b64 v[119:120], v123, off
	ds_load_b64 v[136:137], v122
	s_waitcnt vmcnt(0) lgkmcnt(0)
	v_mul_f64 v[119:120], v[119:120], v[136:137]
	s_cbranch_execz .LBB122_332
	s_branch .LBB122_333
.LBB122_331:
                                        ; implicit-def: $vgpr119_vgpr120
.LBB122_332:
	ds_load_b64 v[119:120], v122
.LBB122_333:
	s_and_saveexec_b32 s4, s1
	s_cbranch_execz .LBB122_337
; %bb.334:
	v_mov_b32_e32 v136, 0
	v_subrev_nc_u32_e32 v137, 25, v0
	s_movk_i32 s5, 0x2a8
	s_mov_b32 s1, 0
	s_delay_alu instid0(VALU_DEP_2)
	v_add_nc_u32_e32 v136, 0xc8, v136
.LBB122_335:                            ; =>This Inner Loop Header: Depth=1
	scratch_load_b64 v[138:139], v136, off
	v_dual_mov_b32 v140, s5 :: v_dual_add_nc_u32 v137, -1, v137
	v_add_nc_u32_e32 v136, 8, v136
	s_add_i32 s5, s5, 8
	ds_load_b64 v[140:141], v140
	v_cmp_eq_u32_e32 vcc_lo, 0, v137
	s_or_b32 s1, vcc_lo, s1
	s_waitcnt vmcnt(0) lgkmcnt(0)
	v_fma_f64 v[119:120], v[138:139], v[140:141], v[119:120]
	s_and_not1_b32 exec_lo, exec_lo, s1
	s_cbranch_execnz .LBB122_335
; %bb.336:
	s_or_b32 exec_lo, exec_lo, s1
.LBB122_337:
	s_delay_alu instid0(SALU_CYCLE_1)
	s_or_b32 exec_lo, exec_lo, s4
	v_mov_b32_e32 v136, 0
	ds_load_b64 v[136:137], v136 offset:192
	s_waitcnt lgkmcnt(0)
	v_mul_f64 v[119:120], v[119:120], v[136:137]
	scratch_store_b64 off, v[119:120], off offset:192
.LBB122_338:
	s_or_b32 exec_lo, exec_lo, s2
	scratch_load_b64 v[119:120], off, off offset:184
	v_cmp_lt_u32_e64 s1, 23, v0
	s_waitcnt vmcnt(0)
	ds_store_b64 v122, v[119:120]
	s_waitcnt lgkmcnt(0)
	s_waitcnt_vscnt null, 0x0
	s_barrier
	buffer_gl0_inv
	s_and_saveexec_b32 s2, s1
	s_cbranch_execz .LBB122_348
; %bb.339:
	s_and_not1_b32 vcc_lo, exec_lo, s3
	s_cbranch_vccnz .LBB122_341
; %bb.340:
	scratch_load_b64 v[119:120], v123, off
	ds_load_b64 v[136:137], v122
	s_waitcnt vmcnt(0) lgkmcnt(0)
	v_mul_f64 v[119:120], v[119:120], v[136:137]
	s_cbranch_execz .LBB122_342
	s_branch .LBB122_343
.LBB122_341:
                                        ; implicit-def: $vgpr119_vgpr120
.LBB122_342:
	ds_load_b64 v[119:120], v122
.LBB122_343:
	s_and_saveexec_b32 s4, s0
	s_cbranch_execz .LBB122_347
; %bb.344:
	v_subrev_nc_u32_e32 v136, 24, v0
	s_movk_i32 s5, 0x2a0
	s_mov_b32 s0, 0
.LBB122_345:                            ; =>This Inner Loop Header: Depth=1
	scratch_load_b64 v[137:138], v135, off
	v_dual_mov_b32 v139, s5 :: v_dual_add_nc_u32 v136, -1, v136
	v_add_nc_u32_e32 v135, 8, v135
	s_add_i32 s5, s5, 8
	ds_load_b64 v[139:140], v139
	v_cmp_eq_u32_e32 vcc_lo, 0, v136
	s_or_b32 s0, vcc_lo, s0
	s_waitcnt vmcnt(0) lgkmcnt(0)
	v_fma_f64 v[119:120], v[137:138], v[139:140], v[119:120]
	s_and_not1_b32 exec_lo, exec_lo, s0
	s_cbranch_execnz .LBB122_345
; %bb.346:
	s_or_b32 exec_lo, exec_lo, s0
.LBB122_347:
	s_delay_alu instid0(SALU_CYCLE_1)
	s_or_b32 exec_lo, exec_lo, s4
	v_mov_b32_e32 v135, 0
	ds_load_b64 v[135:136], v135 offset:184
	s_waitcnt lgkmcnt(0)
	v_mul_f64 v[119:120], v[119:120], v[135:136]
	scratch_store_b64 off, v[119:120], off offset:184
.LBB122_348:
	s_or_b32 exec_lo, exec_lo, s2
	scratch_load_b64 v[119:120], off, off offset:176
	v_cmp_lt_u32_e64 s0, 22, v0
	s_waitcnt vmcnt(0)
	ds_store_b64 v122, v[119:120]
	s_waitcnt lgkmcnt(0)
	s_waitcnt_vscnt null, 0x0
	s_barrier
	buffer_gl0_inv
	s_and_saveexec_b32 s2, s0
	s_cbranch_execz .LBB122_358
; %bb.349:
	s_and_not1_b32 vcc_lo, exec_lo, s3
	s_cbranch_vccnz .LBB122_351
; %bb.350:
	scratch_load_b64 v[119:120], v123, off
	ds_load_b64 v[135:136], v122
	s_waitcnt vmcnt(0) lgkmcnt(0)
	v_mul_f64 v[119:120], v[119:120], v[135:136]
	s_cbranch_execz .LBB122_352
	s_branch .LBB122_353
.LBB122_351:
                                        ; implicit-def: $vgpr119_vgpr120
.LBB122_352:
	ds_load_b64 v[119:120], v122
.LBB122_353:
	s_and_saveexec_b32 s4, s1
	s_cbranch_execz .LBB122_357
; %bb.354:
	v_mov_b32_e32 v135, 0
	v_subrev_nc_u32_e32 v136, 23, v0
	s_movk_i32 s5, 0x298
	s_mov_b32 s1, 0
	s_delay_alu instid0(VALU_DEP_2)
	v_add_nc_u32_e32 v135, 0xb8, v135
.LBB122_355:                            ; =>This Inner Loop Header: Depth=1
	scratch_load_b64 v[137:138], v135, off
	v_dual_mov_b32 v139, s5 :: v_dual_add_nc_u32 v136, -1, v136
	v_add_nc_u32_e32 v135, 8, v135
	s_add_i32 s5, s5, 8
	ds_load_b64 v[139:140], v139
	v_cmp_eq_u32_e32 vcc_lo, 0, v136
	s_or_b32 s1, vcc_lo, s1
	s_waitcnt vmcnt(0) lgkmcnt(0)
	v_fma_f64 v[119:120], v[137:138], v[139:140], v[119:120]
	s_and_not1_b32 exec_lo, exec_lo, s1
	s_cbranch_execnz .LBB122_355
; %bb.356:
	s_or_b32 exec_lo, exec_lo, s1
.LBB122_357:
	s_delay_alu instid0(SALU_CYCLE_1)
	s_or_b32 exec_lo, exec_lo, s4
	v_mov_b32_e32 v135, 0
	ds_load_b64 v[135:136], v135 offset:176
	s_waitcnt lgkmcnt(0)
	v_mul_f64 v[119:120], v[119:120], v[135:136]
	scratch_store_b64 off, v[119:120], off offset:176
.LBB122_358:
	s_or_b32 exec_lo, exec_lo, s2
	scratch_load_b64 v[119:120], off, off offset:168
	v_cmp_lt_u32_e64 s1, 21, v0
	s_waitcnt vmcnt(0)
	ds_store_b64 v122, v[119:120]
	s_waitcnt lgkmcnt(0)
	s_waitcnt_vscnt null, 0x0
	s_barrier
	buffer_gl0_inv
	s_and_saveexec_b32 s2, s1
	s_cbranch_execz .LBB122_368
; %bb.359:
	s_and_not1_b32 vcc_lo, exec_lo, s3
	s_cbranch_vccnz .LBB122_361
; %bb.360:
	scratch_load_b64 v[119:120], v123, off
	ds_load_b64 v[135:136], v122
	s_waitcnt vmcnt(0) lgkmcnt(0)
	v_mul_f64 v[119:120], v[119:120], v[135:136]
	s_cbranch_execz .LBB122_362
	s_branch .LBB122_363
.LBB122_361:
                                        ; implicit-def: $vgpr119_vgpr120
.LBB122_362:
	ds_load_b64 v[119:120], v122
.LBB122_363:
	s_and_saveexec_b32 s4, s0
	s_cbranch_execz .LBB122_367
; %bb.364:
	v_subrev_nc_u32_e32 v135, 22, v0
	s_movk_i32 s5, 0x290
	s_mov_b32 s0, 0
.LBB122_365:                            ; =>This Inner Loop Header: Depth=1
	scratch_load_b64 v[136:137], v134, off
	v_dual_mov_b32 v138, s5 :: v_dual_add_nc_u32 v135, -1, v135
	v_add_nc_u32_e32 v134, 8, v134
	s_add_i32 s5, s5, 8
	ds_load_b64 v[138:139], v138
	v_cmp_eq_u32_e32 vcc_lo, 0, v135
	s_or_b32 s0, vcc_lo, s0
	s_waitcnt vmcnt(0) lgkmcnt(0)
	v_fma_f64 v[119:120], v[136:137], v[138:139], v[119:120]
	s_and_not1_b32 exec_lo, exec_lo, s0
	s_cbranch_execnz .LBB122_365
; %bb.366:
	s_or_b32 exec_lo, exec_lo, s0
.LBB122_367:
	s_delay_alu instid0(SALU_CYCLE_1)
	s_or_b32 exec_lo, exec_lo, s4
	v_mov_b32_e32 v134, 0
	ds_load_b64 v[134:135], v134 offset:168
	s_waitcnt lgkmcnt(0)
	v_mul_f64 v[119:120], v[119:120], v[134:135]
	scratch_store_b64 off, v[119:120], off offset:168
.LBB122_368:
	s_or_b32 exec_lo, exec_lo, s2
	scratch_load_b64 v[119:120], off, off offset:160
	v_cmp_lt_u32_e64 s0, 20, v0
	s_waitcnt vmcnt(0)
	ds_store_b64 v122, v[119:120]
	s_waitcnt lgkmcnt(0)
	s_waitcnt_vscnt null, 0x0
	s_barrier
	buffer_gl0_inv
	s_and_saveexec_b32 s2, s0
	s_cbranch_execz .LBB122_378
; %bb.369:
	s_and_not1_b32 vcc_lo, exec_lo, s3
	s_cbranch_vccnz .LBB122_371
; %bb.370:
	scratch_load_b64 v[119:120], v123, off
	ds_load_b64 v[134:135], v122
	s_waitcnt vmcnt(0) lgkmcnt(0)
	v_mul_f64 v[119:120], v[119:120], v[134:135]
	s_cbranch_execz .LBB122_372
	s_branch .LBB122_373
.LBB122_371:
                                        ; implicit-def: $vgpr119_vgpr120
.LBB122_372:
	ds_load_b64 v[119:120], v122
.LBB122_373:
	s_and_saveexec_b32 s4, s1
	s_cbranch_execz .LBB122_377
; %bb.374:
	v_mov_b32_e32 v134, 0
	v_subrev_nc_u32_e32 v135, 21, v0
	s_movk_i32 s5, 0x288
	s_mov_b32 s1, 0
	s_delay_alu instid0(VALU_DEP_2)
	v_add_nc_u32_e32 v134, 0xa8, v134
.LBB122_375:                            ; =>This Inner Loop Header: Depth=1
	scratch_load_b64 v[136:137], v134, off
	v_dual_mov_b32 v138, s5 :: v_dual_add_nc_u32 v135, -1, v135
	v_add_nc_u32_e32 v134, 8, v134
	s_add_i32 s5, s5, 8
	ds_load_b64 v[138:139], v138
	v_cmp_eq_u32_e32 vcc_lo, 0, v135
	s_or_b32 s1, vcc_lo, s1
	s_waitcnt vmcnt(0) lgkmcnt(0)
	v_fma_f64 v[119:120], v[136:137], v[138:139], v[119:120]
	s_and_not1_b32 exec_lo, exec_lo, s1
	s_cbranch_execnz .LBB122_375
; %bb.376:
	s_or_b32 exec_lo, exec_lo, s1
.LBB122_377:
	s_delay_alu instid0(SALU_CYCLE_1)
	s_or_b32 exec_lo, exec_lo, s4
	v_mov_b32_e32 v134, 0
	ds_load_b64 v[134:135], v134 offset:160
	s_waitcnt lgkmcnt(0)
	v_mul_f64 v[119:120], v[119:120], v[134:135]
	scratch_store_b64 off, v[119:120], off offset:160
.LBB122_378:
	s_or_b32 exec_lo, exec_lo, s2
	scratch_load_b64 v[119:120], off, off offset:152
	v_cmp_lt_u32_e64 s1, 19, v0
	s_waitcnt vmcnt(0)
	ds_store_b64 v122, v[119:120]
	s_waitcnt lgkmcnt(0)
	s_waitcnt_vscnt null, 0x0
	s_barrier
	buffer_gl0_inv
	s_and_saveexec_b32 s2, s1
	s_cbranch_execz .LBB122_388
; %bb.379:
	s_and_not1_b32 vcc_lo, exec_lo, s3
	s_cbranch_vccnz .LBB122_381
; %bb.380:
	scratch_load_b64 v[119:120], v123, off
	ds_load_b64 v[134:135], v122
	s_waitcnt vmcnt(0) lgkmcnt(0)
	v_mul_f64 v[119:120], v[119:120], v[134:135]
	s_cbranch_execz .LBB122_382
	s_branch .LBB122_383
.LBB122_381:
                                        ; implicit-def: $vgpr119_vgpr120
.LBB122_382:
	ds_load_b64 v[119:120], v122
.LBB122_383:
	s_and_saveexec_b32 s4, s0
	s_cbranch_execz .LBB122_387
; %bb.384:
	v_subrev_nc_u32_e32 v134, 20, v0
	s_movk_i32 s5, 0x280
	s_mov_b32 s0, 0
.LBB122_385:                            ; =>This Inner Loop Header: Depth=1
	scratch_load_b64 v[135:136], v133, off
	v_dual_mov_b32 v137, s5 :: v_dual_add_nc_u32 v134, -1, v134
	v_add_nc_u32_e32 v133, 8, v133
	s_add_i32 s5, s5, 8
	ds_load_b64 v[137:138], v137
	v_cmp_eq_u32_e32 vcc_lo, 0, v134
	s_or_b32 s0, vcc_lo, s0
	s_waitcnt vmcnt(0) lgkmcnt(0)
	v_fma_f64 v[119:120], v[135:136], v[137:138], v[119:120]
	s_and_not1_b32 exec_lo, exec_lo, s0
	s_cbranch_execnz .LBB122_385
; %bb.386:
	s_or_b32 exec_lo, exec_lo, s0
.LBB122_387:
	s_delay_alu instid0(SALU_CYCLE_1)
	s_or_b32 exec_lo, exec_lo, s4
	v_mov_b32_e32 v133, 0
	ds_load_b64 v[133:134], v133 offset:152
	s_waitcnt lgkmcnt(0)
	v_mul_f64 v[119:120], v[119:120], v[133:134]
	scratch_store_b64 off, v[119:120], off offset:152
.LBB122_388:
	s_or_b32 exec_lo, exec_lo, s2
	scratch_load_b64 v[119:120], off, off offset:144
	v_cmp_lt_u32_e64 s0, 18, v0
	s_waitcnt vmcnt(0)
	ds_store_b64 v122, v[119:120]
	s_waitcnt lgkmcnt(0)
	s_waitcnt_vscnt null, 0x0
	s_barrier
	buffer_gl0_inv
	s_and_saveexec_b32 s2, s0
	s_cbranch_execz .LBB122_398
; %bb.389:
	s_and_not1_b32 vcc_lo, exec_lo, s3
	s_cbranch_vccnz .LBB122_391
; %bb.390:
	scratch_load_b64 v[119:120], v123, off
	ds_load_b64 v[133:134], v122
	s_waitcnt vmcnt(0) lgkmcnt(0)
	v_mul_f64 v[119:120], v[119:120], v[133:134]
	s_cbranch_execz .LBB122_392
	s_branch .LBB122_393
.LBB122_391:
                                        ; implicit-def: $vgpr119_vgpr120
.LBB122_392:
	ds_load_b64 v[119:120], v122
.LBB122_393:
	s_and_saveexec_b32 s4, s1
	s_cbranch_execz .LBB122_397
; %bb.394:
	v_mov_b32_e32 v133, 0
	v_subrev_nc_u32_e32 v134, 19, v0
	s_movk_i32 s5, 0x278
	s_mov_b32 s1, 0
	s_delay_alu instid0(VALU_DEP_2)
	v_add_nc_u32_e32 v133, 0x98, v133
.LBB122_395:                            ; =>This Inner Loop Header: Depth=1
	scratch_load_b64 v[135:136], v133, off
	v_dual_mov_b32 v137, s5 :: v_dual_add_nc_u32 v134, -1, v134
	v_add_nc_u32_e32 v133, 8, v133
	s_add_i32 s5, s5, 8
	ds_load_b64 v[137:138], v137
	v_cmp_eq_u32_e32 vcc_lo, 0, v134
	s_or_b32 s1, vcc_lo, s1
	s_waitcnt vmcnt(0) lgkmcnt(0)
	v_fma_f64 v[119:120], v[135:136], v[137:138], v[119:120]
	s_and_not1_b32 exec_lo, exec_lo, s1
	s_cbranch_execnz .LBB122_395
; %bb.396:
	s_or_b32 exec_lo, exec_lo, s1
.LBB122_397:
	s_delay_alu instid0(SALU_CYCLE_1)
	s_or_b32 exec_lo, exec_lo, s4
	v_mov_b32_e32 v133, 0
	ds_load_b64 v[133:134], v133 offset:144
	s_waitcnt lgkmcnt(0)
	v_mul_f64 v[119:120], v[119:120], v[133:134]
	scratch_store_b64 off, v[119:120], off offset:144
.LBB122_398:
	s_or_b32 exec_lo, exec_lo, s2
	scratch_load_b64 v[119:120], off, off offset:136
	v_cmp_lt_u32_e64 s1, 17, v0
	s_waitcnt vmcnt(0)
	ds_store_b64 v122, v[119:120]
	s_waitcnt lgkmcnt(0)
	s_waitcnt_vscnt null, 0x0
	s_barrier
	buffer_gl0_inv
	s_and_saveexec_b32 s2, s1
	s_cbranch_execz .LBB122_408
; %bb.399:
	s_and_not1_b32 vcc_lo, exec_lo, s3
	s_cbranch_vccnz .LBB122_401
; %bb.400:
	scratch_load_b64 v[119:120], v123, off
	ds_load_b64 v[133:134], v122
	s_waitcnt vmcnt(0) lgkmcnt(0)
	v_mul_f64 v[119:120], v[119:120], v[133:134]
	s_cbranch_execz .LBB122_402
	s_branch .LBB122_403
.LBB122_401:
                                        ; implicit-def: $vgpr119_vgpr120
.LBB122_402:
	ds_load_b64 v[119:120], v122
.LBB122_403:
	s_and_saveexec_b32 s4, s0
	s_cbranch_execz .LBB122_407
; %bb.404:
	v_subrev_nc_u32_e32 v133, 18, v0
	s_movk_i32 s5, 0x270
	s_mov_b32 s0, 0
.LBB122_405:                            ; =>This Inner Loop Header: Depth=1
	scratch_load_b64 v[134:135], v132, off
	v_dual_mov_b32 v136, s5 :: v_dual_add_nc_u32 v133, -1, v133
	v_add_nc_u32_e32 v132, 8, v132
	s_add_i32 s5, s5, 8
	ds_load_b64 v[136:137], v136
	v_cmp_eq_u32_e32 vcc_lo, 0, v133
	s_or_b32 s0, vcc_lo, s0
	s_waitcnt vmcnt(0) lgkmcnt(0)
	v_fma_f64 v[119:120], v[134:135], v[136:137], v[119:120]
	s_and_not1_b32 exec_lo, exec_lo, s0
	s_cbranch_execnz .LBB122_405
; %bb.406:
	s_or_b32 exec_lo, exec_lo, s0
.LBB122_407:
	s_delay_alu instid0(SALU_CYCLE_1)
	s_or_b32 exec_lo, exec_lo, s4
	v_mov_b32_e32 v132, 0
	ds_load_b64 v[132:133], v132 offset:136
	s_waitcnt lgkmcnt(0)
	v_mul_f64 v[119:120], v[119:120], v[132:133]
	scratch_store_b64 off, v[119:120], off offset:136
.LBB122_408:
	s_or_b32 exec_lo, exec_lo, s2
	scratch_load_b64 v[119:120], off, off offset:128
	v_cmp_lt_u32_e64 s0, 16, v0
	s_waitcnt vmcnt(0)
	ds_store_b64 v122, v[119:120]
	s_waitcnt lgkmcnt(0)
	s_waitcnt_vscnt null, 0x0
	s_barrier
	buffer_gl0_inv
	s_and_saveexec_b32 s2, s0
	s_cbranch_execz .LBB122_418
; %bb.409:
	s_and_not1_b32 vcc_lo, exec_lo, s3
	s_cbranch_vccnz .LBB122_411
; %bb.410:
	scratch_load_b64 v[119:120], v123, off
	ds_load_b64 v[132:133], v122
	s_waitcnt vmcnt(0) lgkmcnt(0)
	v_mul_f64 v[119:120], v[119:120], v[132:133]
	s_cbranch_execz .LBB122_412
	s_branch .LBB122_413
.LBB122_411:
                                        ; implicit-def: $vgpr119_vgpr120
.LBB122_412:
	ds_load_b64 v[119:120], v122
.LBB122_413:
	s_and_saveexec_b32 s4, s1
	s_cbranch_execz .LBB122_417
; %bb.414:
	v_mov_b32_e32 v132, 0
	v_subrev_nc_u32_e32 v133, 17, v0
	s_movk_i32 s5, 0x268
	s_mov_b32 s1, 0
	s_delay_alu instid0(VALU_DEP_2)
	v_add_nc_u32_e32 v132, 0x88, v132
.LBB122_415:                            ; =>This Inner Loop Header: Depth=1
	scratch_load_b64 v[134:135], v132, off
	v_dual_mov_b32 v136, s5 :: v_dual_add_nc_u32 v133, -1, v133
	v_add_nc_u32_e32 v132, 8, v132
	s_add_i32 s5, s5, 8
	ds_load_b64 v[136:137], v136
	v_cmp_eq_u32_e32 vcc_lo, 0, v133
	s_or_b32 s1, vcc_lo, s1
	s_waitcnt vmcnt(0) lgkmcnt(0)
	v_fma_f64 v[119:120], v[134:135], v[136:137], v[119:120]
	s_and_not1_b32 exec_lo, exec_lo, s1
	s_cbranch_execnz .LBB122_415
; %bb.416:
	s_or_b32 exec_lo, exec_lo, s1
.LBB122_417:
	s_delay_alu instid0(SALU_CYCLE_1)
	s_or_b32 exec_lo, exec_lo, s4
	v_mov_b32_e32 v132, 0
	ds_load_b64 v[132:133], v132 offset:128
	s_waitcnt lgkmcnt(0)
	v_mul_f64 v[119:120], v[119:120], v[132:133]
	scratch_store_b64 off, v[119:120], off offset:128
.LBB122_418:
	s_or_b32 exec_lo, exec_lo, s2
	scratch_load_b64 v[119:120], off, off offset:120
	v_cmp_lt_u32_e64 s1, 15, v0
	s_waitcnt vmcnt(0)
	ds_store_b64 v122, v[119:120]
	s_waitcnt lgkmcnt(0)
	s_waitcnt_vscnt null, 0x0
	s_barrier
	buffer_gl0_inv
	s_and_saveexec_b32 s2, s1
	s_cbranch_execz .LBB122_428
; %bb.419:
	s_and_not1_b32 vcc_lo, exec_lo, s3
	s_cbranch_vccnz .LBB122_421
; %bb.420:
	scratch_load_b64 v[119:120], v123, off
	ds_load_b64 v[132:133], v122
	s_waitcnt vmcnt(0) lgkmcnt(0)
	v_mul_f64 v[119:120], v[119:120], v[132:133]
	s_cbranch_execz .LBB122_422
	s_branch .LBB122_423
.LBB122_421:
                                        ; implicit-def: $vgpr119_vgpr120
.LBB122_422:
	ds_load_b64 v[119:120], v122
.LBB122_423:
	s_and_saveexec_b32 s4, s0
	s_cbranch_execz .LBB122_427
; %bb.424:
	v_add_nc_u32_e32 v132, -16, v0
	s_movk_i32 s5, 0x260
	s_mov_b32 s0, 0
.LBB122_425:                            ; =>This Inner Loop Header: Depth=1
	scratch_load_b64 v[133:134], v131, off
	v_dual_mov_b32 v135, s5 :: v_dual_add_nc_u32 v132, -1, v132
	v_add_nc_u32_e32 v131, 8, v131
	s_add_i32 s5, s5, 8
	ds_load_b64 v[135:136], v135
	v_cmp_eq_u32_e32 vcc_lo, 0, v132
	s_or_b32 s0, vcc_lo, s0
	s_waitcnt vmcnt(0) lgkmcnt(0)
	v_fma_f64 v[119:120], v[133:134], v[135:136], v[119:120]
	s_and_not1_b32 exec_lo, exec_lo, s0
	s_cbranch_execnz .LBB122_425
; %bb.426:
	s_or_b32 exec_lo, exec_lo, s0
.LBB122_427:
	s_delay_alu instid0(SALU_CYCLE_1)
	s_or_b32 exec_lo, exec_lo, s4
	v_mov_b32_e32 v131, 0
	ds_load_b64 v[131:132], v131 offset:120
	s_waitcnt lgkmcnt(0)
	v_mul_f64 v[119:120], v[119:120], v[131:132]
	scratch_store_b64 off, v[119:120], off offset:120
.LBB122_428:
	s_or_b32 exec_lo, exec_lo, s2
	scratch_load_b64 v[119:120], off, off offset:112
	v_cmp_lt_u32_e64 s0, 14, v0
	s_waitcnt vmcnt(0)
	ds_store_b64 v122, v[119:120]
	s_waitcnt lgkmcnt(0)
	s_waitcnt_vscnt null, 0x0
	s_barrier
	buffer_gl0_inv
	s_and_saveexec_b32 s2, s0
	s_cbranch_execz .LBB122_438
; %bb.429:
	s_and_not1_b32 vcc_lo, exec_lo, s3
	s_cbranch_vccnz .LBB122_431
; %bb.430:
	scratch_load_b64 v[119:120], v123, off
	ds_load_b64 v[131:132], v122
	s_waitcnt vmcnt(0) lgkmcnt(0)
	v_mul_f64 v[119:120], v[119:120], v[131:132]
	s_cbranch_execz .LBB122_432
	s_branch .LBB122_433
.LBB122_431:
                                        ; implicit-def: $vgpr119_vgpr120
.LBB122_432:
	ds_load_b64 v[119:120], v122
.LBB122_433:
	s_and_saveexec_b32 s4, s1
	s_cbranch_execz .LBB122_437
; %bb.434:
	v_dual_mov_b32 v131, 0 :: v_dual_add_nc_u32 v132, -15, v0
	s_movk_i32 s5, 0x258
	s_mov_b32 s1, 0
	s_delay_alu instid0(VALU_DEP_1)
	v_add_nc_u32_e32 v131, 0x78, v131
.LBB122_435:                            ; =>This Inner Loop Header: Depth=1
	scratch_load_b64 v[133:134], v131, off
	v_dual_mov_b32 v135, s5 :: v_dual_add_nc_u32 v132, -1, v132
	v_add_nc_u32_e32 v131, 8, v131
	s_add_i32 s5, s5, 8
	ds_load_b64 v[135:136], v135
	v_cmp_eq_u32_e32 vcc_lo, 0, v132
	s_or_b32 s1, vcc_lo, s1
	s_waitcnt vmcnt(0) lgkmcnt(0)
	v_fma_f64 v[119:120], v[133:134], v[135:136], v[119:120]
	s_and_not1_b32 exec_lo, exec_lo, s1
	s_cbranch_execnz .LBB122_435
; %bb.436:
	s_or_b32 exec_lo, exec_lo, s1
.LBB122_437:
	s_delay_alu instid0(SALU_CYCLE_1)
	s_or_b32 exec_lo, exec_lo, s4
	v_mov_b32_e32 v131, 0
	ds_load_b64 v[131:132], v131 offset:112
	s_waitcnt lgkmcnt(0)
	v_mul_f64 v[119:120], v[119:120], v[131:132]
	scratch_store_b64 off, v[119:120], off offset:112
.LBB122_438:
	s_or_b32 exec_lo, exec_lo, s2
	scratch_load_b64 v[119:120], off, off offset:104
	v_cmp_lt_u32_e64 s1, 13, v0
	s_waitcnt vmcnt(0)
	ds_store_b64 v122, v[119:120]
	s_waitcnt lgkmcnt(0)
	s_waitcnt_vscnt null, 0x0
	s_barrier
	buffer_gl0_inv
	s_and_saveexec_b32 s2, s1
	s_cbranch_execz .LBB122_448
; %bb.439:
	s_and_not1_b32 vcc_lo, exec_lo, s3
	s_cbranch_vccnz .LBB122_441
; %bb.440:
	scratch_load_b64 v[119:120], v123, off
	ds_load_b64 v[131:132], v122
	s_waitcnt vmcnt(0) lgkmcnt(0)
	v_mul_f64 v[119:120], v[119:120], v[131:132]
	s_cbranch_execz .LBB122_442
	s_branch .LBB122_443
.LBB122_441:
                                        ; implicit-def: $vgpr119_vgpr120
.LBB122_442:
	ds_load_b64 v[119:120], v122
.LBB122_443:
	s_and_saveexec_b32 s4, s0
	s_cbranch_execz .LBB122_447
; %bb.444:
	v_add_nc_u32_e32 v131, -14, v0
	s_movk_i32 s5, 0x250
	s_mov_b32 s0, 0
.LBB122_445:                            ; =>This Inner Loop Header: Depth=1
	scratch_load_b64 v[132:133], v130, off
	v_dual_mov_b32 v134, s5 :: v_dual_add_nc_u32 v131, -1, v131
	v_add_nc_u32_e32 v130, 8, v130
	s_add_i32 s5, s5, 8
	ds_load_b64 v[134:135], v134
	v_cmp_eq_u32_e32 vcc_lo, 0, v131
	s_or_b32 s0, vcc_lo, s0
	s_waitcnt vmcnt(0) lgkmcnt(0)
	v_fma_f64 v[119:120], v[132:133], v[134:135], v[119:120]
	s_and_not1_b32 exec_lo, exec_lo, s0
	s_cbranch_execnz .LBB122_445
; %bb.446:
	s_or_b32 exec_lo, exec_lo, s0
.LBB122_447:
	s_delay_alu instid0(SALU_CYCLE_1)
	s_or_b32 exec_lo, exec_lo, s4
	v_mov_b32_e32 v130, 0
	ds_load_b64 v[130:131], v130 offset:104
	s_waitcnt lgkmcnt(0)
	v_mul_f64 v[119:120], v[119:120], v[130:131]
	scratch_store_b64 off, v[119:120], off offset:104
.LBB122_448:
	s_or_b32 exec_lo, exec_lo, s2
	scratch_load_b64 v[119:120], off, off offset:96
	v_cmp_lt_u32_e64 s0, 12, v0
	s_waitcnt vmcnt(0)
	ds_store_b64 v122, v[119:120]
	s_waitcnt lgkmcnt(0)
	s_waitcnt_vscnt null, 0x0
	s_barrier
	buffer_gl0_inv
	s_and_saveexec_b32 s2, s0
	s_cbranch_execz .LBB122_458
; %bb.449:
	s_and_not1_b32 vcc_lo, exec_lo, s3
	s_cbranch_vccnz .LBB122_451
; %bb.450:
	scratch_load_b64 v[119:120], v123, off
	ds_load_b64 v[130:131], v122
	s_waitcnt vmcnt(0) lgkmcnt(0)
	v_mul_f64 v[119:120], v[119:120], v[130:131]
	s_cbranch_execz .LBB122_452
	s_branch .LBB122_453
.LBB122_451:
                                        ; implicit-def: $vgpr119_vgpr120
.LBB122_452:
	ds_load_b64 v[119:120], v122
.LBB122_453:
	s_and_saveexec_b32 s4, s1
	s_cbranch_execz .LBB122_457
; %bb.454:
	v_dual_mov_b32 v130, 0 :: v_dual_add_nc_u32 v131, -13, v0
	s_movk_i32 s5, 0x248
	s_mov_b32 s1, 0
	s_delay_alu instid0(VALU_DEP_1)
	v_add_nc_u32_e32 v130, 0x68, v130
.LBB122_455:                            ; =>This Inner Loop Header: Depth=1
	scratch_load_b64 v[132:133], v130, off
	v_dual_mov_b32 v134, s5 :: v_dual_add_nc_u32 v131, -1, v131
	v_add_nc_u32_e32 v130, 8, v130
	s_add_i32 s5, s5, 8
	ds_load_b64 v[134:135], v134
	v_cmp_eq_u32_e32 vcc_lo, 0, v131
	s_or_b32 s1, vcc_lo, s1
	s_waitcnt vmcnt(0) lgkmcnt(0)
	v_fma_f64 v[119:120], v[132:133], v[134:135], v[119:120]
	s_and_not1_b32 exec_lo, exec_lo, s1
	s_cbranch_execnz .LBB122_455
; %bb.456:
	s_or_b32 exec_lo, exec_lo, s1
.LBB122_457:
	s_delay_alu instid0(SALU_CYCLE_1)
	s_or_b32 exec_lo, exec_lo, s4
	v_mov_b32_e32 v130, 0
	ds_load_b64 v[130:131], v130 offset:96
	s_waitcnt lgkmcnt(0)
	v_mul_f64 v[119:120], v[119:120], v[130:131]
	scratch_store_b64 off, v[119:120], off offset:96
.LBB122_458:
	s_or_b32 exec_lo, exec_lo, s2
	scratch_load_b64 v[119:120], off, off offset:88
	v_cmp_lt_u32_e64 s1, 11, v0
	s_waitcnt vmcnt(0)
	ds_store_b64 v122, v[119:120]
	s_waitcnt lgkmcnt(0)
	s_waitcnt_vscnt null, 0x0
	s_barrier
	buffer_gl0_inv
	s_and_saveexec_b32 s2, s1
	s_cbranch_execz .LBB122_468
; %bb.459:
	s_and_not1_b32 vcc_lo, exec_lo, s3
	s_cbranch_vccnz .LBB122_461
; %bb.460:
	scratch_load_b64 v[119:120], v123, off
	ds_load_b64 v[130:131], v122
	s_waitcnt vmcnt(0) lgkmcnt(0)
	v_mul_f64 v[119:120], v[119:120], v[130:131]
	s_cbranch_execz .LBB122_462
	s_branch .LBB122_463
.LBB122_461:
                                        ; implicit-def: $vgpr119_vgpr120
.LBB122_462:
	ds_load_b64 v[119:120], v122
.LBB122_463:
	s_and_saveexec_b32 s4, s0
	s_cbranch_execz .LBB122_467
; %bb.464:
	v_add_nc_u32_e32 v130, -12, v0
	s_movk_i32 s5, 0x240
	s_mov_b32 s0, 0
.LBB122_465:                            ; =>This Inner Loop Header: Depth=1
	scratch_load_b64 v[131:132], v129, off
	v_dual_mov_b32 v133, s5 :: v_dual_add_nc_u32 v130, -1, v130
	v_add_nc_u32_e32 v129, 8, v129
	s_add_i32 s5, s5, 8
	ds_load_b64 v[133:134], v133
	v_cmp_eq_u32_e32 vcc_lo, 0, v130
	s_or_b32 s0, vcc_lo, s0
	s_waitcnt vmcnt(0) lgkmcnt(0)
	v_fma_f64 v[119:120], v[131:132], v[133:134], v[119:120]
	s_and_not1_b32 exec_lo, exec_lo, s0
	s_cbranch_execnz .LBB122_465
; %bb.466:
	s_or_b32 exec_lo, exec_lo, s0
.LBB122_467:
	s_delay_alu instid0(SALU_CYCLE_1)
	s_or_b32 exec_lo, exec_lo, s4
	v_mov_b32_e32 v129, 0
	ds_load_b64 v[129:130], v129 offset:88
	s_waitcnt lgkmcnt(0)
	v_mul_f64 v[119:120], v[119:120], v[129:130]
	scratch_store_b64 off, v[119:120], off offset:88
.LBB122_468:
	s_or_b32 exec_lo, exec_lo, s2
	scratch_load_b64 v[119:120], off, off offset:80
	v_cmp_lt_u32_e64 s0, 10, v0
	s_waitcnt vmcnt(0)
	ds_store_b64 v122, v[119:120]
	s_waitcnt lgkmcnt(0)
	s_waitcnt_vscnt null, 0x0
	s_barrier
	buffer_gl0_inv
	s_and_saveexec_b32 s2, s0
	s_cbranch_execz .LBB122_478
; %bb.469:
	s_and_not1_b32 vcc_lo, exec_lo, s3
	s_cbranch_vccnz .LBB122_471
; %bb.470:
	scratch_load_b64 v[119:120], v123, off
	ds_load_b64 v[129:130], v122
	s_waitcnt vmcnt(0) lgkmcnt(0)
	v_mul_f64 v[119:120], v[119:120], v[129:130]
	s_cbranch_execz .LBB122_472
	s_branch .LBB122_473
.LBB122_471:
                                        ; implicit-def: $vgpr119_vgpr120
.LBB122_472:
	ds_load_b64 v[119:120], v122
.LBB122_473:
	s_and_saveexec_b32 s4, s1
	s_cbranch_execz .LBB122_477
; %bb.474:
	v_dual_mov_b32 v129, 0 :: v_dual_add_nc_u32 v130, -11, v0
	s_movk_i32 s5, 0x238
	s_mov_b32 s1, 0
	s_delay_alu instid0(VALU_DEP_1)
	v_add_nc_u32_e32 v129, 0x58, v129
.LBB122_475:                            ; =>This Inner Loop Header: Depth=1
	scratch_load_b64 v[131:132], v129, off
	v_dual_mov_b32 v133, s5 :: v_dual_add_nc_u32 v130, -1, v130
	v_add_nc_u32_e32 v129, 8, v129
	s_add_i32 s5, s5, 8
	ds_load_b64 v[133:134], v133
	v_cmp_eq_u32_e32 vcc_lo, 0, v130
	s_or_b32 s1, vcc_lo, s1
	s_waitcnt vmcnt(0) lgkmcnt(0)
	v_fma_f64 v[119:120], v[131:132], v[133:134], v[119:120]
	s_and_not1_b32 exec_lo, exec_lo, s1
	s_cbranch_execnz .LBB122_475
; %bb.476:
	s_or_b32 exec_lo, exec_lo, s1
.LBB122_477:
	s_delay_alu instid0(SALU_CYCLE_1)
	s_or_b32 exec_lo, exec_lo, s4
	v_mov_b32_e32 v129, 0
	ds_load_b64 v[129:130], v129 offset:80
	s_waitcnt lgkmcnt(0)
	v_mul_f64 v[119:120], v[119:120], v[129:130]
	scratch_store_b64 off, v[119:120], off offset:80
.LBB122_478:
	s_or_b32 exec_lo, exec_lo, s2
	scratch_load_b64 v[119:120], off, off offset:72
	v_cmp_lt_u32_e64 s1, 9, v0
	s_waitcnt vmcnt(0)
	ds_store_b64 v122, v[119:120]
	s_waitcnt lgkmcnt(0)
	s_waitcnt_vscnt null, 0x0
	s_barrier
	buffer_gl0_inv
	s_and_saveexec_b32 s2, s1
	s_cbranch_execz .LBB122_488
; %bb.479:
	s_and_not1_b32 vcc_lo, exec_lo, s3
	s_cbranch_vccnz .LBB122_481
; %bb.480:
	scratch_load_b64 v[119:120], v123, off
	ds_load_b64 v[129:130], v122
	s_waitcnt vmcnt(0) lgkmcnt(0)
	v_mul_f64 v[119:120], v[119:120], v[129:130]
	s_cbranch_execz .LBB122_482
	s_branch .LBB122_483
.LBB122_481:
                                        ; implicit-def: $vgpr119_vgpr120
.LBB122_482:
	ds_load_b64 v[119:120], v122
.LBB122_483:
	s_and_saveexec_b32 s4, s0
	s_cbranch_execz .LBB122_487
; %bb.484:
	v_add_nc_u32_e32 v129, -10, v0
	s_movk_i32 s5, 0x230
	s_mov_b32 s0, 0
.LBB122_485:                            ; =>This Inner Loop Header: Depth=1
	scratch_load_b64 v[130:131], v128, off
	v_dual_mov_b32 v132, s5 :: v_dual_add_nc_u32 v129, -1, v129
	v_add_nc_u32_e32 v128, 8, v128
	s_add_i32 s5, s5, 8
	ds_load_b64 v[132:133], v132
	v_cmp_eq_u32_e32 vcc_lo, 0, v129
	s_or_b32 s0, vcc_lo, s0
	s_waitcnt vmcnt(0) lgkmcnt(0)
	v_fma_f64 v[119:120], v[130:131], v[132:133], v[119:120]
	s_and_not1_b32 exec_lo, exec_lo, s0
	s_cbranch_execnz .LBB122_485
; %bb.486:
	s_or_b32 exec_lo, exec_lo, s0
.LBB122_487:
	s_delay_alu instid0(SALU_CYCLE_1)
	s_or_b32 exec_lo, exec_lo, s4
	v_mov_b32_e32 v128, 0
	ds_load_b64 v[128:129], v128 offset:72
	s_waitcnt lgkmcnt(0)
	v_mul_f64 v[119:120], v[119:120], v[128:129]
	scratch_store_b64 off, v[119:120], off offset:72
.LBB122_488:
	s_or_b32 exec_lo, exec_lo, s2
	scratch_load_b64 v[119:120], off, off offset:64
	v_cmp_lt_u32_e64 s0, 8, v0
	s_waitcnt vmcnt(0)
	ds_store_b64 v122, v[119:120]
	s_waitcnt lgkmcnt(0)
	s_waitcnt_vscnt null, 0x0
	s_barrier
	buffer_gl0_inv
	s_and_saveexec_b32 s2, s0
	s_cbranch_execz .LBB122_498
; %bb.489:
	s_and_not1_b32 vcc_lo, exec_lo, s3
	s_cbranch_vccnz .LBB122_491
; %bb.490:
	scratch_load_b64 v[119:120], v123, off
	ds_load_b64 v[128:129], v122
	s_waitcnt vmcnt(0) lgkmcnt(0)
	v_mul_f64 v[119:120], v[119:120], v[128:129]
	s_cbranch_execz .LBB122_492
	s_branch .LBB122_493
.LBB122_491:
                                        ; implicit-def: $vgpr119_vgpr120
.LBB122_492:
	ds_load_b64 v[119:120], v122
.LBB122_493:
	s_and_saveexec_b32 s4, s1
	s_cbranch_execz .LBB122_497
; %bb.494:
	v_dual_mov_b32 v128, 0 :: v_dual_add_nc_u32 v129, -9, v0
	s_movk_i32 s5, 0x228
	s_mov_b32 s1, 0
	s_delay_alu instid0(VALU_DEP_1)
	v_add_nc_u32_e32 v128, 0x48, v128
.LBB122_495:                            ; =>This Inner Loop Header: Depth=1
	scratch_load_b64 v[130:131], v128, off
	v_dual_mov_b32 v132, s5 :: v_dual_add_nc_u32 v129, -1, v129
	v_add_nc_u32_e32 v128, 8, v128
	s_add_i32 s5, s5, 8
	ds_load_b64 v[132:133], v132
	v_cmp_eq_u32_e32 vcc_lo, 0, v129
	s_or_b32 s1, vcc_lo, s1
	s_waitcnt vmcnt(0) lgkmcnt(0)
	v_fma_f64 v[119:120], v[130:131], v[132:133], v[119:120]
	s_and_not1_b32 exec_lo, exec_lo, s1
	s_cbranch_execnz .LBB122_495
; %bb.496:
	s_or_b32 exec_lo, exec_lo, s1
.LBB122_497:
	s_delay_alu instid0(SALU_CYCLE_1)
	s_or_b32 exec_lo, exec_lo, s4
	v_mov_b32_e32 v128, 0
	ds_load_b64 v[128:129], v128 offset:64
	s_waitcnt lgkmcnt(0)
	v_mul_f64 v[119:120], v[119:120], v[128:129]
	scratch_store_b64 off, v[119:120], off offset:64
.LBB122_498:
	s_or_b32 exec_lo, exec_lo, s2
	scratch_load_b64 v[119:120], off, off offset:56
	v_cmp_lt_u32_e64 s1, 7, v0
	s_waitcnt vmcnt(0)
	ds_store_b64 v122, v[119:120]
	s_waitcnt lgkmcnt(0)
	s_waitcnt_vscnt null, 0x0
	s_barrier
	buffer_gl0_inv
	s_and_saveexec_b32 s2, s1
	s_cbranch_execz .LBB122_508
; %bb.499:
	s_and_not1_b32 vcc_lo, exec_lo, s3
	s_cbranch_vccnz .LBB122_501
; %bb.500:
	scratch_load_b64 v[119:120], v123, off
	ds_load_b64 v[128:129], v122
	s_waitcnt vmcnt(0) lgkmcnt(0)
	v_mul_f64 v[119:120], v[119:120], v[128:129]
	s_cbranch_execz .LBB122_502
	s_branch .LBB122_503
.LBB122_501:
                                        ; implicit-def: $vgpr119_vgpr120
.LBB122_502:
	ds_load_b64 v[119:120], v122
.LBB122_503:
	s_and_saveexec_b32 s4, s0
	s_cbranch_execz .LBB122_507
; %bb.504:
	v_add_nc_u32_e32 v128, -8, v0
	s_movk_i32 s5, 0x220
	s_mov_b32 s0, 0
.LBB122_505:                            ; =>This Inner Loop Header: Depth=1
	scratch_load_b64 v[129:130], v127, off
	v_dual_mov_b32 v131, s5 :: v_dual_add_nc_u32 v128, -1, v128
	v_add_nc_u32_e32 v127, 8, v127
	s_add_i32 s5, s5, 8
	ds_load_b64 v[131:132], v131
	v_cmp_eq_u32_e32 vcc_lo, 0, v128
	s_or_b32 s0, vcc_lo, s0
	s_waitcnt vmcnt(0) lgkmcnt(0)
	v_fma_f64 v[119:120], v[129:130], v[131:132], v[119:120]
	s_and_not1_b32 exec_lo, exec_lo, s0
	s_cbranch_execnz .LBB122_505
; %bb.506:
	s_or_b32 exec_lo, exec_lo, s0
.LBB122_507:
	s_delay_alu instid0(SALU_CYCLE_1)
	s_or_b32 exec_lo, exec_lo, s4
	v_mov_b32_e32 v127, 0
	ds_load_b64 v[127:128], v127 offset:56
	s_waitcnt lgkmcnt(0)
	v_mul_f64 v[119:120], v[119:120], v[127:128]
	scratch_store_b64 off, v[119:120], off offset:56
.LBB122_508:
	s_or_b32 exec_lo, exec_lo, s2
	scratch_load_b64 v[119:120], off, off offset:48
	v_cmp_lt_u32_e64 s0, 6, v0
	s_waitcnt vmcnt(0)
	ds_store_b64 v122, v[119:120]
	s_waitcnt lgkmcnt(0)
	s_waitcnt_vscnt null, 0x0
	s_barrier
	buffer_gl0_inv
	s_and_saveexec_b32 s2, s0
	s_cbranch_execz .LBB122_518
; %bb.509:
	s_and_not1_b32 vcc_lo, exec_lo, s3
	s_cbranch_vccnz .LBB122_511
; %bb.510:
	scratch_load_b64 v[119:120], v123, off
	ds_load_b64 v[127:128], v122
	s_waitcnt vmcnt(0) lgkmcnt(0)
	v_mul_f64 v[119:120], v[119:120], v[127:128]
	s_cbranch_execz .LBB122_512
	s_branch .LBB122_513
.LBB122_511:
                                        ; implicit-def: $vgpr119_vgpr120
.LBB122_512:
	ds_load_b64 v[119:120], v122
.LBB122_513:
	s_and_saveexec_b32 s4, s1
	s_cbranch_execz .LBB122_517
; %bb.514:
	v_add_nc_u32_e64 v127, 0, 56
	v_add_nc_u32_e32 v128, -7, v0
	s_movk_i32 s5, 0x218
	s_mov_b32 s1, 0
.LBB122_515:                            ; =>This Inner Loop Header: Depth=1
	scratch_load_b64 v[129:130], v127, off
	v_dual_mov_b32 v131, s5 :: v_dual_add_nc_u32 v128, -1, v128
	v_add_nc_u32_e32 v127, 8, v127
	s_add_i32 s5, s5, 8
	ds_load_b64 v[131:132], v131
	v_cmp_eq_u32_e32 vcc_lo, 0, v128
	s_or_b32 s1, vcc_lo, s1
	s_waitcnt vmcnt(0) lgkmcnt(0)
	v_fma_f64 v[119:120], v[129:130], v[131:132], v[119:120]
	s_and_not1_b32 exec_lo, exec_lo, s1
	s_cbranch_execnz .LBB122_515
; %bb.516:
	s_or_b32 exec_lo, exec_lo, s1
.LBB122_517:
	s_delay_alu instid0(SALU_CYCLE_1)
	s_or_b32 exec_lo, exec_lo, s4
	v_mov_b32_e32 v127, 0
	ds_load_b64 v[127:128], v127 offset:48
	s_waitcnt lgkmcnt(0)
	v_mul_f64 v[119:120], v[119:120], v[127:128]
	scratch_store_b64 off, v[119:120], off offset:48
.LBB122_518:
	s_or_b32 exec_lo, exec_lo, s2
	scratch_load_b64 v[119:120], off, off offset:40
	v_cmp_lt_u32_e64 s1, 5, v0
	s_waitcnt vmcnt(0)
	ds_store_b64 v122, v[119:120]
	s_waitcnt lgkmcnt(0)
	s_waitcnt_vscnt null, 0x0
	s_barrier
	buffer_gl0_inv
	s_and_saveexec_b32 s2, s1
	s_cbranch_execz .LBB122_528
; %bb.519:
	s_and_not1_b32 vcc_lo, exec_lo, s3
	s_cbranch_vccnz .LBB122_521
; %bb.520:
	scratch_load_b64 v[119:120], v123, off
	ds_load_b64 v[127:128], v122
	s_waitcnt vmcnt(0) lgkmcnt(0)
	v_mul_f64 v[119:120], v[119:120], v[127:128]
	s_cbranch_execz .LBB122_522
	s_branch .LBB122_523
.LBB122_521:
                                        ; implicit-def: $vgpr119_vgpr120
.LBB122_522:
	ds_load_b64 v[119:120], v122
.LBB122_523:
	s_and_saveexec_b32 s4, s0
	s_cbranch_execz .LBB122_527
; %bb.524:
	v_add_nc_u32_e32 v127, -6, v0
	s_movk_i32 s5, 0x210
	s_mov_b32 s0, 0
.LBB122_525:                            ; =>This Inner Loop Header: Depth=1
	scratch_load_b64 v[128:129], v126, off
	v_dual_mov_b32 v130, s5 :: v_dual_add_nc_u32 v127, -1, v127
	v_add_nc_u32_e32 v126, 8, v126
	s_add_i32 s5, s5, 8
	ds_load_b64 v[130:131], v130
	v_cmp_eq_u32_e32 vcc_lo, 0, v127
	s_or_b32 s0, vcc_lo, s0
	s_waitcnt vmcnt(0) lgkmcnt(0)
	v_fma_f64 v[119:120], v[128:129], v[130:131], v[119:120]
	s_and_not1_b32 exec_lo, exec_lo, s0
	s_cbranch_execnz .LBB122_525
; %bb.526:
	s_or_b32 exec_lo, exec_lo, s0
.LBB122_527:
	s_delay_alu instid0(SALU_CYCLE_1)
	s_or_b32 exec_lo, exec_lo, s4
	v_mov_b32_e32 v126, 0
	ds_load_b64 v[126:127], v126 offset:40
	s_waitcnt lgkmcnt(0)
	v_mul_f64 v[119:120], v[119:120], v[126:127]
	scratch_store_b64 off, v[119:120], off offset:40
.LBB122_528:
	s_or_b32 exec_lo, exec_lo, s2
	scratch_load_b64 v[119:120], off, off offset:32
	v_cmp_lt_u32_e64 s0, 4, v0
	s_waitcnt vmcnt(0)
	ds_store_b64 v122, v[119:120]
	s_waitcnt lgkmcnt(0)
	s_waitcnt_vscnt null, 0x0
	s_barrier
	buffer_gl0_inv
	s_and_saveexec_b32 s2, s0
	s_cbranch_execz .LBB122_538
; %bb.529:
	s_and_not1_b32 vcc_lo, exec_lo, s3
	s_cbranch_vccnz .LBB122_531
; %bb.530:
	scratch_load_b64 v[119:120], v123, off
	ds_load_b64 v[126:127], v122
	s_waitcnt vmcnt(0) lgkmcnt(0)
	v_mul_f64 v[119:120], v[119:120], v[126:127]
	s_cbranch_execz .LBB122_532
	s_branch .LBB122_533
.LBB122_531:
                                        ; implicit-def: $vgpr119_vgpr120
.LBB122_532:
	ds_load_b64 v[119:120], v122
.LBB122_533:
	s_and_saveexec_b32 s4, s1
	s_cbranch_execz .LBB122_537
; %bb.534:
	v_add_nc_u32_e64 v126, 0, 40
	v_add_nc_u32_e32 v127, -5, v0
	s_movk_i32 s5, 0x208
	s_mov_b32 s1, 0
.LBB122_535:                            ; =>This Inner Loop Header: Depth=1
	scratch_load_b64 v[128:129], v126, off
	v_dual_mov_b32 v130, s5 :: v_dual_add_nc_u32 v127, -1, v127
	v_add_nc_u32_e32 v126, 8, v126
	s_add_i32 s5, s5, 8
	ds_load_b64 v[130:131], v130
	v_cmp_eq_u32_e32 vcc_lo, 0, v127
	s_or_b32 s1, vcc_lo, s1
	s_waitcnt vmcnt(0) lgkmcnt(0)
	v_fma_f64 v[119:120], v[128:129], v[130:131], v[119:120]
	s_and_not1_b32 exec_lo, exec_lo, s1
	s_cbranch_execnz .LBB122_535
; %bb.536:
	s_or_b32 exec_lo, exec_lo, s1
.LBB122_537:
	s_delay_alu instid0(SALU_CYCLE_1)
	s_or_b32 exec_lo, exec_lo, s4
	v_mov_b32_e32 v126, 0
	ds_load_b64 v[126:127], v126 offset:32
	s_waitcnt lgkmcnt(0)
	v_mul_f64 v[119:120], v[119:120], v[126:127]
	scratch_store_b64 off, v[119:120], off offset:32
.LBB122_538:
	s_or_b32 exec_lo, exec_lo, s2
	scratch_load_b64 v[119:120], off, off offset:24
	v_cmp_lt_u32_e64 s1, 3, v0
	s_waitcnt vmcnt(0)
	ds_store_b64 v122, v[119:120]
	s_waitcnt lgkmcnt(0)
	s_waitcnt_vscnt null, 0x0
	s_barrier
	buffer_gl0_inv
	s_and_saveexec_b32 s2, s1
	s_cbranch_execz .LBB122_548
; %bb.539:
	s_and_not1_b32 vcc_lo, exec_lo, s3
	s_cbranch_vccnz .LBB122_541
; %bb.540:
	scratch_load_b64 v[119:120], v123, off
	ds_load_b64 v[126:127], v122
	s_waitcnt vmcnt(0) lgkmcnt(0)
	v_mul_f64 v[119:120], v[119:120], v[126:127]
	s_cbranch_execz .LBB122_542
	s_branch .LBB122_543
.LBB122_541:
                                        ; implicit-def: $vgpr119_vgpr120
.LBB122_542:
	ds_load_b64 v[119:120], v122
.LBB122_543:
	s_and_saveexec_b32 s4, s0
	s_cbranch_execz .LBB122_547
; %bb.544:
	v_add_nc_u32_e32 v126, -4, v0
	s_movk_i32 s5, 0x200
	s_mov_b32 s0, 0
.LBB122_545:                            ; =>This Inner Loop Header: Depth=1
	scratch_load_b64 v[127:128], v125, off
	v_dual_mov_b32 v129, s5 :: v_dual_add_nc_u32 v126, -1, v126
	v_add_nc_u32_e32 v125, 8, v125
	s_add_i32 s5, s5, 8
	ds_load_b64 v[129:130], v129
	v_cmp_eq_u32_e32 vcc_lo, 0, v126
	s_or_b32 s0, vcc_lo, s0
	s_waitcnt vmcnt(0) lgkmcnt(0)
	v_fma_f64 v[119:120], v[127:128], v[129:130], v[119:120]
	s_and_not1_b32 exec_lo, exec_lo, s0
	s_cbranch_execnz .LBB122_545
; %bb.546:
	s_or_b32 exec_lo, exec_lo, s0
.LBB122_547:
	s_delay_alu instid0(SALU_CYCLE_1)
	s_or_b32 exec_lo, exec_lo, s4
	v_mov_b32_e32 v125, 0
	ds_load_b64 v[125:126], v125 offset:24
	s_waitcnt lgkmcnt(0)
	v_mul_f64 v[119:120], v[119:120], v[125:126]
	scratch_store_b64 off, v[119:120], off offset:24
.LBB122_548:
	s_or_b32 exec_lo, exec_lo, s2
	scratch_load_b64 v[119:120], off, off offset:16
	v_cmp_lt_u32_e64 s0, 2, v0
	s_waitcnt vmcnt(0)
	ds_store_b64 v122, v[119:120]
	s_waitcnt lgkmcnt(0)
	s_waitcnt_vscnt null, 0x0
	s_barrier
	buffer_gl0_inv
	s_and_saveexec_b32 s2, s0
	s_cbranch_execz .LBB122_558
; %bb.549:
	s_and_not1_b32 vcc_lo, exec_lo, s3
	s_cbranch_vccnz .LBB122_551
; %bb.550:
	scratch_load_b64 v[119:120], v123, off
	ds_load_b64 v[125:126], v122
	s_waitcnt vmcnt(0) lgkmcnt(0)
	v_mul_f64 v[119:120], v[119:120], v[125:126]
	s_cbranch_execz .LBB122_552
	s_branch .LBB122_553
.LBB122_551:
                                        ; implicit-def: $vgpr119_vgpr120
.LBB122_552:
	ds_load_b64 v[119:120], v122
.LBB122_553:
	s_and_saveexec_b32 s4, s1
	s_cbranch_execz .LBB122_557
; %bb.554:
	v_add_nc_u32_e64 v125, 0, 24
	v_add_nc_u32_e32 v126, -3, v0
	s_movk_i32 s5, 0x1f8
	s_mov_b32 s1, 0
.LBB122_555:                            ; =>This Inner Loop Header: Depth=1
	scratch_load_b64 v[127:128], v125, off
	v_dual_mov_b32 v129, s5 :: v_dual_add_nc_u32 v126, -1, v126
	v_add_nc_u32_e32 v125, 8, v125
	s_add_i32 s5, s5, 8
	ds_load_b64 v[129:130], v129
	v_cmp_eq_u32_e32 vcc_lo, 0, v126
	s_or_b32 s1, vcc_lo, s1
	s_waitcnt vmcnt(0) lgkmcnt(0)
	v_fma_f64 v[119:120], v[127:128], v[129:130], v[119:120]
	s_and_not1_b32 exec_lo, exec_lo, s1
	s_cbranch_execnz .LBB122_555
; %bb.556:
	s_or_b32 exec_lo, exec_lo, s1
.LBB122_557:
	s_delay_alu instid0(SALU_CYCLE_1)
	s_or_b32 exec_lo, exec_lo, s4
	v_mov_b32_e32 v125, 0
	ds_load_b64 v[125:126], v125 offset:16
	s_waitcnt lgkmcnt(0)
	v_mul_f64 v[119:120], v[119:120], v[125:126]
	scratch_store_b64 off, v[119:120], off offset:16
.LBB122_558:
	s_or_b32 exec_lo, exec_lo, s2
	scratch_load_b64 v[119:120], off, off offset:8
	v_cmp_lt_u32_e64 s1, 1, v0
	s_waitcnt vmcnt(0)
	ds_store_b64 v122, v[119:120]
	s_waitcnt lgkmcnt(0)
	s_waitcnt_vscnt null, 0x0
	s_barrier
	buffer_gl0_inv
	s_and_saveexec_b32 s2, s1
	s_cbranch_execz .LBB122_568
; %bb.559:
	s_and_not1_b32 vcc_lo, exec_lo, s3
	s_cbranch_vccnz .LBB122_561
; %bb.560:
	scratch_load_b64 v[119:120], v123, off
	ds_load_b64 v[125:126], v122
	s_waitcnt vmcnt(0) lgkmcnt(0)
	v_mul_f64 v[119:120], v[119:120], v[125:126]
	s_cbranch_execz .LBB122_562
	s_branch .LBB122_563
.LBB122_561:
                                        ; implicit-def: $vgpr119_vgpr120
.LBB122_562:
	ds_load_b64 v[119:120], v122
.LBB122_563:
	s_and_saveexec_b32 s4, s0
	s_cbranch_execz .LBB122_567
; %bb.564:
	v_add_nc_u32_e32 v125, -2, v0
	s_movk_i32 s5, 0x1f0
	s_mov_b32 s0, 0
.LBB122_565:                            ; =>This Inner Loop Header: Depth=1
	scratch_load_b64 v[126:127], v124, off
	v_dual_mov_b32 v128, s5 :: v_dual_add_nc_u32 v125, -1, v125
	v_add_nc_u32_e32 v124, 8, v124
	s_add_i32 s5, s5, 8
	ds_load_b64 v[128:129], v128
	v_cmp_eq_u32_e32 vcc_lo, 0, v125
	s_or_b32 s0, vcc_lo, s0
	s_waitcnt vmcnt(0) lgkmcnt(0)
	v_fma_f64 v[119:120], v[126:127], v[128:129], v[119:120]
	s_and_not1_b32 exec_lo, exec_lo, s0
	s_cbranch_execnz .LBB122_565
; %bb.566:
	s_or_b32 exec_lo, exec_lo, s0
.LBB122_567:
	s_delay_alu instid0(SALU_CYCLE_1)
	s_or_b32 exec_lo, exec_lo, s4
	v_mov_b32_e32 v124, 0
	ds_load_b64 v[124:125], v124 offset:8
	s_waitcnt lgkmcnt(0)
	v_mul_f64 v[119:120], v[119:120], v[124:125]
	scratch_store_b64 off, v[119:120], off offset:8
.LBB122_568:
	s_or_b32 exec_lo, exec_lo, s2
	scratch_load_b64 v[119:120], off, off
	s_mov_b32 s0, 0
	s_mov_b32 s2, exec_lo
	s_waitcnt vmcnt(0)
	ds_store_b64 v122, v[119:120]
	s_waitcnt lgkmcnt(0)
	s_waitcnt_vscnt null, 0x0
	s_barrier
	buffer_gl0_inv
	v_cmpx_ne_u32_e32 0, v0
	s_cbranch_execz .LBB122_578
; %bb.569:
	s_and_not1_b32 vcc_lo, exec_lo, s3
	s_cbranch_vccnz .LBB122_571
; %bb.570:
	scratch_load_b64 v[119:120], v123, off
	ds_load_b64 v[124:125], v122
	s_waitcnt vmcnt(0) lgkmcnt(0)
	v_mul_f64 v[119:120], v[119:120], v[124:125]
	s_cbranch_execz .LBB122_572
	s_branch .LBB122_573
.LBB122_571:
                                        ; implicit-def: $vgpr119_vgpr120
.LBB122_572:
	ds_load_b64 v[119:120], v122
.LBB122_573:
	s_and_saveexec_b32 s4, s1
	s_cbranch_execz .LBB122_577
; %bb.574:
	v_or_b32_e64 v124, 0, 8
	v_add_nc_u32_e32 v125, -1, v0
	s_movk_i32 s5, 0x1e8
	s_mov_b32 s1, 0
.LBB122_575:                            ; =>This Inner Loop Header: Depth=1
	scratch_load_b64 v[126:127], v124, off
	v_dual_mov_b32 v128, s5 :: v_dual_add_nc_u32 v125, -1, v125
	v_add_nc_u32_e32 v124, 8, v124
	s_add_i32 s5, s5, 8
	ds_load_b64 v[128:129], v128
	v_cmp_eq_u32_e32 vcc_lo, 0, v125
	s_or_b32 s1, vcc_lo, s1
	s_waitcnt vmcnt(0) lgkmcnt(0)
	v_fma_f64 v[119:120], v[126:127], v[128:129], v[119:120]
	s_and_not1_b32 exec_lo, exec_lo, s1
	s_cbranch_execnz .LBB122_575
; %bb.576:
	s_or_b32 exec_lo, exec_lo, s1
.LBB122_577:
	s_delay_alu instid0(SALU_CYCLE_1)
	s_or_b32 exec_lo, exec_lo, s4
	v_mov_b32_e32 v124, 0
	ds_load_b64 v[124:125], v124
	s_waitcnt lgkmcnt(0)
	v_mul_f64 v[119:120], v[119:120], v[124:125]
	scratch_store_b64 off, v[119:120], off
.LBB122_578:
	s_or_b32 exec_lo, exec_lo, s2
.LBB122_579:
	s_delay_alu instid0(SALU_CYCLE_1)
	s_and_b32 vcc_lo, exec_lo, s0
	s_cbranch_vccz .LBB122_1155
; %bb.580:
	scratch_load_b64 v[119:120], off, off offset:8
	v_cmp_eq_u32_e64 s0, 0, v0
	s_waitcnt vmcnt(0)
	ds_store_b64 v122, v[119:120]
	s_waitcnt lgkmcnt(0)
	s_waitcnt_vscnt null, 0x0
	s_barrier
	buffer_gl0_inv
	s_and_saveexec_b32 s1, s0
	s_cbranch_execz .LBB122_586
; %bb.581:
	s_and_b32 vcc_lo, exec_lo, s3
	s_cbranch_vccz .LBB122_583
; %bb.582:
	scratch_load_b64 v[119:120], v123, off
	ds_load_b64 v[124:125], v122
	s_waitcnt vmcnt(0) lgkmcnt(0)
	v_mul_f64 v[119:120], v[119:120], v[124:125]
	s_cbranch_execz .LBB122_584
	s_branch .LBB122_585
.LBB122_583:
                                        ; implicit-def: $vgpr119_vgpr120
.LBB122_584:
	ds_load_b64 v[119:120], v122
.LBB122_585:
	v_mov_b32_e32 v124, 0
	ds_load_b64 v[124:125], v124 offset:8
	s_waitcnt lgkmcnt(0)
	v_mul_f64 v[119:120], v[119:120], v[124:125]
	scratch_store_b64 off, v[119:120], off offset:8
.LBB122_586:
	s_or_b32 exec_lo, exec_lo, s1
	scratch_load_b64 v[119:120], off, off offset:16
	v_cndmask_b32_e64 v124, 0, 1, s3
	s_mov_b32 s1, exec_lo
	s_waitcnt vmcnt(0)
	ds_store_b64 v122, v[119:120]
	s_waitcnt lgkmcnt(0)
	s_waitcnt_vscnt null, 0x0
	s_barrier
	buffer_gl0_inv
	v_cmpx_gt_u32_e32 2, v0
	s_cbranch_execz .LBB122_594
; %bb.587:
	s_and_not1_b32 vcc_lo, exec_lo, s3
	s_cbranch_vccnz .LBB122_589
; %bb.588:
	scratch_load_b64 v[119:120], v123, off
	ds_load_b64 v[125:126], v122
	s_waitcnt vmcnt(0) lgkmcnt(0)
	v_mul_f64 v[119:120], v[119:120], v[125:126]
	s_cbranch_execz .LBB122_590
	s_branch .LBB122_591
.LBB122_589:
                                        ; implicit-def: $vgpr119_vgpr120
.LBB122_590:
	ds_load_b64 v[119:120], v122
.LBB122_591:
	s_and_saveexec_b32 s2, s0
	s_cbranch_execz .LBB122_593
; %bb.592:
	scratch_load_b64 v[125:126], v123, off offset:8
	ds_load_b64 v[127:128], v122 offset:8
	s_waitcnt vmcnt(0) lgkmcnt(0)
	v_fma_f64 v[119:120], v[125:126], v[127:128], v[119:120]
.LBB122_593:
	s_or_b32 exec_lo, exec_lo, s2
	v_mov_b32_e32 v125, 0
	ds_load_b64 v[125:126], v125 offset:16
	s_waitcnt lgkmcnt(0)
	v_mul_f64 v[119:120], v[119:120], v[125:126]
	scratch_store_b64 off, v[119:120], off offset:16
.LBB122_594:
	s_or_b32 exec_lo, exec_lo, s1
	scratch_load_b64 v[119:120], off, off offset:24
	s_mov_b32 s1, exec_lo
	s_waitcnt vmcnt(0)
	ds_store_b64 v122, v[119:120]
	s_waitcnt lgkmcnt(0)
	s_waitcnt_vscnt null, 0x0
	s_barrier
	buffer_gl0_inv
	v_cmpx_gt_u32_e32 3, v0
	s_cbranch_execz .LBB122_604
; %bb.595:
	v_cmp_ne_u32_e32 vcc_lo, 1, v124
	s_cbranch_vccnz .LBB122_597
; %bb.596:
	scratch_load_b64 v[119:120], v123, off
	ds_load_b64 v[125:126], v122
	s_waitcnt vmcnt(0) lgkmcnt(0)
	v_mul_f64 v[119:120], v[119:120], v[125:126]
	s_cbranch_execz .LBB122_598
	s_branch .LBB122_599
.LBB122_597:
                                        ; implicit-def: $vgpr119_vgpr120
.LBB122_598:
	ds_load_b64 v[119:120], v122
.LBB122_599:
	s_mov_b32 s2, exec_lo
	v_cmpx_ne_u32_e32 2, v0
	s_cbranch_execz .LBB122_603
; %bb.600:
	scratch_load_b64 v[125:126], v123, off offset:8
	ds_load_b64 v[127:128], v122 offset:8
	s_waitcnt vmcnt(0) lgkmcnt(0)
	v_fma_f64 v[119:120], v[125:126], v[127:128], v[119:120]
	s_and_saveexec_b32 s3, s0
	s_cbranch_execz .LBB122_602
; %bb.601:
	scratch_load_b64 v[125:126], off, off offset:16
	v_mov_b32_e32 v127, 0
	ds_load_b64 v[127:128], v127 offset:496
	s_waitcnt vmcnt(0) lgkmcnt(0)
	v_fma_f64 v[119:120], v[125:126], v[127:128], v[119:120]
.LBB122_602:
	s_or_b32 exec_lo, exec_lo, s3
.LBB122_603:
	s_delay_alu instid0(SALU_CYCLE_1)
	s_or_b32 exec_lo, exec_lo, s2
	v_mov_b32_e32 v125, 0
	ds_load_b64 v[125:126], v125 offset:24
	s_waitcnt lgkmcnt(0)
	v_mul_f64 v[119:120], v[119:120], v[125:126]
	scratch_store_b64 off, v[119:120], off offset:24
.LBB122_604:
	s_or_b32 exec_lo, exec_lo, s1
	scratch_load_b64 v[119:120], off, off offset:32
	s_mov_b32 s0, exec_lo
	s_waitcnt vmcnt(0)
	ds_store_b64 v122, v[119:120]
	s_waitcnt lgkmcnt(0)
	s_waitcnt_vscnt null, 0x0
	s_barrier
	buffer_gl0_inv
	v_cmpx_gt_u32_e32 4, v0
	s_cbranch_execz .LBB122_614
; %bb.605:
	v_cmp_ne_u32_e32 vcc_lo, 1, v124
	s_cbranch_vccnz .LBB122_607
; %bb.606:
	scratch_load_b64 v[119:120], v123, off
	ds_load_b64 v[125:126], v122
	s_waitcnt vmcnt(0) lgkmcnt(0)
	v_mul_f64 v[119:120], v[119:120], v[125:126]
	s_cbranch_execz .LBB122_608
	s_branch .LBB122_609
.LBB122_607:
                                        ; implicit-def: $vgpr119_vgpr120
.LBB122_608:
	ds_load_b64 v[119:120], v122
.LBB122_609:
	s_mov_b32 s1, exec_lo
	v_cmpx_ne_u32_e32 3, v0
	s_cbranch_execz .LBB122_613
; %bb.610:
	v_add_nc_u32_e32 v125, 0x1e8, v121
	v_add3_u32 v126, 0, v121, 8
	v_mov_b32_e32 v127, v0
	s_mov_b32 s2, 0
.LBB122_611:                            ; =>This Inner Loop Header: Depth=1
	scratch_load_b64 v[128:129], v126, off
	ds_load_b64 v[130:131], v125
	v_add_nc_u32_e32 v127, 1, v127
	v_add_nc_u32_e32 v125, 8, v125
	v_add_nc_u32_e32 v126, 8, v126
	s_delay_alu instid0(VALU_DEP_3)
	v_cmp_lt_u32_e32 vcc_lo, 2, v127
	s_or_b32 s2, vcc_lo, s2
	s_waitcnt vmcnt(0) lgkmcnt(0)
	v_fma_f64 v[119:120], v[128:129], v[130:131], v[119:120]
	s_and_not1_b32 exec_lo, exec_lo, s2
	s_cbranch_execnz .LBB122_611
; %bb.612:
	s_or_b32 exec_lo, exec_lo, s2
.LBB122_613:
	s_delay_alu instid0(SALU_CYCLE_1)
	s_or_b32 exec_lo, exec_lo, s1
	v_mov_b32_e32 v125, 0
	ds_load_b64 v[125:126], v125 offset:32
	s_waitcnt lgkmcnt(0)
	v_mul_f64 v[119:120], v[119:120], v[125:126]
	scratch_store_b64 off, v[119:120], off offset:32
.LBB122_614:
	s_or_b32 exec_lo, exec_lo, s0
	scratch_load_b64 v[119:120], off, off offset:40
	s_mov_b32 s0, exec_lo
	s_waitcnt vmcnt(0)
	ds_store_b64 v122, v[119:120]
	s_waitcnt lgkmcnt(0)
	s_waitcnt_vscnt null, 0x0
	s_barrier
	buffer_gl0_inv
	v_cmpx_gt_u32_e32 5, v0
	s_cbranch_execz .LBB122_624
; %bb.615:
	v_cmp_ne_u32_e32 vcc_lo, 1, v124
	s_cbranch_vccnz .LBB122_617
; %bb.616:
	scratch_load_b64 v[119:120], v123, off
	ds_load_b64 v[125:126], v122
	s_waitcnt vmcnt(0) lgkmcnt(0)
	v_mul_f64 v[119:120], v[119:120], v[125:126]
	s_cbranch_execz .LBB122_618
	s_branch .LBB122_619
.LBB122_617:
                                        ; implicit-def: $vgpr119_vgpr120
.LBB122_618:
	ds_load_b64 v[119:120], v122
.LBB122_619:
	s_mov_b32 s1, exec_lo
	v_cmpx_ne_u32_e32 4, v0
	s_cbranch_execz .LBB122_623
; %bb.620:
	v_add_nc_u32_e32 v125, 0x1e8, v121
	v_add3_u32 v126, 0, v121, 8
	v_mov_b32_e32 v127, v0
	s_mov_b32 s2, 0
.LBB122_621:                            ; =>This Inner Loop Header: Depth=1
	scratch_load_b64 v[128:129], v126, off
	ds_load_b64 v[130:131], v125
	v_add_nc_u32_e32 v127, 1, v127
	v_add_nc_u32_e32 v125, 8, v125
	v_add_nc_u32_e32 v126, 8, v126
	s_delay_alu instid0(VALU_DEP_3)
	v_cmp_lt_u32_e32 vcc_lo, 3, v127
	s_or_b32 s2, vcc_lo, s2
	s_waitcnt vmcnt(0) lgkmcnt(0)
	v_fma_f64 v[119:120], v[128:129], v[130:131], v[119:120]
	s_and_not1_b32 exec_lo, exec_lo, s2
	s_cbranch_execnz .LBB122_621
; %bb.622:
	s_or_b32 exec_lo, exec_lo, s2
.LBB122_623:
	s_delay_alu instid0(SALU_CYCLE_1)
	s_or_b32 exec_lo, exec_lo, s1
	v_mov_b32_e32 v125, 0
	ds_load_b64 v[125:126], v125 offset:40
	s_waitcnt lgkmcnt(0)
	v_mul_f64 v[119:120], v[119:120], v[125:126]
	scratch_store_b64 off, v[119:120], off offset:40
.LBB122_624:
	;; [unrolled: 58-line block ×39, first 2 shown]
	s_or_b32 exec_lo, exec_lo, s0
	scratch_load_b64 v[119:120], off, off offset:344
	s_mov_b32 s0, exec_lo
	s_waitcnt vmcnt(0)
	ds_store_b64 v122, v[119:120]
	s_waitcnt lgkmcnt(0)
	s_waitcnt_vscnt null, 0x0
	s_barrier
	buffer_gl0_inv
	v_cmpx_gt_u32_e32 43, v0
	s_cbranch_execz .LBB122_1004
; %bb.995:
	v_cmp_ne_u32_e32 vcc_lo, 1, v124
	s_cbranch_vccnz .LBB122_997
; %bb.996:
	scratch_load_b64 v[119:120], v123, off
	ds_load_b64 v[125:126], v122
	s_waitcnt vmcnt(0) lgkmcnt(0)
	v_mul_f64 v[119:120], v[119:120], v[125:126]
	s_cbranch_execz .LBB122_998
	s_branch .LBB122_999
.LBB122_997:
                                        ; implicit-def: $vgpr119_vgpr120
.LBB122_998:
	ds_load_b64 v[119:120], v122
.LBB122_999:
	s_mov_b32 s1, exec_lo
	v_cmpx_ne_u32_e32 42, v0
	s_cbranch_execz .LBB122_1003
; %bb.1000:
	v_add_nc_u32_e32 v125, 0x1e8, v121
	v_add3_u32 v126, 0, v121, 8
	v_mov_b32_e32 v127, v0
	s_mov_b32 s2, 0
.LBB122_1001:                           ; =>This Inner Loop Header: Depth=1
	scratch_load_b64 v[128:129], v126, off
	ds_load_b64 v[130:131], v125
	v_add_nc_u32_e32 v127, 1, v127
	v_add_nc_u32_e32 v125, 8, v125
	v_add_nc_u32_e32 v126, 8, v126
	s_delay_alu instid0(VALU_DEP_3)
	v_cmp_lt_u32_e32 vcc_lo, 41, v127
	s_or_b32 s2, vcc_lo, s2
	s_waitcnt vmcnt(0) lgkmcnt(0)
	v_fma_f64 v[119:120], v[128:129], v[130:131], v[119:120]
	s_and_not1_b32 exec_lo, exec_lo, s2
	s_cbranch_execnz .LBB122_1001
; %bb.1002:
	s_or_b32 exec_lo, exec_lo, s2
.LBB122_1003:
	s_delay_alu instid0(SALU_CYCLE_1)
	s_or_b32 exec_lo, exec_lo, s1
	v_mov_b32_e32 v125, 0
	ds_load_b64 v[125:126], v125 offset:344
	s_waitcnt lgkmcnt(0)
	v_mul_f64 v[119:120], v[119:120], v[125:126]
	scratch_store_b64 off, v[119:120], off offset:344
.LBB122_1004:
	s_or_b32 exec_lo, exec_lo, s0
	scratch_load_b64 v[119:120], off, off offset:352
	s_mov_b32 s0, exec_lo
	s_waitcnt vmcnt(0)
	ds_store_b64 v122, v[119:120]
	s_waitcnt lgkmcnt(0)
	s_waitcnt_vscnt null, 0x0
	s_barrier
	buffer_gl0_inv
	v_cmpx_gt_u32_e32 44, v0
	s_cbranch_execz .LBB122_1014
; %bb.1005:
	v_cmp_ne_u32_e32 vcc_lo, 1, v124
	s_cbranch_vccnz .LBB122_1007
; %bb.1006:
	scratch_load_b64 v[119:120], v123, off
	ds_load_b64 v[125:126], v122
	s_waitcnt vmcnt(0) lgkmcnt(0)
	v_mul_f64 v[119:120], v[119:120], v[125:126]
	s_cbranch_execz .LBB122_1008
	s_branch .LBB122_1009
.LBB122_1007:
                                        ; implicit-def: $vgpr119_vgpr120
.LBB122_1008:
	ds_load_b64 v[119:120], v122
.LBB122_1009:
	s_mov_b32 s1, exec_lo
	v_cmpx_ne_u32_e32 43, v0
	s_cbranch_execz .LBB122_1013
; %bb.1010:
	v_add_nc_u32_e32 v125, 0x1e8, v121
	v_add3_u32 v126, 0, v121, 8
	v_mov_b32_e32 v127, v0
	s_mov_b32 s2, 0
.LBB122_1011:                           ; =>This Inner Loop Header: Depth=1
	scratch_load_b64 v[128:129], v126, off
	ds_load_b64 v[130:131], v125
	v_add_nc_u32_e32 v127, 1, v127
	v_add_nc_u32_e32 v125, 8, v125
	v_add_nc_u32_e32 v126, 8, v126
	s_delay_alu instid0(VALU_DEP_3)
	v_cmp_lt_u32_e32 vcc_lo, 42, v127
	s_or_b32 s2, vcc_lo, s2
	s_waitcnt vmcnt(0) lgkmcnt(0)
	v_fma_f64 v[119:120], v[128:129], v[130:131], v[119:120]
	s_and_not1_b32 exec_lo, exec_lo, s2
	s_cbranch_execnz .LBB122_1011
; %bb.1012:
	s_or_b32 exec_lo, exec_lo, s2
.LBB122_1013:
	s_delay_alu instid0(SALU_CYCLE_1)
	s_or_b32 exec_lo, exec_lo, s1
	v_mov_b32_e32 v125, 0
	ds_load_b64 v[125:126], v125 offset:352
	s_waitcnt lgkmcnt(0)
	v_mul_f64 v[119:120], v[119:120], v[125:126]
	scratch_store_b64 off, v[119:120], off offset:352
.LBB122_1014:
	;; [unrolled: 58-line block ×14, first 2 shown]
	s_or_b32 exec_lo, exec_lo, s0
	scratch_load_b64 v[119:120], off, off offset:456
	v_cmp_gt_u32_e64 s0, 57, v0
	s_waitcnt vmcnt(0)
	ds_store_b64 v122, v[119:120]
	s_waitcnt lgkmcnt(0)
	s_waitcnt_vscnt null, 0x0
	s_barrier
	buffer_gl0_inv
	s_and_saveexec_b32 s1, s0
	s_cbranch_execz .LBB122_1144
; %bb.1135:
	v_cmp_ne_u32_e32 vcc_lo, 1, v124
	s_cbranch_vccnz .LBB122_1137
; %bb.1136:
	scratch_load_b64 v[119:120], v123, off
	ds_load_b64 v[125:126], v122
	s_waitcnt vmcnt(0) lgkmcnt(0)
	v_mul_f64 v[119:120], v[119:120], v[125:126]
	s_cbranch_execz .LBB122_1138
	s_branch .LBB122_1139
.LBB122_1137:
                                        ; implicit-def: $vgpr119_vgpr120
.LBB122_1138:
	ds_load_b64 v[119:120], v122
.LBB122_1139:
	s_mov_b32 s2, exec_lo
	v_cmpx_ne_u32_e32 56, v0
	s_cbranch_execz .LBB122_1143
; %bb.1140:
	v_add_nc_u32_e32 v125, 0x1e8, v121
	v_add3_u32 v126, 0, v121, 8
	v_mov_b32_e32 v127, v0
	s_mov_b32 s3, 0
.LBB122_1141:                           ; =>This Inner Loop Header: Depth=1
	scratch_load_b64 v[128:129], v126, off
	ds_load_b64 v[130:131], v125
	v_add_nc_u32_e32 v127, 1, v127
	v_add_nc_u32_e32 v125, 8, v125
	;; [unrolled: 1-line block ×3, first 2 shown]
	s_delay_alu instid0(VALU_DEP_3)
	v_cmp_lt_u32_e32 vcc_lo, 55, v127
	s_or_b32 s3, vcc_lo, s3
	s_waitcnt vmcnt(0) lgkmcnt(0)
	v_fma_f64 v[119:120], v[128:129], v[130:131], v[119:120]
	s_and_not1_b32 exec_lo, exec_lo, s3
	s_cbranch_execnz .LBB122_1141
; %bb.1142:
	s_or_b32 exec_lo, exec_lo, s3
.LBB122_1143:
	s_delay_alu instid0(SALU_CYCLE_1)
	s_or_b32 exec_lo, exec_lo, s2
	v_mov_b32_e32 v125, 0
	ds_load_b64 v[125:126], v125 offset:456
	s_waitcnt lgkmcnt(0)
	v_mul_f64 v[119:120], v[119:120], v[125:126]
	scratch_store_b64 off, v[119:120], off offset:456
.LBB122_1144:
	s_or_b32 exec_lo, exec_lo, s1
	scratch_load_b64 v[119:120], off, off offset:464
	s_mov_b32 s1, exec_lo
	s_waitcnt vmcnt(0)
	ds_store_b64 v122, v[119:120]
	s_waitcnt lgkmcnt(0)
	s_waitcnt_vscnt null, 0x0
	s_barrier
	buffer_gl0_inv
	v_cmpx_ne_u32_e32 58, v0
	s_cbranch_execz .LBB122_1154
; %bb.1145:
	v_cmp_ne_u32_e32 vcc_lo, 1, v124
	s_cbranch_vccnz .LBB122_1147
; %bb.1146:
	scratch_load_b64 v[119:120], v123, off
	ds_load_b64 v[123:124], v122
	s_waitcnt vmcnt(0) lgkmcnt(0)
	v_mul_f64 v[119:120], v[119:120], v[123:124]
	s_cbranch_execz .LBB122_1148
	s_branch .LBB122_1149
.LBB122_1147:
                                        ; implicit-def: $vgpr119_vgpr120
.LBB122_1148:
	ds_load_b64 v[119:120], v122
.LBB122_1149:
	s_and_saveexec_b32 s2, s0
	s_cbranch_execz .LBB122_1153
; %bb.1150:
	v_add_nc_u32_e32 v122, 0x1e8, v121
	v_add3_u32 v121, 0, v121, 8
	s_mov_b32 s0, 0
.LBB122_1151:                           ; =>This Inner Loop Header: Depth=1
	scratch_load_b64 v[123:124], v121, off
	ds_load_b64 v[125:126], v122
	v_add_nc_u32_e32 v0, 1, v0
	v_add_nc_u32_e32 v122, 8, v122
	;; [unrolled: 1-line block ×3, first 2 shown]
	s_delay_alu instid0(VALU_DEP_3)
	v_cmp_lt_u32_e32 vcc_lo, 56, v0
	s_or_b32 s0, vcc_lo, s0
	s_waitcnt vmcnt(0) lgkmcnt(0)
	v_fma_f64 v[119:120], v[123:124], v[125:126], v[119:120]
	s_and_not1_b32 exec_lo, exec_lo, s0
	s_cbranch_execnz .LBB122_1151
; %bb.1152:
	s_or_b32 exec_lo, exec_lo, s0
.LBB122_1153:
	s_delay_alu instid0(SALU_CYCLE_1)
	s_or_b32 exec_lo, exec_lo, s2
	v_mov_b32_e32 v0, 0
	ds_load_b64 v[121:122], v0 offset:464
	s_waitcnt lgkmcnt(0)
	v_mul_f64 v[119:120], v[119:120], v[121:122]
	scratch_store_b64 off, v[119:120], off offset:464
.LBB122_1154:
	s_or_b32 exec_lo, exec_lo, s1
.LBB122_1155:
	s_clause 0xd
	scratch_load_b128 v[119:122], off, off
	scratch_load_b128 v[123:126], off, off offset:16
	scratch_load_b128 v[127:130], off, off offset:32
	;; [unrolled: 1-line block ×13, first 2 shown]
	s_waitcnt vmcnt(13)
	s_clause 0x1
	global_store_b64 v[45:46], v[119:120], off
	global_store_b64 v[43:44], v[121:122], off
	s_waitcnt vmcnt(12)
	s_clause 0x1
	global_store_b64 v[39:40], v[123:124], off
	global_store_b64 v[35:36], v[125:126], off
	;; [unrolled: 4-line block ×4, first 2 shown]
	scratch_load_b128 v[23:26], off, off offset:288
	s_waitcnt vmcnt(10)
	s_clause 0x1
	global_store_b64 v[21:22], v[135:136], off
	global_store_b64 v[15:16], v[137:138], off
	s_waitcnt vmcnt(9)
	s_clause 0x1
	global_store_b64 v[19:20], v[139:140], off
	global_store_b64 v[17:18], v[141:142], off
	;; [unrolled: 4-line block ×5, first 2 shown]
	s_clause 0xe
	scratch_load_b128 v[43:46], off, off offset:192
	scratch_load_b128 v[119:122], off, off offset:208
	;; [unrolled: 1-line block ×14, first 2 shown]
	scratch_load_b64 v[27:28], off, off offset:464
	s_waitcnt vmcnt(20)
	s_clause 0x1
	global_store_b64 v[29:30], v[155:156], off
	global_store_b64 v[33:34], v[157:158], off
	s_waitcnt vmcnt(19)
	s_clause 0x1
	global_store_b64 v[37:38], v[159:160], off
	global_store_b64 v[41:42], v[161:162], off
	s_waitcnt vmcnt(18)
	s_clause 0x1
	global_store_b64 v[47:48], v[163:164], off
	global_store_b64 v[49:50], v[165:166], off
	s_waitcnt vmcnt(14)
	s_clause 0x1
	global_store_b64 v[51:52], v[43:44], off
	global_store_b64 v[53:54], v[45:46], off
	s_waitcnt vmcnt(13)
	s_clause 0x1
	global_store_b64 v[55:56], v[119:120], off
	global_store_b64 v[57:58], v[121:122], off
	s_waitcnt vmcnt(12)
	s_clause 0x3
	global_store_b64 v[59:60], v[123:124], off
	global_store_b64 v[61:62], v[125:126], off
	global_store_b64 v[63:64], v[167:168], off
	global_store_b64 v[65:66], v[169:170], off
	s_waitcnt vmcnt(11)
	s_clause 0x5
	global_store_b64 v[67:68], v[127:128], off
	global_store_b64 v[69:70], v[129:130], off
	;; [unrolled: 1-line block ×6, first 2 shown]
	s_waitcnt vmcnt(10)
	s_clause 0x1
	global_store_b64 v[79:80], v[131:132], off
	global_store_b64 v[81:82], v[133:134], off
	s_waitcnt vmcnt(9)
	s_clause 0x1
	global_store_b64 v[83:84], v[135:136], off
	global_store_b64 v[85:86], v[137:138], off
	;; [unrolled: 4-line block ×10, first 2 shown]
	s_waitcnt vmcnt(0)
	global_store_b64 v[9:10], v[27:28], off
.LBB122_1156:
	s_endpgm
	.section	.rodata,"a",@progbits
	.p2align	6, 0x0
	.amdhsa_kernel _ZN9rocsolver6v33100L18trti2_kernel_smallILi59EdPKPdEEv13rocblas_fill_17rocblas_diagonal_T1_iil
		.amdhsa_group_segment_fixed_size 952
		.amdhsa_private_segment_fixed_size 480
		.amdhsa_kernarg_size 32
		.amdhsa_user_sgpr_count 15
		.amdhsa_user_sgpr_dispatch_ptr 0
		.amdhsa_user_sgpr_queue_ptr 0
		.amdhsa_user_sgpr_kernarg_segment_ptr 1
		.amdhsa_user_sgpr_dispatch_id 0
		.amdhsa_user_sgpr_private_segment_size 0
		.amdhsa_wavefront_size32 1
		.amdhsa_uses_dynamic_stack 0
		.amdhsa_enable_private_segment 1
		.amdhsa_system_sgpr_workgroup_id_x 1
		.amdhsa_system_sgpr_workgroup_id_y 0
		.amdhsa_system_sgpr_workgroup_id_z 0
		.amdhsa_system_sgpr_workgroup_info 0
		.amdhsa_system_vgpr_workitem_id 0
		.amdhsa_next_free_vgpr 175
		.amdhsa_next_free_sgpr 27
		.amdhsa_reserve_vcc 1
		.amdhsa_float_round_mode_32 0
		.amdhsa_float_round_mode_16_64 0
		.amdhsa_float_denorm_mode_32 3
		.amdhsa_float_denorm_mode_16_64 3
		.amdhsa_dx10_clamp 1
		.amdhsa_ieee_mode 1
		.amdhsa_fp16_overflow 0
		.amdhsa_workgroup_processor_mode 1
		.amdhsa_memory_ordered 1
		.amdhsa_forward_progress 0
		.amdhsa_shared_vgpr_count 0
		.amdhsa_exception_fp_ieee_invalid_op 0
		.amdhsa_exception_fp_denorm_src 0
		.amdhsa_exception_fp_ieee_div_zero 0
		.amdhsa_exception_fp_ieee_overflow 0
		.amdhsa_exception_fp_ieee_underflow 0
		.amdhsa_exception_fp_ieee_inexact 0
		.amdhsa_exception_int_div_zero 0
	.end_amdhsa_kernel
	.section	.text._ZN9rocsolver6v33100L18trti2_kernel_smallILi59EdPKPdEEv13rocblas_fill_17rocblas_diagonal_T1_iil,"axG",@progbits,_ZN9rocsolver6v33100L18trti2_kernel_smallILi59EdPKPdEEv13rocblas_fill_17rocblas_diagonal_T1_iil,comdat
.Lfunc_end122:
	.size	_ZN9rocsolver6v33100L18trti2_kernel_smallILi59EdPKPdEEv13rocblas_fill_17rocblas_diagonal_T1_iil, .Lfunc_end122-_ZN9rocsolver6v33100L18trti2_kernel_smallILi59EdPKPdEEv13rocblas_fill_17rocblas_diagonal_T1_iil
                                        ; -- End function
	.section	.AMDGPU.csdata,"",@progbits
; Kernel info:
; codeLenInByte = 32372
; NumSgprs: 29
; NumVgprs: 175
; ScratchSize: 480
; MemoryBound: 0
; FloatMode: 240
; IeeeMode: 1
; LDSByteSize: 952 bytes/workgroup (compile time only)
; SGPRBlocks: 3
; VGPRBlocks: 21
; NumSGPRsForWavesPerEU: 29
; NumVGPRsForWavesPerEU: 175
; Occupancy: 8
; WaveLimiterHint : 1
; COMPUTE_PGM_RSRC2:SCRATCH_EN: 1
; COMPUTE_PGM_RSRC2:USER_SGPR: 15
; COMPUTE_PGM_RSRC2:TRAP_HANDLER: 0
; COMPUTE_PGM_RSRC2:TGID_X_EN: 1
; COMPUTE_PGM_RSRC2:TGID_Y_EN: 0
; COMPUTE_PGM_RSRC2:TGID_Z_EN: 0
; COMPUTE_PGM_RSRC2:TIDIG_COMP_CNT: 0
	.section	.text._ZN9rocsolver6v33100L18trti2_kernel_smallILi60EdPKPdEEv13rocblas_fill_17rocblas_diagonal_T1_iil,"axG",@progbits,_ZN9rocsolver6v33100L18trti2_kernel_smallILi60EdPKPdEEv13rocblas_fill_17rocblas_diagonal_T1_iil,comdat
	.globl	_ZN9rocsolver6v33100L18trti2_kernel_smallILi60EdPKPdEEv13rocblas_fill_17rocblas_diagonal_T1_iil ; -- Begin function _ZN9rocsolver6v33100L18trti2_kernel_smallILi60EdPKPdEEv13rocblas_fill_17rocblas_diagonal_T1_iil
	.p2align	8
	.type	_ZN9rocsolver6v33100L18trti2_kernel_smallILi60EdPKPdEEv13rocblas_fill_17rocblas_diagonal_T1_iil,@function
_ZN9rocsolver6v33100L18trti2_kernel_smallILi60EdPKPdEEv13rocblas_fill_17rocblas_diagonal_T1_iil: ; @_ZN9rocsolver6v33100L18trti2_kernel_smallILi60EdPKPdEEv13rocblas_fill_17rocblas_diagonal_T1_iil
; %bb.0:
	s_mov_b32 s2, exec_lo
	v_cmpx_gt_u32_e32 60, v0
	s_cbranch_execz .LBB123_1176
; %bb.1:
	s_clause 0x1
	s_load_b64 s[4:5], s[0:1], 0x10
	s_load_b128 s[0:3], s[0:1], 0x0
	s_mov_b32 s6, s15
	s_ashr_i32 s7, s15, 31
	v_lshlrev_b32_e32 v123, 3, v0
	s_lshl_b64 s[8:9], s[6:7], 3
	s_waitcnt lgkmcnt(0)
	s_ashr_i32 s7, s4, 31
	s_add_u32 s2, s2, s8
	s_addc_u32 s3, s3, s9
	v_add3_u32 v1, s5, s5, v0
	s_load_b64 s[2:3], s[2:3], 0x0
	s_mov_b32 s6, s4
	s_mov_b32 s8, s5
	s_lshl_b64 s[6:7], s[6:7], 3
	v_add_nc_u32_e32 v3, s5, v1
	v_ashrrev_i32_e32 v2, 31, v1
	s_delay_alu instid0(VALU_DEP_2) | instskip(NEXT) | instid1(VALU_DEP_2)
	v_ashrrev_i32_e32 v4, 31, v3
	v_lshlrev_b64 v[1:2], 3, v[1:2]
	v_add_nc_u32_e32 v5, s5, v3
	s_delay_alu instid0(VALU_DEP_3) | instskip(NEXT) | instid1(VALU_DEP_2)
	v_lshlrev_b64 v[3:4], 3, v[3:4]
	v_add_nc_u32_e32 v7, s5, v5
	v_ashrrev_i32_e32 v6, 31, v5
	s_waitcnt lgkmcnt(0)
	s_add_u32 s2, s2, s6
	s_addc_u32 s3, s3, s7
	v_add_co_u32 v27, s4, s2, v123
	s_ashr_i32 s9, s5, 31
	v_add_co_ci_u32_e64 v28, null, s3, 0, s4
	s_lshl_b64 s[6:7], s[8:9], 3
	v_ashrrev_i32_e32 v8, 31, v7
	v_add_co_u32 v15, vcc_lo, v27, s6
	s_delay_alu instid0(VALU_DEP_3)
	v_add_co_ci_u32_e32 v16, vcc_lo, s7, v28, vcc_lo
	v_add_co_u32 v11, vcc_lo, s2, v1
	v_add_co_ci_u32_e32 v12, vcc_lo, s3, v2, vcc_lo
	v_add_co_u32 v3, vcc_lo, s2, v3
	v_add_co_ci_u32_e32 v4, vcc_lo, s3, v4, vcc_lo
	s_clause 0x3
	global_load_b64 v[51:52], v123, s[2:3]
	global_load_b64 v[53:54], v[15:16], off
	global_load_b64 v[55:56], v[11:12], off
	global_load_b64 v[57:58], v[3:4], off
	v_add_nc_u32_e32 v1, s5, v7
	v_lshlrev_b64 v[5:6], 3, v[5:6]
	v_lshlrev_b64 v[7:8], 3, v[7:8]
	s_cmpk_lg_i32 s1, 0x84
	s_delay_alu instid0(VALU_DEP_3) | instskip(SKIP_1) | instid1(VALU_DEP_4)
	v_add_nc_u32_e32 v9, s5, v1
	v_ashrrev_i32_e32 v2, 31, v1
	v_add_co_u32 v49, vcc_lo, s2, v5
	v_add_co_ci_u32_e32 v50, vcc_lo, s3, v6, vcc_lo
	s_delay_alu instid0(VALU_DEP_4) | instskip(NEXT) | instid1(VALU_DEP_4)
	v_add_nc_u32_e32 v13, s5, v9
	v_lshlrev_b64 v[1:2], 3, v[1:2]
	v_ashrrev_i32_e32 v10, 31, v9
	v_add_co_u32 v47, vcc_lo, s2, v7
	s_delay_alu instid0(VALU_DEP_4) | instskip(SKIP_3) | instid1(VALU_DEP_4)
	v_add_nc_u32_e32 v17, s5, v13
	v_ashrrev_i32_e32 v14, 31, v13
	v_add_co_ci_u32_e32 v48, vcc_lo, s3, v8, vcc_lo
	v_lshlrev_b64 v[5:6], 3, v[9:10]
	v_add_nc_u32_e32 v19, s5, v17
	v_add_co_u32 v37, vcc_lo, s2, v1
	v_add_co_ci_u32_e32 v38, vcc_lo, s3, v2, vcc_lo
	s_delay_alu instid0(VALU_DEP_3) | instskip(SKIP_3) | instid1(VALU_DEP_4)
	v_add_nc_u32_e32 v21, s5, v19
	v_lshlrev_b64 v[1:2], 3, v[13:14]
	v_ashrrev_i32_e32 v18, 31, v17
	v_add_co_u32 v45, vcc_lo, s2, v5
	v_add_nc_u32_e32 v23, s5, v21
	v_ashrrev_i32_e32 v20, 31, v19
	v_add_co_ci_u32_e32 v46, vcc_lo, s3, v6, vcc_lo
	v_lshlrev_b64 v[5:6], 3, v[17:18]
	s_delay_alu instid0(VALU_DEP_4) | instskip(SKIP_2) | instid1(VALU_DEP_3)
	v_add_nc_u32_e32 v25, s5, v23
	v_add_co_u32 v41, vcc_lo, s2, v1
	v_add_co_ci_u32_e32 v42, vcc_lo, s3, v2, vcc_lo
	v_add_nc_u32_e32 v39, s5, v25
	v_lshlrev_b64 v[1:2], 3, v[19:20]
	v_ashrrev_i32_e32 v22, 31, v21
	v_add_co_u32 v33, vcc_lo, s2, v5
	s_delay_alu instid0(VALU_DEP_4) | instskip(SKIP_3) | instid1(VALU_DEP_4)
	v_add_nc_u32_e32 v43, s5, v39
	v_ashrrev_i32_e32 v24, 31, v23
	v_add_co_ci_u32_e32 v34, vcc_lo, s3, v6, vcc_lo
	v_lshlrev_b64 v[5:6], 3, v[21:22]
	v_add_nc_u32_e32 v79, s5, v43
	v_add_co_u32 v35, vcc_lo, s2, v1
	v_add_co_ci_u32_e32 v36, vcc_lo, s3, v2, vcc_lo
	s_delay_alu instid0(VALU_DEP_3) | instskip(SKIP_3) | instid1(VALU_DEP_4)
	v_add_nc_u32_e32 v81, s5, v79
	v_lshlrev_b64 v[1:2], 3, v[23:24]
	v_ashrrev_i32_e32 v26, 31, v25
	v_add_co_u32 v31, vcc_lo, s2, v5
	v_add_nc_u32_e32 v87, s5, v81
	v_ashrrev_i32_e32 v40, 31, v39
	s_clause 0x1
	global_load_b64 v[61:62], v[47:48], off
	global_load_b64 v[59:60], v[49:50], off
	v_add_co_ci_u32_e32 v32, vcc_lo, s3, v6, vcc_lo
	v_add_nc_u32_e32 v89, s5, v87
	v_lshlrev_b64 v[5:6], 3, v[25:26]
	v_add_co_u32 v29, vcc_lo, s2, v1
	v_add_co_ci_u32_e32 v30, vcc_lo, s3, v2, vcc_lo
	s_delay_alu instid0(VALU_DEP_4)
	v_add_nc_u32_e32 v91, s5, v89
	v_lshlrev_b64 v[1:2], 3, v[39:40]
	v_ashrrev_i32_e32 v44, 31, v43
	s_clause 0x3
	global_load_b64 v[63:64], v[37:38], off
	global_load_b64 v[65:66], v[45:46], off
	;; [unrolled: 1-line block ×4, first 2 shown]
	v_add_nc_u32_e32 v93, s5, v91
	v_add_co_u32 v23, vcc_lo, s2, v5
	v_ashrrev_i32_e32 v80, 31, v79
	v_add_co_ci_u32_e32 v24, vcc_lo, s3, v6, vcc_lo
	s_delay_alu instid0(VALU_DEP_4) | instskip(SKIP_3) | instid1(VALU_DEP_4)
	v_add_nc_u32_e32 v95, s5, v93
	v_lshlrev_b64 v[5:6], 3, v[43:44]
	v_add_co_u32 v25, vcc_lo, s2, v1
	v_add_co_ci_u32_e32 v26, vcc_lo, s3, v2, vcc_lo
	v_add_nc_u32_e32 v97, s5, v95
	v_lshlrev_b64 v[1:2], 3, v[79:80]
	v_add_co_u32 v21, vcc_lo, s2, v5
	v_ashrrev_i32_e32 v82, 31, v81
	s_delay_alu instid0(VALU_DEP_4)
	v_add_nc_u32_e32 v99, s5, v97
	v_add_co_ci_u32_e32 v22, vcc_lo, s3, v6, vcc_lo
	s_clause 0x1
	global_load_b64 v[71:72], v[35:36], off
	global_load_b64 v[73:74], v[31:32], off
	v_add_co_u32 v17, vcc_lo, s2, v1
	v_add_nc_u32_e32 v101, s5, v99
	s_clause 0x1
	global_load_b64 v[75:76], v[29:30], off
	global_load_b64 v[77:78], v[23:24], off
	v_ashrrev_i32_e32 v88, 31, v87
	v_lshlrev_b64 v[5:6], 3, v[81:82]
	v_add_nc_u32_e32 v103, s5, v101
	v_add_co_ci_u32_e32 v18, vcc_lo, s3, v2, vcc_lo
	s_delay_alu instid0(VALU_DEP_4) | instskip(SKIP_1) | instid1(VALU_DEP_4)
	v_lshlrev_b64 v[7:8], 3, v[87:88]
	v_ashrrev_i32_e32 v90, 31, v89
	v_add_nc_u32_e32 v105, s5, v103
	v_add_co_u32 v5, vcc_lo, s2, v5
	v_add_co_ci_u32_e32 v6, vcc_lo, s3, v6, vcc_lo
	s_delay_alu instid0(VALU_DEP_3)
	v_add_nc_u32_e32 v107, s5, v105
	v_ashrrev_i32_e32 v92, 31, v91
	s_clause 0x3
	global_load_b64 v[79:80], v[25:26], off
	global_load_b64 v[81:82], v[21:22], off
	;; [unrolled: 1-line block ×4, first 2 shown]
	v_lshlrev_b64 v[9:10], 3, v[89:90]
	v_add_co_u32 v19, vcc_lo, s2, v7
	v_add_nc_u32_e32 v109, s5, v107
	v_ashrrev_i32_e32 v94, 31, v93
	v_add_co_ci_u32_e32 v20, vcc_lo, s3, v8, vcc_lo
	v_lshlrev_b64 v[13:14], 3, v[91:92]
	s_delay_alu instid0(VALU_DEP_4) | instskip(NEXT) | instid1(VALU_DEP_4)
	v_add_nc_u32_e32 v111, s5, v109
	v_lshlrev_b64 v[39:40], 3, v[93:94]
	v_ashrrev_i32_e32 v96, 31, v95
	v_ashrrev_i32_e32 v98, 31, v97
	;; [unrolled: 1-line block ×3, first 2 shown]
	v_add_nc_u32_e32 v113, s5, v111
	v_ashrrev_i32_e32 v102, 31, v101
	v_ashrrev_i32_e32 v104, 31, v103
	v_lshlrev_b64 v[43:44], 3, v[97:98]
	v_ashrrev_i32_e32 v106, 31, v105
	v_add_nc_u32_e32 v115, s5, v113
	v_ashrrev_i32_e32 v108, 31, v107
	v_ashrrev_i32_e32 v110, 31, v109
	;; [unrolled: 1-line block ×4, first 2 shown]
	v_add_nc_u32_e32 v117, s5, v115
	v_ashrrev_i32_e32 v116, 31, v115
	s_delay_alu instid0(VALU_DEP_2) | instskip(SKIP_1) | instid1(VALU_DEP_2)
	v_add_nc_u32_e32 v119, s5, v117
	v_ashrrev_i32_e32 v118, 31, v117
	v_add_nc_u32_e32 v121, s5, v119
	v_ashrrev_i32_e32 v120, 31, v119
	s_delay_alu instid0(VALU_DEP_2) | instskip(SKIP_1) | instid1(VALU_DEP_2)
	v_add_nc_u32_e32 v124, s5, v121
	v_ashrrev_i32_e32 v122, 31, v121
	;; [unrolled: 5-line block ×13, first 2 shown]
	v_add_nc_u32_e32 v1, s5, v172
	v_ashrrev_i32_e32 v173, 31, v172
	s_delay_alu instid0(VALU_DEP_2) | instskip(NEXT) | instid1(VALU_DEP_1)
	v_ashrrev_i32_e32 v2, 31, v1
	v_lshlrev_b64 v[1:2], 3, v[1:2]
	s_delay_alu instid0(VALU_DEP_1) | instskip(NEXT) | instid1(VALU_DEP_2)
	v_add_co_u32 v1, vcc_lo, s2, v1
	v_add_co_ci_u32_e32 v2, vcc_lo, s3, v2, vcc_lo
	v_add_co_u32 v7, vcc_lo, s2, v9
	v_add_co_ci_u32_e32 v8, vcc_lo, s3, v10, vcc_lo
	;; [unrolled: 2-line block ×4, first 2 shown]
	global_load_b64 v[126:127], v[1:2], off
	v_lshlrev_b64 v[39:40], 3, v[95:96]
	s_delay_alu instid0(VALU_DEP_1) | instskip(NEXT) | instid1(VALU_DEP_2)
	v_add_co_u32 v39, vcc_lo, s2, v39
	v_add_co_ci_u32_e32 v40, vcc_lo, s3, v40, vcc_lo
	v_add_co_u32 v43, vcc_lo, s2, v43
	s_waitcnt vmcnt(17)
	scratch_store_b128 off, v[51:54], off
	s_clause 0x1
	global_load_b64 v[87:88], v[19:20], off
	global_load_b64 v[89:90], v[7:8], off
	s_waitcnt vmcnt(17)
	scratch_store_b128 off, v[55:58], off offset:16
	s_clause 0x1
	global_load_b64 v[91:92], v[9:10], off
	global_load_b64 v[93:94], v[13:14], off
	v_lshlrev_b64 v[51:52], 3, v[99:100]
	v_lshlrev_b64 v[53:54], 3, v[101:102]
	v_add_co_ci_u32_e32 v44, vcc_lo, s3, v44, vcc_lo
	v_lshlrev_b64 v[55:56], 3, v[103:104]
	v_lshlrev_b64 v[57:58], 3, v[105:106]
	v_add_co_u32 v51, vcc_lo, s2, v51
	v_add_co_ci_u32_e32 v52, vcc_lo, s3, v52, vcc_lo
	v_add_co_u32 v53, vcc_lo, s2, v53
	v_add_co_ci_u32_e32 v54, vcc_lo, s3, v54, vcc_lo
	;; [unrolled: 2-line block ×4, first 2 shown]
	s_waitcnt vmcnt(17)
	scratch_store_b128 off, v[59:62], off offset:32
	v_lshlrev_b64 v[59:60], 3, v[107:108]
	s_clause 0x1
	global_load_b64 v[95:96], v[39:40], off
	global_load_b64 v[97:98], v[43:44], off
	v_lshlrev_b64 v[61:62], 3, v[109:110]
	global_load_b64 v[99:100], v[51:52], off
	v_add_co_u32 v59, vcc_lo, s2, v59
	v_add_co_ci_u32_e32 v60, vcc_lo, s3, v60, vcc_lo
	v_add_co_u32 v61, vcc_lo, s2, v61
	s_waitcnt vmcnt(18)
	scratch_store_b128 off, v[63:66], off offset:48
	s_waitcnt vmcnt(16)
	scratch_store_b128 off, v[67:70], off offset:64
	v_lshlrev_b64 v[63:64], 3, v[111:112]
	s_clause 0x2
	global_load_b64 v[101:102], v[53:54], off
	global_load_b64 v[103:104], v[55:56], off
	;; [unrolled: 1-line block ×3, first 2 shown]
	v_lshlrev_b64 v[65:66], 3, v[113:114]
	v_add_co_ci_u32_e32 v62, vcc_lo, s3, v62, vcc_lo
	v_lshlrev_b64 v[67:68], 3, v[115:116]
	v_add_co_u32 v63, vcc_lo, s2, v63
	v_add_co_ci_u32_e32 v64, vcc_lo, s3, v64, vcc_lo
	v_add_co_u32 v65, vcc_lo, s2, v65
	v_lshlrev_b64 v[69:70], 3, v[117:118]
	v_add_co_ci_u32_e32 v66, vcc_lo, s3, v66, vcc_lo
	v_add_co_u32 v67, vcc_lo, s2, v67
	global_load_b64 v[107:108], v[59:60], off
	v_add_co_ci_u32_e32 v68, vcc_lo, s3, v68, vcc_lo
	s_waitcnt vmcnt(18)
	scratch_store_b128 off, v[71:74], off offset:80
	v_lshlrev_b64 v[71:72], 3, v[119:120]
	v_add_co_u32 v69, vcc_lo, s2, v69
	v_lshlrev_b64 v[73:74], 3, v[121:122]
	s_waitcnt vmcnt(16)
	scratch_store_b128 off, v[75:78], off offset:96
	s_clause 0x2
	global_load_b64 v[109:110], v[61:62], off
	global_load_b64 v[111:112], v[63:64], off
	global_load_b64 v[113:114], v[65:66], off
	v_add_co_ci_u32_e32 v70, vcc_lo, s3, v70, vcc_lo
	v_add_co_u32 v71, vcc_lo, s2, v71
	v_add_co_ci_u32_e32 v72, vcc_lo, s3, v72, vcc_lo
	v_add_co_u32 v73, vcc_lo, s2, v73
	v_add_co_ci_u32_e32 v74, vcc_lo, s3, v74, vcc_lo
	v_lshlrev_b64 v[75:76], 3, v[124:125]
	s_waitcnt vmcnt(17)
	scratch_store_b128 off, v[79:82], off offset:112
	global_load_b64 v[115:116], v[67:68], off
	s_waitcnt vmcnt(16)
	scratch_store_b128 off, v[83:86], off offset:128
	s_clause 0x2
	global_load_b64 v[117:118], v[69:70], off
	global_load_b64 v[119:120], v[71:72], off
	;; [unrolled: 1-line block ×3, first 2 shown]
	v_lshlrev_b64 v[77:78], 3, v[128:129]
	v_add_co_u32 v75, vcc_lo, s2, v75
	v_lshlrev_b64 v[79:80], 3, v[130:131]
	v_add_co_ci_u32_e32 v76, vcc_lo, s3, v76, vcc_lo
	s_delay_alu instid0(VALU_DEP_4) | instskip(SKIP_4) | instid1(VALU_DEP_4)
	v_add_co_u32 v77, vcc_lo, s2, v77
	v_lshlrev_b64 v[81:82], 3, v[132:133]
	v_add_co_ci_u32_e32 v78, vcc_lo, s3, v78, vcc_lo
	v_add_co_u32 v79, vcc_lo, s2, v79
	v_add_co_ci_u32_e32 v80, vcc_lo, s3, v80, vcc_lo
	v_add_co_u32 v81, vcc_lo, s2, v81
	v_add_co_ci_u32_e32 v82, vcc_lo, s3, v82, vcc_lo
	s_clause 0x1
	global_load_b64 v[128:129], v[75:76], off
	global_load_b64 v[130:131], v[77:78], off
	v_lshlrev_b64 v[83:84], 3, v[136:137]
	v_lshlrev_b64 v[85:86], 3, v[138:139]
	s_delay_alu instid0(VALU_DEP_2) | instskip(NEXT) | instid1(VALU_DEP_3)
	v_add_co_u32 v83, vcc_lo, s2, v83
	v_add_co_ci_u32_e32 v84, vcc_lo, s3, v84, vcc_lo
	s_delay_alu instid0(VALU_DEP_3) | instskip(NEXT) | instid1(VALU_DEP_4)
	v_add_co_u32 v85, vcc_lo, s2, v85
	v_add_co_ci_u32_e32 v86, vcc_lo, s3, v86, vcc_lo
	s_waitcnt vmcnt(18)
	scratch_store_b128 off, v[87:90], off offset:144
	v_lshlrev_b64 v[87:88], 3, v[140:141]
	s_waitcnt vmcnt(16)
	scratch_store_b128 off, v[91:94], off offset:160
	s_clause 0x1
	global_load_b64 v[132:133], v[79:80], off
	global_load_b64 v[134:135], v[81:82], off
	v_lshlrev_b64 v[89:90], 3, v[142:143]
	v_lshlrev_b64 v[91:92], 3, v[144:145]
	;; [unrolled: 1-line block ×3, first 2 shown]
	v_add_co_u32 v87, vcc_lo, s2, v87
	v_add_co_ci_u32_e32 v88, vcc_lo, s3, v88, vcc_lo
	v_add_co_u32 v89, vcc_lo, s2, v89
	v_add_co_ci_u32_e32 v90, vcc_lo, s3, v90, vcc_lo
	v_add_co_u32 v91, vcc_lo, s2, v91
	v_add_co_ci_u32_e32 v92, vcc_lo, s3, v92, vcc_lo
	v_add_co_u32 v93, vcc_lo, s2, v93
	v_add_co_ci_u32_e32 v94, vcc_lo, s3, v94, vcc_lo
	global_load_b64 v[136:137], v[83:84], off
	s_waitcnt vmcnt(17)
	scratch_store_b128 off, v[95:98], off offset:176
	v_lshlrev_b64 v[95:96], 3, v[148:149]
	v_lshlrev_b64 v[97:98], 3, v[150:151]
	s_waitcnt vmcnt(15)
	scratch_store_b128 off, v[99:102], off offset:192
	s_waitcnt vmcnt(13)
	scratch_store_b128 off, v[103:106], off offset:208
	v_add_co_u32 v95, vcc_lo, s2, v95
	v_lshlrev_b64 v[99:100], 3, v[152:153]
	v_add_co_ci_u32_e32 v96, vcc_lo, s3, v96, vcc_lo
	v_add_co_u32 v97, vcc_lo, s2, v97
	v_lshlrev_b64 v[101:102], 3, v[154:155]
	v_add_co_ci_u32_e32 v98, vcc_lo, s3, v98, vcc_lo
	;; [unrolled: 3-line block ×4, first 2 shown]
	s_clause 0x3
	global_load_b64 v[138:139], v[85:86], off
	global_load_b64 v[140:141], v[87:88], off
	;; [unrolled: 1-line block ×4, first 2 shown]
	s_waitcnt vmcnt(15)
	scratch_store_b128 off, v[107:110], off offset:224
	s_waitcnt vmcnt(13)
	scratch_store_b128 off, v[111:114], off offset:240
	v_add_co_u32 v103, vcc_lo, s2, v103
	v_lshlrev_b64 v[107:108], 3, v[160:161]
	v_add_co_ci_u32_e32 v104, vcc_lo, s3, v104, vcc_lo
	v_add_co_u32 v105, vcc_lo, s2, v105
	v_lshlrev_b64 v[109:110], 3, v[162:163]
	v_add_co_ci_u32_e32 v106, vcc_lo, s3, v106, vcc_lo
	;; [unrolled: 3-line block ×4, first 2 shown]
	s_clause 0x3
	global_load_b64 v[146:147], v[93:94], off
	global_load_b64 v[148:149], v[95:96], off
	;; [unrolled: 1-line block ×4, first 2 shown]
	s_waitcnt vmcnt(15)
	scratch_store_b128 off, v[115:118], off offset:256
	s_waitcnt vmcnt(13)
	scratch_store_b128 off, v[119:122], off offset:272
	v_add_co_u32 v111, vcc_lo, s2, v111
	v_lshlrev_b64 v[115:116], 3, v[168:169]
	v_add_co_ci_u32_e32 v112, vcc_lo, s3, v112, vcc_lo
	v_add_co_u32 v113, vcc_lo, s2, v113
	v_add_co_ci_u32_e32 v114, vcc_lo, s3, v114, vcc_lo
	v_lshlrev_b64 v[119:120], 3, v[170:171]
	v_add_co_u32 v117, vcc_lo, s2, v115
	v_add_co_ci_u32_e32 v118, vcc_lo, s3, v116, vcc_lo
	v_lshlrev_b64 v[115:116], 3, v[172:173]
	s_delay_alu instid0(VALU_DEP_4)
	v_add_co_u32 v119, vcc_lo, s2, v119
	v_add_co_ci_u32_e32 v120, vcc_lo, s3, v120, vcc_lo
	s_clause 0x3
	global_load_b64 v[154:155], v[101:102], off
	global_load_b64 v[156:157], v[103:104], off
	global_load_b64 v[158:159], v[105:106], off
	global_load_b64 v[160:161], v[107:108], off
	v_add_co_u32 v115, vcc_lo, s2, v115
	v_add_co_ci_u32_e32 v116, vcc_lo, s3, v116, vcc_lo
	s_waitcnt vmcnt(15)
	scratch_store_b128 off, v[128:131], off offset:288
	s_clause 0x2
	global_load_b64 v[162:163], v[109:110], off
	global_load_b64 v[128:129], v[111:112], off
	;; [unrolled: 1-line block ×3, first 2 shown]
	v_mov_b32_e32 v121, 0
	v_mov_b32_e32 v122, 0xbff00000
	s_cselect_b32 s2, -1, 0
	s_cmpk_eq_i32 s1, 0x84
	s_waitcnt vmcnt(16)
	scratch_store_b128 off, v[132:135], off offset:304
	s_clause 0x2
	global_load_b64 v[132:133], v[117:118], off
	global_load_b64 v[134:135], v[119:120], off
	;; [unrolled: 1-line block ×3, first 2 shown]
	s_waitcnt vmcnt(17)
	scratch_store_b128 off, v[136:139], off offset:320
	s_waitcnt vmcnt(15)
	scratch_store_b128 off, v[140:143], off offset:336
	;; [unrolled: 2-line block ×10, first 2 shown]
	s_cbranch_scc1 .LBB123_3
; %bb.2:
	scratch_load_b64 v[121:122], v123, off
	s_waitcnt vmcnt(0)
	v_div_scale_f64 v[124:125], null, v[121:122], v[121:122], 1.0
	v_div_scale_f64 v[130:131], vcc_lo, 1.0, v[121:122], 1.0
	s_delay_alu instid0(VALU_DEP_2) | instskip(SKIP_2) | instid1(VALU_DEP_1)
	v_rcp_f64_e32 v[126:127], v[124:125]
	s_waitcnt_depctr 0xfff
	v_fma_f64 v[128:129], -v[124:125], v[126:127], 1.0
	v_fma_f64 v[126:127], v[126:127], v[128:129], v[126:127]
	s_delay_alu instid0(VALU_DEP_1) | instskip(NEXT) | instid1(VALU_DEP_1)
	v_fma_f64 v[128:129], -v[124:125], v[126:127], 1.0
	v_fma_f64 v[126:127], v[126:127], v[128:129], v[126:127]
	s_delay_alu instid0(VALU_DEP_1) | instskip(NEXT) | instid1(VALU_DEP_1)
	v_mul_f64 v[128:129], v[130:131], v[126:127]
	v_fma_f64 v[124:125], -v[124:125], v[128:129], v[130:131]
	s_delay_alu instid0(VALU_DEP_1) | instskip(NEXT) | instid1(VALU_DEP_1)
	v_div_fmas_f64 v[124:125], v[124:125], v[126:127], v[128:129]
	v_div_fixup_f64 v[121:122], v[124:125], v[121:122], 1.0
	scratch_store_b64 v123, v[121:122], off
	v_xor_b32_e32 v122, 0x80000000, v122
.LBB123_3:
	v_add_nc_u32_e32 v124, 0x1e0, v123
	v_add_nc_u32_e32 v125, 0, v123
	s_cmpk_eq_i32 s0, 0x79
	s_mov_b32 s0, -1
	ds_store_b64 v123, v[121:122]
	s_cbranch_scc1 .LBB123_589
; %bb.4:
	scratch_load_b64 v[121:122], off, off offset:464
	v_cmp_eq_u32_e64 s0, 59, v0
	s_movk_i32 s1, 0x50
	s_movk_i32 s3, 0x60
	;; [unrolled: 1-line block ×24, first 2 shown]
	s_waitcnt vmcnt(0)
	ds_store_b64 v124, v[121:122]
	s_waitcnt lgkmcnt(0)
	s_waitcnt_vscnt null, 0x0
	s_barrier
	buffer_gl0_inv
	s_and_saveexec_b32 s26, s0
	s_cbranch_execz .LBB123_10
; %bb.5:
	s_and_b32 vcc_lo, exec_lo, s2
	s_cbranch_vccz .LBB123_7
; %bb.6:
	scratch_load_b64 v[121:122], v125, off
	ds_load_b64 v[126:127], v124
	s_waitcnt vmcnt(0) lgkmcnt(0)
	v_mul_f64 v[121:122], v[121:122], v[126:127]
	s_cbranch_execz .LBB123_8
	s_branch .LBB123_9
.LBB123_7:
                                        ; implicit-def: $vgpr121_vgpr122
.LBB123_8:
	ds_load_b64 v[121:122], v124
.LBB123_9:
	v_mov_b32_e32 v126, 0
	ds_load_b64 v[126:127], v126 offset:464
	s_waitcnt lgkmcnt(0)
	v_mul_f64 v[121:122], v[121:122], v[126:127]
	scratch_store_b64 off, v[121:122], off offset:464
.LBB123_10:
	s_or_b32 exec_lo, exec_lo, s26
	scratch_load_b64 v[121:122], off, off offset:456
	v_add_nc_u32_e64 v126, 0, 16
	v_add_nc_u32_e64 v127, 0, 32
	;; [unrolled: 1-line block ×28, first 2 shown]
	v_cmp_lt_u32_e64 s1, 57, v0
	s_waitcnt vmcnt(0)
	ds_store_b64 v124, v[121:122]
	s_waitcnt lgkmcnt(0)
	s_waitcnt_vscnt null, 0x0
	s_barrier
	buffer_gl0_inv
	s_and_saveexec_b32 s3, s1
	s_cbranch_execz .LBB123_18
; %bb.11:
	s_and_not1_b32 vcc_lo, exec_lo, s2
	s_cbranch_vccnz .LBB123_13
; %bb.12:
	scratch_load_b64 v[121:122], v125, off
	ds_load_b64 v[154:155], v124
	s_waitcnt vmcnt(0) lgkmcnt(0)
	v_mul_f64 v[121:122], v[121:122], v[154:155]
	s_cbranch_execz .LBB123_14
	s_branch .LBB123_15
.LBB123_13:
                                        ; implicit-def: $vgpr121_vgpr122
.LBB123_14:
	ds_load_b64 v[121:122], v124
.LBB123_15:
	s_and_saveexec_b32 s4, s0
	s_cbranch_execz .LBB123_17
; %bb.16:
	scratch_load_b64 v[154:155], off, off offset:464
	v_mov_b32_e32 v156, 0
	ds_load_b64 v[156:157], v156 offset:944
	s_waitcnt vmcnt(0) lgkmcnt(0)
	v_fma_f64 v[121:122], v[154:155], v[156:157], v[121:122]
.LBB123_17:
	s_or_b32 exec_lo, exec_lo, s4
	v_mov_b32_e32 v154, 0
	ds_load_b64 v[154:155], v154 offset:456
	s_waitcnt lgkmcnt(0)
	v_mul_f64 v[121:122], v[121:122], v[154:155]
	scratch_store_b64 off, v[121:122], off offset:456
.LBB123_18:
	s_or_b32 exec_lo, exec_lo, s3
	scratch_load_b64 v[121:122], off, off offset:448
	v_cmp_lt_u32_e64 s0, 56, v0
	s_waitcnt vmcnt(0)
	ds_store_b64 v124, v[121:122]
	s_waitcnt lgkmcnt(0)
	s_waitcnt_vscnt null, 0x0
	s_barrier
	buffer_gl0_inv
	s_and_saveexec_b32 s3, s0
	s_cbranch_execz .LBB123_28
; %bb.19:
	s_and_not1_b32 vcc_lo, exec_lo, s2
	s_cbranch_vccnz .LBB123_21
; %bb.20:
	scratch_load_b64 v[121:122], v125, off
	ds_load_b64 v[154:155], v124
	s_waitcnt vmcnt(0) lgkmcnt(0)
	v_mul_f64 v[121:122], v[121:122], v[154:155]
	s_cbranch_execz .LBB123_22
	s_branch .LBB123_23
.LBB123_21:
                                        ; implicit-def: $vgpr121_vgpr122
.LBB123_22:
	ds_load_b64 v[121:122], v124
.LBB123_23:
	s_and_saveexec_b32 s4, s1
	s_cbranch_execz .LBB123_27
; %bb.24:
	v_mov_b32_e32 v154, 0
	v_subrev_nc_u32_e32 v155, 57, v0
	s_movk_i32 s5, 0x3a8
	s_mov_b32 s1, 0
	s_delay_alu instid0(VALU_DEP_2)
	v_add_nc_u32_e32 v154, 0x1c8, v154
.LBB123_25:                             ; =>This Inner Loop Header: Depth=1
	scratch_load_b64 v[156:157], v154, off
	v_dual_mov_b32 v158, s5 :: v_dual_add_nc_u32 v155, -1, v155
	v_add_nc_u32_e32 v154, 8, v154
	s_add_i32 s5, s5, 8
	ds_load_b64 v[158:159], v158
	v_cmp_eq_u32_e32 vcc_lo, 0, v155
	s_or_b32 s1, vcc_lo, s1
	s_waitcnt vmcnt(0) lgkmcnt(0)
	v_fma_f64 v[121:122], v[156:157], v[158:159], v[121:122]
	s_and_not1_b32 exec_lo, exec_lo, s1
	s_cbranch_execnz .LBB123_25
; %bb.26:
	s_or_b32 exec_lo, exec_lo, s1
.LBB123_27:
	s_delay_alu instid0(SALU_CYCLE_1)
	s_or_b32 exec_lo, exec_lo, s4
	v_mov_b32_e32 v154, 0
	ds_load_b64 v[154:155], v154 offset:448
	s_waitcnt lgkmcnt(0)
	v_mul_f64 v[121:122], v[121:122], v[154:155]
	scratch_store_b64 off, v[121:122], off offset:448
.LBB123_28:
	s_or_b32 exec_lo, exec_lo, s3
	scratch_load_b64 v[121:122], off, off offset:440
	v_cmp_lt_u32_e64 s1, 55, v0
	s_waitcnt vmcnt(0)
	ds_store_b64 v124, v[121:122]
	s_waitcnt lgkmcnt(0)
	s_waitcnt_vscnt null, 0x0
	s_barrier
	buffer_gl0_inv
	s_and_saveexec_b32 s3, s1
	s_cbranch_execz .LBB123_38
; %bb.29:
	s_and_not1_b32 vcc_lo, exec_lo, s2
	s_cbranch_vccnz .LBB123_31
; %bb.30:
	scratch_load_b64 v[121:122], v125, off
	ds_load_b64 v[154:155], v124
	s_waitcnt vmcnt(0) lgkmcnt(0)
	v_mul_f64 v[121:122], v[121:122], v[154:155]
	s_cbranch_execz .LBB123_32
	s_branch .LBB123_33
.LBB123_31:
                                        ; implicit-def: $vgpr121_vgpr122
.LBB123_32:
	ds_load_b64 v[121:122], v124
.LBB123_33:
	s_and_saveexec_b32 s4, s0
	s_cbranch_execz .LBB123_37
; %bb.34:
	v_subrev_nc_u32_e32 v154, 56, v0
	s_movk_i32 s5, 0x3a0
	s_mov_b32 s0, 0
.LBB123_35:                             ; =>This Inner Loop Header: Depth=1
	scratch_load_b64 v[155:156], v153, off
	v_dual_mov_b32 v157, s5 :: v_dual_add_nc_u32 v154, -1, v154
	v_add_nc_u32_e32 v153, 8, v153
	s_add_i32 s5, s5, 8
	ds_load_b64 v[157:158], v157
	v_cmp_eq_u32_e32 vcc_lo, 0, v154
	s_or_b32 s0, vcc_lo, s0
	s_waitcnt vmcnt(0) lgkmcnt(0)
	v_fma_f64 v[121:122], v[155:156], v[157:158], v[121:122]
	s_and_not1_b32 exec_lo, exec_lo, s0
	s_cbranch_execnz .LBB123_35
; %bb.36:
	s_or_b32 exec_lo, exec_lo, s0
.LBB123_37:
	s_delay_alu instid0(SALU_CYCLE_1)
	s_or_b32 exec_lo, exec_lo, s4
	v_mov_b32_e32 v153, 0
	ds_load_b64 v[153:154], v153 offset:440
	s_waitcnt lgkmcnt(0)
	v_mul_f64 v[121:122], v[121:122], v[153:154]
	scratch_store_b64 off, v[121:122], off offset:440
.LBB123_38:
	s_or_b32 exec_lo, exec_lo, s3
	scratch_load_b64 v[121:122], off, off offset:432
	v_cmp_lt_u32_e64 s0, 54, v0
	s_waitcnt vmcnt(0)
	ds_store_b64 v124, v[121:122]
	s_waitcnt lgkmcnt(0)
	s_waitcnt_vscnt null, 0x0
	s_barrier
	buffer_gl0_inv
	s_and_saveexec_b32 s3, s0
	s_cbranch_execz .LBB123_48
; %bb.39:
	s_and_not1_b32 vcc_lo, exec_lo, s2
	s_cbranch_vccnz .LBB123_41
; %bb.40:
	scratch_load_b64 v[121:122], v125, off
	ds_load_b64 v[153:154], v124
	s_waitcnt vmcnt(0) lgkmcnt(0)
	v_mul_f64 v[121:122], v[121:122], v[153:154]
	s_cbranch_execz .LBB123_42
	s_branch .LBB123_43
.LBB123_41:
                                        ; implicit-def: $vgpr121_vgpr122
.LBB123_42:
	ds_load_b64 v[121:122], v124
.LBB123_43:
	s_and_saveexec_b32 s4, s1
	s_cbranch_execz .LBB123_47
; %bb.44:
	v_mov_b32_e32 v153, 0
	v_subrev_nc_u32_e32 v154, 55, v0
	s_movk_i32 s5, 0x398
	s_mov_b32 s1, 0
	s_delay_alu instid0(VALU_DEP_2)
	v_add_nc_u32_e32 v153, 0x1b8, v153
.LBB123_45:                             ; =>This Inner Loop Header: Depth=1
	scratch_load_b64 v[155:156], v153, off
	v_dual_mov_b32 v157, s5 :: v_dual_add_nc_u32 v154, -1, v154
	v_add_nc_u32_e32 v153, 8, v153
	s_add_i32 s5, s5, 8
	ds_load_b64 v[157:158], v157
	v_cmp_eq_u32_e32 vcc_lo, 0, v154
	s_or_b32 s1, vcc_lo, s1
	s_waitcnt vmcnt(0) lgkmcnt(0)
	v_fma_f64 v[121:122], v[155:156], v[157:158], v[121:122]
	s_and_not1_b32 exec_lo, exec_lo, s1
	s_cbranch_execnz .LBB123_45
; %bb.46:
	s_or_b32 exec_lo, exec_lo, s1
.LBB123_47:
	s_delay_alu instid0(SALU_CYCLE_1)
	s_or_b32 exec_lo, exec_lo, s4
	v_mov_b32_e32 v153, 0
	ds_load_b64 v[153:154], v153 offset:432
	s_waitcnt lgkmcnt(0)
	v_mul_f64 v[121:122], v[121:122], v[153:154]
	scratch_store_b64 off, v[121:122], off offset:432
.LBB123_48:
	s_or_b32 exec_lo, exec_lo, s3
	scratch_load_b64 v[121:122], off, off offset:424
	v_cmp_lt_u32_e64 s1, 53, v0
	s_waitcnt vmcnt(0)
	ds_store_b64 v124, v[121:122]
	s_waitcnt lgkmcnt(0)
	s_waitcnt_vscnt null, 0x0
	s_barrier
	buffer_gl0_inv
	s_and_saveexec_b32 s3, s1
	s_cbranch_execz .LBB123_58
; %bb.49:
	s_and_not1_b32 vcc_lo, exec_lo, s2
	s_cbranch_vccnz .LBB123_51
; %bb.50:
	scratch_load_b64 v[121:122], v125, off
	ds_load_b64 v[153:154], v124
	s_waitcnt vmcnt(0) lgkmcnt(0)
	v_mul_f64 v[121:122], v[121:122], v[153:154]
	s_cbranch_execz .LBB123_52
	s_branch .LBB123_53
.LBB123_51:
                                        ; implicit-def: $vgpr121_vgpr122
.LBB123_52:
	ds_load_b64 v[121:122], v124
.LBB123_53:
	s_and_saveexec_b32 s4, s0
	s_cbranch_execz .LBB123_57
; %bb.54:
	v_subrev_nc_u32_e32 v153, 54, v0
	s_movk_i32 s5, 0x390
	s_mov_b32 s0, 0
.LBB123_55:                             ; =>This Inner Loop Header: Depth=1
	scratch_load_b64 v[154:155], v152, off
	v_dual_mov_b32 v156, s5 :: v_dual_add_nc_u32 v153, -1, v153
	v_add_nc_u32_e32 v152, 8, v152
	s_add_i32 s5, s5, 8
	ds_load_b64 v[156:157], v156
	v_cmp_eq_u32_e32 vcc_lo, 0, v153
	s_or_b32 s0, vcc_lo, s0
	s_waitcnt vmcnt(0) lgkmcnt(0)
	v_fma_f64 v[121:122], v[154:155], v[156:157], v[121:122]
	s_and_not1_b32 exec_lo, exec_lo, s0
	s_cbranch_execnz .LBB123_55
; %bb.56:
	s_or_b32 exec_lo, exec_lo, s0
.LBB123_57:
	s_delay_alu instid0(SALU_CYCLE_1)
	s_or_b32 exec_lo, exec_lo, s4
	v_mov_b32_e32 v152, 0
	ds_load_b64 v[152:153], v152 offset:424
	s_waitcnt lgkmcnt(0)
	v_mul_f64 v[121:122], v[121:122], v[152:153]
	scratch_store_b64 off, v[121:122], off offset:424
.LBB123_58:
	s_or_b32 exec_lo, exec_lo, s3
	scratch_load_b64 v[121:122], off, off offset:416
	v_cmp_lt_u32_e64 s0, 52, v0
	s_waitcnt vmcnt(0)
	ds_store_b64 v124, v[121:122]
	s_waitcnt lgkmcnt(0)
	s_waitcnt_vscnt null, 0x0
	s_barrier
	buffer_gl0_inv
	s_and_saveexec_b32 s3, s0
	s_cbranch_execz .LBB123_68
; %bb.59:
	s_and_not1_b32 vcc_lo, exec_lo, s2
	s_cbranch_vccnz .LBB123_61
; %bb.60:
	scratch_load_b64 v[121:122], v125, off
	ds_load_b64 v[152:153], v124
	s_waitcnt vmcnt(0) lgkmcnt(0)
	v_mul_f64 v[121:122], v[121:122], v[152:153]
	s_cbranch_execz .LBB123_62
	s_branch .LBB123_63
.LBB123_61:
                                        ; implicit-def: $vgpr121_vgpr122
.LBB123_62:
	ds_load_b64 v[121:122], v124
.LBB123_63:
	s_and_saveexec_b32 s4, s1
	s_cbranch_execz .LBB123_67
; %bb.64:
	v_mov_b32_e32 v152, 0
	v_subrev_nc_u32_e32 v153, 53, v0
	s_movk_i32 s5, 0x388
	s_mov_b32 s1, 0
	s_delay_alu instid0(VALU_DEP_2)
	v_add_nc_u32_e32 v152, 0x1a8, v152
.LBB123_65:                             ; =>This Inner Loop Header: Depth=1
	scratch_load_b64 v[154:155], v152, off
	v_dual_mov_b32 v156, s5 :: v_dual_add_nc_u32 v153, -1, v153
	v_add_nc_u32_e32 v152, 8, v152
	s_add_i32 s5, s5, 8
	ds_load_b64 v[156:157], v156
	v_cmp_eq_u32_e32 vcc_lo, 0, v153
	s_or_b32 s1, vcc_lo, s1
	s_waitcnt vmcnt(0) lgkmcnt(0)
	v_fma_f64 v[121:122], v[154:155], v[156:157], v[121:122]
	s_and_not1_b32 exec_lo, exec_lo, s1
	s_cbranch_execnz .LBB123_65
; %bb.66:
	s_or_b32 exec_lo, exec_lo, s1
.LBB123_67:
	s_delay_alu instid0(SALU_CYCLE_1)
	s_or_b32 exec_lo, exec_lo, s4
	v_mov_b32_e32 v152, 0
	ds_load_b64 v[152:153], v152 offset:416
	s_waitcnt lgkmcnt(0)
	v_mul_f64 v[121:122], v[121:122], v[152:153]
	scratch_store_b64 off, v[121:122], off offset:416
.LBB123_68:
	s_or_b32 exec_lo, exec_lo, s3
	scratch_load_b64 v[121:122], off, off offset:408
	v_cmp_lt_u32_e64 s1, 51, v0
	s_waitcnt vmcnt(0)
	ds_store_b64 v124, v[121:122]
	s_waitcnt lgkmcnt(0)
	s_waitcnt_vscnt null, 0x0
	s_barrier
	buffer_gl0_inv
	s_and_saveexec_b32 s3, s1
	s_cbranch_execz .LBB123_78
; %bb.69:
	s_and_not1_b32 vcc_lo, exec_lo, s2
	s_cbranch_vccnz .LBB123_71
; %bb.70:
	scratch_load_b64 v[121:122], v125, off
	ds_load_b64 v[152:153], v124
	s_waitcnt vmcnt(0) lgkmcnt(0)
	v_mul_f64 v[121:122], v[121:122], v[152:153]
	s_cbranch_execz .LBB123_72
	s_branch .LBB123_73
.LBB123_71:
                                        ; implicit-def: $vgpr121_vgpr122
.LBB123_72:
	ds_load_b64 v[121:122], v124
.LBB123_73:
	s_and_saveexec_b32 s4, s0
	s_cbranch_execz .LBB123_77
; %bb.74:
	v_subrev_nc_u32_e32 v152, 52, v0
	s_movk_i32 s5, 0x380
	s_mov_b32 s0, 0
.LBB123_75:                             ; =>This Inner Loop Header: Depth=1
	scratch_load_b64 v[153:154], v151, off
	v_dual_mov_b32 v155, s5 :: v_dual_add_nc_u32 v152, -1, v152
	v_add_nc_u32_e32 v151, 8, v151
	s_add_i32 s5, s5, 8
	ds_load_b64 v[155:156], v155
	v_cmp_eq_u32_e32 vcc_lo, 0, v152
	s_or_b32 s0, vcc_lo, s0
	s_waitcnt vmcnt(0) lgkmcnt(0)
	v_fma_f64 v[121:122], v[153:154], v[155:156], v[121:122]
	s_and_not1_b32 exec_lo, exec_lo, s0
	s_cbranch_execnz .LBB123_75
; %bb.76:
	s_or_b32 exec_lo, exec_lo, s0
.LBB123_77:
	s_delay_alu instid0(SALU_CYCLE_1)
	s_or_b32 exec_lo, exec_lo, s4
	v_mov_b32_e32 v151, 0
	ds_load_b64 v[151:152], v151 offset:408
	s_waitcnt lgkmcnt(0)
	v_mul_f64 v[121:122], v[121:122], v[151:152]
	scratch_store_b64 off, v[121:122], off offset:408
.LBB123_78:
	s_or_b32 exec_lo, exec_lo, s3
	scratch_load_b64 v[121:122], off, off offset:400
	v_cmp_lt_u32_e64 s0, 50, v0
	s_waitcnt vmcnt(0)
	ds_store_b64 v124, v[121:122]
	s_waitcnt lgkmcnt(0)
	s_waitcnt_vscnt null, 0x0
	s_barrier
	buffer_gl0_inv
	s_and_saveexec_b32 s3, s0
	s_cbranch_execz .LBB123_88
; %bb.79:
	s_and_not1_b32 vcc_lo, exec_lo, s2
	s_cbranch_vccnz .LBB123_81
; %bb.80:
	scratch_load_b64 v[121:122], v125, off
	ds_load_b64 v[151:152], v124
	s_waitcnt vmcnt(0) lgkmcnt(0)
	v_mul_f64 v[121:122], v[121:122], v[151:152]
	s_cbranch_execz .LBB123_82
	s_branch .LBB123_83
.LBB123_81:
                                        ; implicit-def: $vgpr121_vgpr122
.LBB123_82:
	ds_load_b64 v[121:122], v124
.LBB123_83:
	s_and_saveexec_b32 s4, s1
	s_cbranch_execz .LBB123_87
; %bb.84:
	v_mov_b32_e32 v151, 0
	v_subrev_nc_u32_e32 v152, 51, v0
	s_movk_i32 s5, 0x378
	s_mov_b32 s1, 0
	s_delay_alu instid0(VALU_DEP_2)
	v_add_nc_u32_e32 v151, 0x198, v151
.LBB123_85:                             ; =>This Inner Loop Header: Depth=1
	scratch_load_b64 v[153:154], v151, off
	v_dual_mov_b32 v155, s5 :: v_dual_add_nc_u32 v152, -1, v152
	v_add_nc_u32_e32 v151, 8, v151
	s_add_i32 s5, s5, 8
	ds_load_b64 v[155:156], v155
	v_cmp_eq_u32_e32 vcc_lo, 0, v152
	s_or_b32 s1, vcc_lo, s1
	s_waitcnt vmcnt(0) lgkmcnt(0)
	v_fma_f64 v[121:122], v[153:154], v[155:156], v[121:122]
	s_and_not1_b32 exec_lo, exec_lo, s1
	s_cbranch_execnz .LBB123_85
; %bb.86:
	s_or_b32 exec_lo, exec_lo, s1
.LBB123_87:
	s_delay_alu instid0(SALU_CYCLE_1)
	s_or_b32 exec_lo, exec_lo, s4
	v_mov_b32_e32 v151, 0
	ds_load_b64 v[151:152], v151 offset:400
	s_waitcnt lgkmcnt(0)
	v_mul_f64 v[121:122], v[121:122], v[151:152]
	scratch_store_b64 off, v[121:122], off offset:400
.LBB123_88:
	s_or_b32 exec_lo, exec_lo, s3
	scratch_load_b64 v[121:122], off, off offset:392
	v_cmp_lt_u32_e64 s1, 49, v0
	s_waitcnt vmcnt(0)
	ds_store_b64 v124, v[121:122]
	s_waitcnt lgkmcnt(0)
	s_waitcnt_vscnt null, 0x0
	s_barrier
	buffer_gl0_inv
	s_and_saveexec_b32 s3, s1
	s_cbranch_execz .LBB123_98
; %bb.89:
	s_and_not1_b32 vcc_lo, exec_lo, s2
	s_cbranch_vccnz .LBB123_91
; %bb.90:
	scratch_load_b64 v[121:122], v125, off
	ds_load_b64 v[151:152], v124
	s_waitcnt vmcnt(0) lgkmcnt(0)
	v_mul_f64 v[121:122], v[121:122], v[151:152]
	s_cbranch_execz .LBB123_92
	s_branch .LBB123_93
.LBB123_91:
                                        ; implicit-def: $vgpr121_vgpr122
.LBB123_92:
	ds_load_b64 v[121:122], v124
.LBB123_93:
	s_and_saveexec_b32 s4, s0
	s_cbranch_execz .LBB123_97
; %bb.94:
	v_subrev_nc_u32_e32 v151, 50, v0
	s_movk_i32 s5, 0x370
	s_mov_b32 s0, 0
.LBB123_95:                             ; =>This Inner Loop Header: Depth=1
	scratch_load_b64 v[152:153], v150, off
	v_dual_mov_b32 v154, s5 :: v_dual_add_nc_u32 v151, -1, v151
	v_add_nc_u32_e32 v150, 8, v150
	s_add_i32 s5, s5, 8
	ds_load_b64 v[154:155], v154
	v_cmp_eq_u32_e32 vcc_lo, 0, v151
	s_or_b32 s0, vcc_lo, s0
	s_waitcnt vmcnt(0) lgkmcnt(0)
	v_fma_f64 v[121:122], v[152:153], v[154:155], v[121:122]
	s_and_not1_b32 exec_lo, exec_lo, s0
	s_cbranch_execnz .LBB123_95
; %bb.96:
	s_or_b32 exec_lo, exec_lo, s0
.LBB123_97:
	s_delay_alu instid0(SALU_CYCLE_1)
	s_or_b32 exec_lo, exec_lo, s4
	v_mov_b32_e32 v150, 0
	ds_load_b64 v[150:151], v150 offset:392
	s_waitcnt lgkmcnt(0)
	v_mul_f64 v[121:122], v[121:122], v[150:151]
	scratch_store_b64 off, v[121:122], off offset:392
.LBB123_98:
	s_or_b32 exec_lo, exec_lo, s3
	scratch_load_b64 v[121:122], off, off offset:384
	v_cmp_lt_u32_e64 s0, 48, v0
	s_waitcnt vmcnt(0)
	ds_store_b64 v124, v[121:122]
	s_waitcnt lgkmcnt(0)
	s_waitcnt_vscnt null, 0x0
	s_barrier
	buffer_gl0_inv
	s_and_saveexec_b32 s3, s0
	s_cbranch_execz .LBB123_108
; %bb.99:
	s_and_not1_b32 vcc_lo, exec_lo, s2
	s_cbranch_vccnz .LBB123_101
; %bb.100:
	scratch_load_b64 v[121:122], v125, off
	ds_load_b64 v[150:151], v124
	s_waitcnt vmcnt(0) lgkmcnt(0)
	v_mul_f64 v[121:122], v[121:122], v[150:151]
	s_cbranch_execz .LBB123_102
	s_branch .LBB123_103
.LBB123_101:
                                        ; implicit-def: $vgpr121_vgpr122
.LBB123_102:
	ds_load_b64 v[121:122], v124
.LBB123_103:
	s_and_saveexec_b32 s4, s1
	s_cbranch_execz .LBB123_107
; %bb.104:
	v_mov_b32_e32 v150, 0
	v_subrev_nc_u32_e32 v151, 49, v0
	s_movk_i32 s5, 0x368
	s_mov_b32 s1, 0
	s_delay_alu instid0(VALU_DEP_2)
	v_add_nc_u32_e32 v150, 0x188, v150
.LBB123_105:                            ; =>This Inner Loop Header: Depth=1
	scratch_load_b64 v[152:153], v150, off
	v_dual_mov_b32 v154, s5 :: v_dual_add_nc_u32 v151, -1, v151
	v_add_nc_u32_e32 v150, 8, v150
	s_add_i32 s5, s5, 8
	ds_load_b64 v[154:155], v154
	v_cmp_eq_u32_e32 vcc_lo, 0, v151
	s_or_b32 s1, vcc_lo, s1
	s_waitcnt vmcnt(0) lgkmcnt(0)
	v_fma_f64 v[121:122], v[152:153], v[154:155], v[121:122]
	s_and_not1_b32 exec_lo, exec_lo, s1
	s_cbranch_execnz .LBB123_105
; %bb.106:
	s_or_b32 exec_lo, exec_lo, s1
.LBB123_107:
	s_delay_alu instid0(SALU_CYCLE_1)
	s_or_b32 exec_lo, exec_lo, s4
	v_mov_b32_e32 v150, 0
	ds_load_b64 v[150:151], v150 offset:384
	s_waitcnt lgkmcnt(0)
	v_mul_f64 v[121:122], v[121:122], v[150:151]
	scratch_store_b64 off, v[121:122], off offset:384
.LBB123_108:
	s_or_b32 exec_lo, exec_lo, s3
	scratch_load_b64 v[121:122], off, off offset:376
	v_cmp_lt_u32_e64 s1, 47, v0
	s_waitcnt vmcnt(0)
	ds_store_b64 v124, v[121:122]
	s_waitcnt lgkmcnt(0)
	s_waitcnt_vscnt null, 0x0
	s_barrier
	buffer_gl0_inv
	s_and_saveexec_b32 s3, s1
	s_cbranch_execz .LBB123_118
; %bb.109:
	s_and_not1_b32 vcc_lo, exec_lo, s2
	s_cbranch_vccnz .LBB123_111
; %bb.110:
	scratch_load_b64 v[121:122], v125, off
	ds_load_b64 v[150:151], v124
	s_waitcnt vmcnt(0) lgkmcnt(0)
	v_mul_f64 v[121:122], v[121:122], v[150:151]
	s_cbranch_execz .LBB123_112
	s_branch .LBB123_113
.LBB123_111:
                                        ; implicit-def: $vgpr121_vgpr122
.LBB123_112:
	ds_load_b64 v[121:122], v124
.LBB123_113:
	s_and_saveexec_b32 s4, s0
	s_cbranch_execz .LBB123_117
; %bb.114:
	v_subrev_nc_u32_e32 v150, 48, v0
	s_movk_i32 s5, 0x360
	s_mov_b32 s0, 0
.LBB123_115:                            ; =>This Inner Loop Header: Depth=1
	scratch_load_b64 v[151:152], v149, off
	v_dual_mov_b32 v153, s5 :: v_dual_add_nc_u32 v150, -1, v150
	v_add_nc_u32_e32 v149, 8, v149
	s_add_i32 s5, s5, 8
	ds_load_b64 v[153:154], v153
	v_cmp_eq_u32_e32 vcc_lo, 0, v150
	s_or_b32 s0, vcc_lo, s0
	s_waitcnt vmcnt(0) lgkmcnt(0)
	v_fma_f64 v[121:122], v[151:152], v[153:154], v[121:122]
	s_and_not1_b32 exec_lo, exec_lo, s0
	s_cbranch_execnz .LBB123_115
; %bb.116:
	s_or_b32 exec_lo, exec_lo, s0
.LBB123_117:
	s_delay_alu instid0(SALU_CYCLE_1)
	s_or_b32 exec_lo, exec_lo, s4
	v_mov_b32_e32 v149, 0
	ds_load_b64 v[149:150], v149 offset:376
	s_waitcnt lgkmcnt(0)
	v_mul_f64 v[121:122], v[121:122], v[149:150]
	scratch_store_b64 off, v[121:122], off offset:376
.LBB123_118:
	s_or_b32 exec_lo, exec_lo, s3
	scratch_load_b64 v[121:122], off, off offset:368
	v_cmp_lt_u32_e64 s0, 46, v0
	s_waitcnt vmcnt(0)
	ds_store_b64 v124, v[121:122]
	s_waitcnt lgkmcnt(0)
	s_waitcnt_vscnt null, 0x0
	s_barrier
	buffer_gl0_inv
	s_and_saveexec_b32 s3, s0
	s_cbranch_execz .LBB123_128
; %bb.119:
	s_and_not1_b32 vcc_lo, exec_lo, s2
	s_cbranch_vccnz .LBB123_121
; %bb.120:
	scratch_load_b64 v[121:122], v125, off
	ds_load_b64 v[149:150], v124
	s_waitcnt vmcnt(0) lgkmcnt(0)
	v_mul_f64 v[121:122], v[121:122], v[149:150]
	s_cbranch_execz .LBB123_122
	s_branch .LBB123_123
.LBB123_121:
                                        ; implicit-def: $vgpr121_vgpr122
.LBB123_122:
	ds_load_b64 v[121:122], v124
.LBB123_123:
	s_and_saveexec_b32 s4, s1
	s_cbranch_execz .LBB123_127
; %bb.124:
	v_mov_b32_e32 v149, 0
	v_subrev_nc_u32_e32 v150, 47, v0
	s_movk_i32 s5, 0x358
	s_mov_b32 s1, 0
	s_delay_alu instid0(VALU_DEP_2)
	v_add_nc_u32_e32 v149, 0x178, v149
.LBB123_125:                            ; =>This Inner Loop Header: Depth=1
	scratch_load_b64 v[151:152], v149, off
	v_dual_mov_b32 v153, s5 :: v_dual_add_nc_u32 v150, -1, v150
	v_add_nc_u32_e32 v149, 8, v149
	s_add_i32 s5, s5, 8
	ds_load_b64 v[153:154], v153
	v_cmp_eq_u32_e32 vcc_lo, 0, v150
	s_or_b32 s1, vcc_lo, s1
	s_waitcnt vmcnt(0) lgkmcnt(0)
	v_fma_f64 v[121:122], v[151:152], v[153:154], v[121:122]
	s_and_not1_b32 exec_lo, exec_lo, s1
	s_cbranch_execnz .LBB123_125
; %bb.126:
	s_or_b32 exec_lo, exec_lo, s1
.LBB123_127:
	s_delay_alu instid0(SALU_CYCLE_1)
	s_or_b32 exec_lo, exec_lo, s4
	v_mov_b32_e32 v149, 0
	ds_load_b64 v[149:150], v149 offset:368
	s_waitcnt lgkmcnt(0)
	v_mul_f64 v[121:122], v[121:122], v[149:150]
	scratch_store_b64 off, v[121:122], off offset:368
.LBB123_128:
	s_or_b32 exec_lo, exec_lo, s3
	scratch_load_b64 v[121:122], off, off offset:360
	v_cmp_lt_u32_e64 s1, 45, v0
	s_waitcnt vmcnt(0)
	ds_store_b64 v124, v[121:122]
	s_waitcnt lgkmcnt(0)
	s_waitcnt_vscnt null, 0x0
	s_barrier
	buffer_gl0_inv
	s_and_saveexec_b32 s3, s1
	s_cbranch_execz .LBB123_138
; %bb.129:
	s_and_not1_b32 vcc_lo, exec_lo, s2
	s_cbranch_vccnz .LBB123_131
; %bb.130:
	scratch_load_b64 v[121:122], v125, off
	ds_load_b64 v[149:150], v124
	s_waitcnt vmcnt(0) lgkmcnt(0)
	v_mul_f64 v[121:122], v[121:122], v[149:150]
	s_cbranch_execz .LBB123_132
	s_branch .LBB123_133
.LBB123_131:
                                        ; implicit-def: $vgpr121_vgpr122
.LBB123_132:
	ds_load_b64 v[121:122], v124
.LBB123_133:
	s_and_saveexec_b32 s4, s0
	s_cbranch_execz .LBB123_137
; %bb.134:
	v_subrev_nc_u32_e32 v149, 46, v0
	s_movk_i32 s5, 0x350
	s_mov_b32 s0, 0
.LBB123_135:                            ; =>This Inner Loop Header: Depth=1
	scratch_load_b64 v[150:151], v148, off
	v_dual_mov_b32 v152, s5 :: v_dual_add_nc_u32 v149, -1, v149
	v_add_nc_u32_e32 v148, 8, v148
	s_add_i32 s5, s5, 8
	ds_load_b64 v[152:153], v152
	v_cmp_eq_u32_e32 vcc_lo, 0, v149
	s_or_b32 s0, vcc_lo, s0
	s_waitcnt vmcnt(0) lgkmcnt(0)
	v_fma_f64 v[121:122], v[150:151], v[152:153], v[121:122]
	s_and_not1_b32 exec_lo, exec_lo, s0
	s_cbranch_execnz .LBB123_135
; %bb.136:
	s_or_b32 exec_lo, exec_lo, s0
.LBB123_137:
	s_delay_alu instid0(SALU_CYCLE_1)
	s_or_b32 exec_lo, exec_lo, s4
	v_mov_b32_e32 v148, 0
	ds_load_b64 v[148:149], v148 offset:360
	s_waitcnt lgkmcnt(0)
	v_mul_f64 v[121:122], v[121:122], v[148:149]
	scratch_store_b64 off, v[121:122], off offset:360
.LBB123_138:
	s_or_b32 exec_lo, exec_lo, s3
	scratch_load_b64 v[121:122], off, off offset:352
	v_cmp_lt_u32_e64 s0, 44, v0
	s_waitcnt vmcnt(0)
	ds_store_b64 v124, v[121:122]
	s_waitcnt lgkmcnt(0)
	s_waitcnt_vscnt null, 0x0
	s_barrier
	buffer_gl0_inv
	s_and_saveexec_b32 s3, s0
	s_cbranch_execz .LBB123_148
; %bb.139:
	s_and_not1_b32 vcc_lo, exec_lo, s2
	s_cbranch_vccnz .LBB123_141
; %bb.140:
	scratch_load_b64 v[121:122], v125, off
	ds_load_b64 v[148:149], v124
	s_waitcnt vmcnt(0) lgkmcnt(0)
	v_mul_f64 v[121:122], v[121:122], v[148:149]
	s_cbranch_execz .LBB123_142
	s_branch .LBB123_143
.LBB123_141:
                                        ; implicit-def: $vgpr121_vgpr122
.LBB123_142:
	ds_load_b64 v[121:122], v124
.LBB123_143:
	s_and_saveexec_b32 s4, s1
	s_cbranch_execz .LBB123_147
; %bb.144:
	v_mov_b32_e32 v148, 0
	v_subrev_nc_u32_e32 v149, 45, v0
	s_movk_i32 s5, 0x348
	s_mov_b32 s1, 0
	s_delay_alu instid0(VALU_DEP_2)
	v_add_nc_u32_e32 v148, 0x168, v148
.LBB123_145:                            ; =>This Inner Loop Header: Depth=1
	scratch_load_b64 v[150:151], v148, off
	v_dual_mov_b32 v152, s5 :: v_dual_add_nc_u32 v149, -1, v149
	v_add_nc_u32_e32 v148, 8, v148
	s_add_i32 s5, s5, 8
	ds_load_b64 v[152:153], v152
	v_cmp_eq_u32_e32 vcc_lo, 0, v149
	s_or_b32 s1, vcc_lo, s1
	s_waitcnt vmcnt(0) lgkmcnt(0)
	v_fma_f64 v[121:122], v[150:151], v[152:153], v[121:122]
	s_and_not1_b32 exec_lo, exec_lo, s1
	s_cbranch_execnz .LBB123_145
; %bb.146:
	s_or_b32 exec_lo, exec_lo, s1
.LBB123_147:
	s_delay_alu instid0(SALU_CYCLE_1)
	s_or_b32 exec_lo, exec_lo, s4
	v_mov_b32_e32 v148, 0
	ds_load_b64 v[148:149], v148 offset:352
	s_waitcnt lgkmcnt(0)
	v_mul_f64 v[121:122], v[121:122], v[148:149]
	scratch_store_b64 off, v[121:122], off offset:352
.LBB123_148:
	s_or_b32 exec_lo, exec_lo, s3
	scratch_load_b64 v[121:122], off, off offset:344
	v_cmp_lt_u32_e64 s1, 43, v0
	s_waitcnt vmcnt(0)
	ds_store_b64 v124, v[121:122]
	s_waitcnt lgkmcnt(0)
	s_waitcnt_vscnt null, 0x0
	s_barrier
	buffer_gl0_inv
	s_and_saveexec_b32 s3, s1
	s_cbranch_execz .LBB123_158
; %bb.149:
	s_and_not1_b32 vcc_lo, exec_lo, s2
	s_cbranch_vccnz .LBB123_151
; %bb.150:
	scratch_load_b64 v[121:122], v125, off
	ds_load_b64 v[148:149], v124
	s_waitcnt vmcnt(0) lgkmcnt(0)
	v_mul_f64 v[121:122], v[121:122], v[148:149]
	s_cbranch_execz .LBB123_152
	s_branch .LBB123_153
.LBB123_151:
                                        ; implicit-def: $vgpr121_vgpr122
.LBB123_152:
	ds_load_b64 v[121:122], v124
.LBB123_153:
	s_and_saveexec_b32 s4, s0
	s_cbranch_execz .LBB123_157
; %bb.154:
	v_subrev_nc_u32_e32 v148, 44, v0
	s_movk_i32 s5, 0x340
	s_mov_b32 s0, 0
.LBB123_155:                            ; =>This Inner Loop Header: Depth=1
	scratch_load_b64 v[149:150], v147, off
	v_dual_mov_b32 v151, s5 :: v_dual_add_nc_u32 v148, -1, v148
	v_add_nc_u32_e32 v147, 8, v147
	s_add_i32 s5, s5, 8
	ds_load_b64 v[151:152], v151
	v_cmp_eq_u32_e32 vcc_lo, 0, v148
	s_or_b32 s0, vcc_lo, s0
	s_waitcnt vmcnt(0) lgkmcnt(0)
	v_fma_f64 v[121:122], v[149:150], v[151:152], v[121:122]
	s_and_not1_b32 exec_lo, exec_lo, s0
	s_cbranch_execnz .LBB123_155
; %bb.156:
	s_or_b32 exec_lo, exec_lo, s0
.LBB123_157:
	s_delay_alu instid0(SALU_CYCLE_1)
	s_or_b32 exec_lo, exec_lo, s4
	v_mov_b32_e32 v147, 0
	ds_load_b64 v[147:148], v147 offset:344
	s_waitcnt lgkmcnt(0)
	v_mul_f64 v[121:122], v[121:122], v[147:148]
	scratch_store_b64 off, v[121:122], off offset:344
.LBB123_158:
	s_or_b32 exec_lo, exec_lo, s3
	scratch_load_b64 v[121:122], off, off offset:336
	v_cmp_lt_u32_e64 s0, 42, v0
	s_waitcnt vmcnt(0)
	ds_store_b64 v124, v[121:122]
	s_waitcnt lgkmcnt(0)
	s_waitcnt_vscnt null, 0x0
	s_barrier
	buffer_gl0_inv
	s_and_saveexec_b32 s3, s0
	s_cbranch_execz .LBB123_168
; %bb.159:
	s_and_not1_b32 vcc_lo, exec_lo, s2
	s_cbranch_vccnz .LBB123_161
; %bb.160:
	scratch_load_b64 v[121:122], v125, off
	ds_load_b64 v[147:148], v124
	s_waitcnt vmcnt(0) lgkmcnt(0)
	v_mul_f64 v[121:122], v[121:122], v[147:148]
	s_cbranch_execz .LBB123_162
	s_branch .LBB123_163
.LBB123_161:
                                        ; implicit-def: $vgpr121_vgpr122
.LBB123_162:
	ds_load_b64 v[121:122], v124
.LBB123_163:
	s_and_saveexec_b32 s4, s1
	s_cbranch_execz .LBB123_167
; %bb.164:
	v_mov_b32_e32 v147, 0
	v_subrev_nc_u32_e32 v148, 43, v0
	s_movk_i32 s5, 0x338
	s_mov_b32 s1, 0
	s_delay_alu instid0(VALU_DEP_2)
	v_add_nc_u32_e32 v147, 0x158, v147
.LBB123_165:                            ; =>This Inner Loop Header: Depth=1
	scratch_load_b64 v[149:150], v147, off
	v_dual_mov_b32 v151, s5 :: v_dual_add_nc_u32 v148, -1, v148
	v_add_nc_u32_e32 v147, 8, v147
	s_add_i32 s5, s5, 8
	ds_load_b64 v[151:152], v151
	v_cmp_eq_u32_e32 vcc_lo, 0, v148
	s_or_b32 s1, vcc_lo, s1
	s_waitcnt vmcnt(0) lgkmcnt(0)
	v_fma_f64 v[121:122], v[149:150], v[151:152], v[121:122]
	s_and_not1_b32 exec_lo, exec_lo, s1
	s_cbranch_execnz .LBB123_165
; %bb.166:
	s_or_b32 exec_lo, exec_lo, s1
.LBB123_167:
	s_delay_alu instid0(SALU_CYCLE_1)
	s_or_b32 exec_lo, exec_lo, s4
	v_mov_b32_e32 v147, 0
	ds_load_b64 v[147:148], v147 offset:336
	s_waitcnt lgkmcnt(0)
	v_mul_f64 v[121:122], v[121:122], v[147:148]
	scratch_store_b64 off, v[121:122], off offset:336
.LBB123_168:
	s_or_b32 exec_lo, exec_lo, s3
	scratch_load_b64 v[121:122], off, off offset:328
	v_cmp_lt_u32_e64 s1, 41, v0
	s_waitcnt vmcnt(0)
	ds_store_b64 v124, v[121:122]
	s_waitcnt lgkmcnt(0)
	s_waitcnt_vscnt null, 0x0
	s_barrier
	buffer_gl0_inv
	s_and_saveexec_b32 s3, s1
	s_cbranch_execz .LBB123_178
; %bb.169:
	s_and_not1_b32 vcc_lo, exec_lo, s2
	s_cbranch_vccnz .LBB123_171
; %bb.170:
	scratch_load_b64 v[121:122], v125, off
	ds_load_b64 v[147:148], v124
	s_waitcnt vmcnt(0) lgkmcnt(0)
	v_mul_f64 v[121:122], v[121:122], v[147:148]
	s_cbranch_execz .LBB123_172
	s_branch .LBB123_173
.LBB123_171:
                                        ; implicit-def: $vgpr121_vgpr122
.LBB123_172:
	ds_load_b64 v[121:122], v124
.LBB123_173:
	s_and_saveexec_b32 s4, s0
	s_cbranch_execz .LBB123_177
; %bb.174:
	v_subrev_nc_u32_e32 v147, 42, v0
	s_movk_i32 s5, 0x330
	s_mov_b32 s0, 0
.LBB123_175:                            ; =>This Inner Loop Header: Depth=1
	scratch_load_b64 v[148:149], v146, off
	v_dual_mov_b32 v150, s5 :: v_dual_add_nc_u32 v147, -1, v147
	v_add_nc_u32_e32 v146, 8, v146
	s_add_i32 s5, s5, 8
	ds_load_b64 v[150:151], v150
	v_cmp_eq_u32_e32 vcc_lo, 0, v147
	s_or_b32 s0, vcc_lo, s0
	s_waitcnt vmcnt(0) lgkmcnt(0)
	v_fma_f64 v[121:122], v[148:149], v[150:151], v[121:122]
	s_and_not1_b32 exec_lo, exec_lo, s0
	s_cbranch_execnz .LBB123_175
; %bb.176:
	s_or_b32 exec_lo, exec_lo, s0
.LBB123_177:
	s_delay_alu instid0(SALU_CYCLE_1)
	s_or_b32 exec_lo, exec_lo, s4
	v_mov_b32_e32 v146, 0
	ds_load_b64 v[146:147], v146 offset:328
	s_waitcnt lgkmcnt(0)
	v_mul_f64 v[121:122], v[121:122], v[146:147]
	scratch_store_b64 off, v[121:122], off offset:328
.LBB123_178:
	s_or_b32 exec_lo, exec_lo, s3
	scratch_load_b64 v[121:122], off, off offset:320
	v_cmp_lt_u32_e64 s0, 40, v0
	s_waitcnt vmcnt(0)
	ds_store_b64 v124, v[121:122]
	s_waitcnt lgkmcnt(0)
	s_waitcnt_vscnt null, 0x0
	s_barrier
	buffer_gl0_inv
	s_and_saveexec_b32 s3, s0
	s_cbranch_execz .LBB123_188
; %bb.179:
	s_and_not1_b32 vcc_lo, exec_lo, s2
	s_cbranch_vccnz .LBB123_181
; %bb.180:
	scratch_load_b64 v[121:122], v125, off
	ds_load_b64 v[146:147], v124
	s_waitcnt vmcnt(0) lgkmcnt(0)
	v_mul_f64 v[121:122], v[121:122], v[146:147]
	s_cbranch_execz .LBB123_182
	s_branch .LBB123_183
.LBB123_181:
                                        ; implicit-def: $vgpr121_vgpr122
.LBB123_182:
	ds_load_b64 v[121:122], v124
.LBB123_183:
	s_and_saveexec_b32 s4, s1
	s_cbranch_execz .LBB123_187
; %bb.184:
	v_mov_b32_e32 v146, 0
	v_subrev_nc_u32_e32 v147, 41, v0
	s_movk_i32 s5, 0x328
	s_mov_b32 s1, 0
	s_delay_alu instid0(VALU_DEP_2)
	v_add_nc_u32_e32 v146, 0x148, v146
.LBB123_185:                            ; =>This Inner Loop Header: Depth=1
	scratch_load_b64 v[148:149], v146, off
	v_dual_mov_b32 v150, s5 :: v_dual_add_nc_u32 v147, -1, v147
	v_add_nc_u32_e32 v146, 8, v146
	s_add_i32 s5, s5, 8
	ds_load_b64 v[150:151], v150
	v_cmp_eq_u32_e32 vcc_lo, 0, v147
	s_or_b32 s1, vcc_lo, s1
	s_waitcnt vmcnt(0) lgkmcnt(0)
	v_fma_f64 v[121:122], v[148:149], v[150:151], v[121:122]
	s_and_not1_b32 exec_lo, exec_lo, s1
	s_cbranch_execnz .LBB123_185
; %bb.186:
	s_or_b32 exec_lo, exec_lo, s1
.LBB123_187:
	s_delay_alu instid0(SALU_CYCLE_1)
	s_or_b32 exec_lo, exec_lo, s4
	v_mov_b32_e32 v146, 0
	ds_load_b64 v[146:147], v146 offset:320
	s_waitcnt lgkmcnt(0)
	v_mul_f64 v[121:122], v[121:122], v[146:147]
	scratch_store_b64 off, v[121:122], off offset:320
.LBB123_188:
	s_or_b32 exec_lo, exec_lo, s3
	scratch_load_b64 v[121:122], off, off offset:312
	v_cmp_lt_u32_e64 s1, 39, v0
	s_waitcnt vmcnt(0)
	ds_store_b64 v124, v[121:122]
	s_waitcnt lgkmcnt(0)
	s_waitcnt_vscnt null, 0x0
	s_barrier
	buffer_gl0_inv
	s_and_saveexec_b32 s3, s1
	s_cbranch_execz .LBB123_198
; %bb.189:
	s_and_not1_b32 vcc_lo, exec_lo, s2
	s_cbranch_vccnz .LBB123_191
; %bb.190:
	scratch_load_b64 v[121:122], v125, off
	ds_load_b64 v[146:147], v124
	s_waitcnt vmcnt(0) lgkmcnt(0)
	v_mul_f64 v[121:122], v[121:122], v[146:147]
	s_cbranch_execz .LBB123_192
	s_branch .LBB123_193
.LBB123_191:
                                        ; implicit-def: $vgpr121_vgpr122
.LBB123_192:
	ds_load_b64 v[121:122], v124
.LBB123_193:
	s_and_saveexec_b32 s4, s0
	s_cbranch_execz .LBB123_197
; %bb.194:
	v_subrev_nc_u32_e32 v146, 40, v0
	s_movk_i32 s5, 0x320
	s_mov_b32 s0, 0
.LBB123_195:                            ; =>This Inner Loop Header: Depth=1
	scratch_load_b64 v[147:148], v145, off
	v_dual_mov_b32 v149, s5 :: v_dual_add_nc_u32 v146, -1, v146
	v_add_nc_u32_e32 v145, 8, v145
	s_add_i32 s5, s5, 8
	ds_load_b64 v[149:150], v149
	v_cmp_eq_u32_e32 vcc_lo, 0, v146
	s_or_b32 s0, vcc_lo, s0
	s_waitcnt vmcnt(0) lgkmcnt(0)
	v_fma_f64 v[121:122], v[147:148], v[149:150], v[121:122]
	s_and_not1_b32 exec_lo, exec_lo, s0
	s_cbranch_execnz .LBB123_195
; %bb.196:
	s_or_b32 exec_lo, exec_lo, s0
.LBB123_197:
	s_delay_alu instid0(SALU_CYCLE_1)
	s_or_b32 exec_lo, exec_lo, s4
	v_mov_b32_e32 v145, 0
	ds_load_b64 v[145:146], v145 offset:312
	s_waitcnt lgkmcnt(0)
	v_mul_f64 v[121:122], v[121:122], v[145:146]
	scratch_store_b64 off, v[121:122], off offset:312
.LBB123_198:
	s_or_b32 exec_lo, exec_lo, s3
	scratch_load_b64 v[121:122], off, off offset:304
	v_cmp_lt_u32_e64 s0, 38, v0
	s_waitcnt vmcnt(0)
	ds_store_b64 v124, v[121:122]
	s_waitcnt lgkmcnt(0)
	s_waitcnt_vscnt null, 0x0
	s_barrier
	buffer_gl0_inv
	s_and_saveexec_b32 s3, s0
	s_cbranch_execz .LBB123_208
; %bb.199:
	s_and_not1_b32 vcc_lo, exec_lo, s2
	s_cbranch_vccnz .LBB123_201
; %bb.200:
	scratch_load_b64 v[121:122], v125, off
	ds_load_b64 v[145:146], v124
	s_waitcnt vmcnt(0) lgkmcnt(0)
	v_mul_f64 v[121:122], v[121:122], v[145:146]
	s_cbranch_execz .LBB123_202
	s_branch .LBB123_203
.LBB123_201:
                                        ; implicit-def: $vgpr121_vgpr122
.LBB123_202:
	ds_load_b64 v[121:122], v124
.LBB123_203:
	s_and_saveexec_b32 s4, s1
	s_cbranch_execz .LBB123_207
; %bb.204:
	v_mov_b32_e32 v145, 0
	v_subrev_nc_u32_e32 v146, 39, v0
	s_movk_i32 s5, 0x318
	s_mov_b32 s1, 0
	s_delay_alu instid0(VALU_DEP_2)
	v_add_nc_u32_e32 v145, 0x138, v145
.LBB123_205:                            ; =>This Inner Loop Header: Depth=1
	scratch_load_b64 v[147:148], v145, off
	v_dual_mov_b32 v149, s5 :: v_dual_add_nc_u32 v146, -1, v146
	v_add_nc_u32_e32 v145, 8, v145
	s_add_i32 s5, s5, 8
	ds_load_b64 v[149:150], v149
	v_cmp_eq_u32_e32 vcc_lo, 0, v146
	s_or_b32 s1, vcc_lo, s1
	s_waitcnt vmcnt(0) lgkmcnt(0)
	v_fma_f64 v[121:122], v[147:148], v[149:150], v[121:122]
	s_and_not1_b32 exec_lo, exec_lo, s1
	s_cbranch_execnz .LBB123_205
; %bb.206:
	s_or_b32 exec_lo, exec_lo, s1
.LBB123_207:
	s_delay_alu instid0(SALU_CYCLE_1)
	s_or_b32 exec_lo, exec_lo, s4
	v_mov_b32_e32 v145, 0
	ds_load_b64 v[145:146], v145 offset:304
	s_waitcnt lgkmcnt(0)
	v_mul_f64 v[121:122], v[121:122], v[145:146]
	scratch_store_b64 off, v[121:122], off offset:304
.LBB123_208:
	s_or_b32 exec_lo, exec_lo, s3
	scratch_load_b64 v[121:122], off, off offset:296
	v_cmp_lt_u32_e64 s1, 37, v0
	s_waitcnt vmcnt(0)
	ds_store_b64 v124, v[121:122]
	s_waitcnt lgkmcnt(0)
	s_waitcnt_vscnt null, 0x0
	s_barrier
	buffer_gl0_inv
	s_and_saveexec_b32 s3, s1
	s_cbranch_execz .LBB123_218
; %bb.209:
	s_and_not1_b32 vcc_lo, exec_lo, s2
	s_cbranch_vccnz .LBB123_211
; %bb.210:
	scratch_load_b64 v[121:122], v125, off
	ds_load_b64 v[145:146], v124
	s_waitcnt vmcnt(0) lgkmcnt(0)
	v_mul_f64 v[121:122], v[121:122], v[145:146]
	s_cbranch_execz .LBB123_212
	s_branch .LBB123_213
.LBB123_211:
                                        ; implicit-def: $vgpr121_vgpr122
.LBB123_212:
	ds_load_b64 v[121:122], v124
.LBB123_213:
	s_and_saveexec_b32 s4, s0
	s_cbranch_execz .LBB123_217
; %bb.214:
	v_subrev_nc_u32_e32 v145, 38, v0
	s_movk_i32 s5, 0x310
	s_mov_b32 s0, 0
.LBB123_215:                            ; =>This Inner Loop Header: Depth=1
	scratch_load_b64 v[146:147], v144, off
	v_dual_mov_b32 v148, s5 :: v_dual_add_nc_u32 v145, -1, v145
	v_add_nc_u32_e32 v144, 8, v144
	s_add_i32 s5, s5, 8
	ds_load_b64 v[148:149], v148
	v_cmp_eq_u32_e32 vcc_lo, 0, v145
	s_or_b32 s0, vcc_lo, s0
	s_waitcnt vmcnt(0) lgkmcnt(0)
	v_fma_f64 v[121:122], v[146:147], v[148:149], v[121:122]
	s_and_not1_b32 exec_lo, exec_lo, s0
	s_cbranch_execnz .LBB123_215
; %bb.216:
	s_or_b32 exec_lo, exec_lo, s0
.LBB123_217:
	s_delay_alu instid0(SALU_CYCLE_1)
	s_or_b32 exec_lo, exec_lo, s4
	v_mov_b32_e32 v144, 0
	ds_load_b64 v[144:145], v144 offset:296
	s_waitcnt lgkmcnt(0)
	v_mul_f64 v[121:122], v[121:122], v[144:145]
	scratch_store_b64 off, v[121:122], off offset:296
.LBB123_218:
	s_or_b32 exec_lo, exec_lo, s3
	scratch_load_b64 v[121:122], off, off offset:288
	v_cmp_lt_u32_e64 s0, 36, v0
	s_waitcnt vmcnt(0)
	ds_store_b64 v124, v[121:122]
	s_waitcnt lgkmcnt(0)
	s_waitcnt_vscnt null, 0x0
	s_barrier
	buffer_gl0_inv
	s_and_saveexec_b32 s3, s0
	s_cbranch_execz .LBB123_228
; %bb.219:
	s_and_not1_b32 vcc_lo, exec_lo, s2
	s_cbranch_vccnz .LBB123_221
; %bb.220:
	scratch_load_b64 v[121:122], v125, off
	ds_load_b64 v[144:145], v124
	s_waitcnt vmcnt(0) lgkmcnt(0)
	v_mul_f64 v[121:122], v[121:122], v[144:145]
	s_cbranch_execz .LBB123_222
	s_branch .LBB123_223
.LBB123_221:
                                        ; implicit-def: $vgpr121_vgpr122
.LBB123_222:
	ds_load_b64 v[121:122], v124
.LBB123_223:
	s_and_saveexec_b32 s4, s1
	s_cbranch_execz .LBB123_227
; %bb.224:
	v_mov_b32_e32 v144, 0
	v_subrev_nc_u32_e32 v145, 37, v0
	s_movk_i32 s5, 0x308
	s_mov_b32 s1, 0
	s_delay_alu instid0(VALU_DEP_2)
	v_add_nc_u32_e32 v144, 0x128, v144
.LBB123_225:                            ; =>This Inner Loop Header: Depth=1
	scratch_load_b64 v[146:147], v144, off
	v_dual_mov_b32 v148, s5 :: v_dual_add_nc_u32 v145, -1, v145
	v_add_nc_u32_e32 v144, 8, v144
	s_add_i32 s5, s5, 8
	ds_load_b64 v[148:149], v148
	v_cmp_eq_u32_e32 vcc_lo, 0, v145
	s_or_b32 s1, vcc_lo, s1
	s_waitcnt vmcnt(0) lgkmcnt(0)
	v_fma_f64 v[121:122], v[146:147], v[148:149], v[121:122]
	s_and_not1_b32 exec_lo, exec_lo, s1
	s_cbranch_execnz .LBB123_225
; %bb.226:
	s_or_b32 exec_lo, exec_lo, s1
.LBB123_227:
	s_delay_alu instid0(SALU_CYCLE_1)
	s_or_b32 exec_lo, exec_lo, s4
	v_mov_b32_e32 v144, 0
	ds_load_b64 v[144:145], v144 offset:288
	s_waitcnt lgkmcnt(0)
	v_mul_f64 v[121:122], v[121:122], v[144:145]
	scratch_store_b64 off, v[121:122], off offset:288
.LBB123_228:
	s_or_b32 exec_lo, exec_lo, s3
	scratch_load_b64 v[121:122], off, off offset:280
	v_cmp_lt_u32_e64 s1, 35, v0
	s_waitcnt vmcnt(0)
	ds_store_b64 v124, v[121:122]
	s_waitcnt lgkmcnt(0)
	s_waitcnt_vscnt null, 0x0
	s_barrier
	buffer_gl0_inv
	s_and_saveexec_b32 s3, s1
	s_cbranch_execz .LBB123_238
; %bb.229:
	s_and_not1_b32 vcc_lo, exec_lo, s2
	s_cbranch_vccnz .LBB123_231
; %bb.230:
	scratch_load_b64 v[121:122], v125, off
	ds_load_b64 v[144:145], v124
	s_waitcnt vmcnt(0) lgkmcnt(0)
	v_mul_f64 v[121:122], v[121:122], v[144:145]
	s_cbranch_execz .LBB123_232
	s_branch .LBB123_233
.LBB123_231:
                                        ; implicit-def: $vgpr121_vgpr122
.LBB123_232:
	ds_load_b64 v[121:122], v124
.LBB123_233:
	s_and_saveexec_b32 s4, s0
	s_cbranch_execz .LBB123_237
; %bb.234:
	v_subrev_nc_u32_e32 v144, 36, v0
	s_movk_i32 s5, 0x300
	s_mov_b32 s0, 0
.LBB123_235:                            ; =>This Inner Loop Header: Depth=1
	scratch_load_b64 v[145:146], v143, off
	v_dual_mov_b32 v147, s5 :: v_dual_add_nc_u32 v144, -1, v144
	v_add_nc_u32_e32 v143, 8, v143
	s_add_i32 s5, s5, 8
	ds_load_b64 v[147:148], v147
	v_cmp_eq_u32_e32 vcc_lo, 0, v144
	s_or_b32 s0, vcc_lo, s0
	s_waitcnt vmcnt(0) lgkmcnt(0)
	v_fma_f64 v[121:122], v[145:146], v[147:148], v[121:122]
	s_and_not1_b32 exec_lo, exec_lo, s0
	s_cbranch_execnz .LBB123_235
; %bb.236:
	s_or_b32 exec_lo, exec_lo, s0
.LBB123_237:
	s_delay_alu instid0(SALU_CYCLE_1)
	s_or_b32 exec_lo, exec_lo, s4
	v_mov_b32_e32 v143, 0
	ds_load_b64 v[143:144], v143 offset:280
	s_waitcnt lgkmcnt(0)
	v_mul_f64 v[121:122], v[121:122], v[143:144]
	scratch_store_b64 off, v[121:122], off offset:280
.LBB123_238:
	s_or_b32 exec_lo, exec_lo, s3
	scratch_load_b64 v[121:122], off, off offset:272
	v_cmp_lt_u32_e64 s0, 34, v0
	s_waitcnt vmcnt(0)
	ds_store_b64 v124, v[121:122]
	s_waitcnt lgkmcnt(0)
	s_waitcnt_vscnt null, 0x0
	s_barrier
	buffer_gl0_inv
	s_and_saveexec_b32 s3, s0
	s_cbranch_execz .LBB123_248
; %bb.239:
	s_and_not1_b32 vcc_lo, exec_lo, s2
	s_cbranch_vccnz .LBB123_241
; %bb.240:
	scratch_load_b64 v[121:122], v125, off
	ds_load_b64 v[143:144], v124
	s_waitcnt vmcnt(0) lgkmcnt(0)
	v_mul_f64 v[121:122], v[121:122], v[143:144]
	s_cbranch_execz .LBB123_242
	s_branch .LBB123_243
.LBB123_241:
                                        ; implicit-def: $vgpr121_vgpr122
.LBB123_242:
	ds_load_b64 v[121:122], v124
.LBB123_243:
	s_and_saveexec_b32 s4, s1
	s_cbranch_execz .LBB123_247
; %bb.244:
	v_mov_b32_e32 v143, 0
	v_subrev_nc_u32_e32 v144, 35, v0
	s_movk_i32 s5, 0x2f8
	s_mov_b32 s1, 0
	s_delay_alu instid0(VALU_DEP_2)
	v_add_nc_u32_e32 v143, 0x118, v143
.LBB123_245:                            ; =>This Inner Loop Header: Depth=1
	scratch_load_b64 v[145:146], v143, off
	v_dual_mov_b32 v147, s5 :: v_dual_add_nc_u32 v144, -1, v144
	v_add_nc_u32_e32 v143, 8, v143
	s_add_i32 s5, s5, 8
	ds_load_b64 v[147:148], v147
	v_cmp_eq_u32_e32 vcc_lo, 0, v144
	s_or_b32 s1, vcc_lo, s1
	s_waitcnt vmcnt(0) lgkmcnt(0)
	v_fma_f64 v[121:122], v[145:146], v[147:148], v[121:122]
	s_and_not1_b32 exec_lo, exec_lo, s1
	s_cbranch_execnz .LBB123_245
; %bb.246:
	s_or_b32 exec_lo, exec_lo, s1
.LBB123_247:
	s_delay_alu instid0(SALU_CYCLE_1)
	s_or_b32 exec_lo, exec_lo, s4
	v_mov_b32_e32 v143, 0
	ds_load_b64 v[143:144], v143 offset:272
	s_waitcnt lgkmcnt(0)
	v_mul_f64 v[121:122], v[121:122], v[143:144]
	scratch_store_b64 off, v[121:122], off offset:272
.LBB123_248:
	s_or_b32 exec_lo, exec_lo, s3
	scratch_load_b64 v[121:122], off, off offset:264
	v_cmp_lt_u32_e64 s1, 33, v0
	s_waitcnt vmcnt(0)
	ds_store_b64 v124, v[121:122]
	s_waitcnt lgkmcnt(0)
	s_waitcnt_vscnt null, 0x0
	s_barrier
	buffer_gl0_inv
	s_and_saveexec_b32 s3, s1
	s_cbranch_execz .LBB123_258
; %bb.249:
	s_and_not1_b32 vcc_lo, exec_lo, s2
	s_cbranch_vccnz .LBB123_251
; %bb.250:
	scratch_load_b64 v[121:122], v125, off
	ds_load_b64 v[143:144], v124
	s_waitcnt vmcnt(0) lgkmcnt(0)
	v_mul_f64 v[121:122], v[121:122], v[143:144]
	s_cbranch_execz .LBB123_252
	s_branch .LBB123_253
.LBB123_251:
                                        ; implicit-def: $vgpr121_vgpr122
.LBB123_252:
	ds_load_b64 v[121:122], v124
.LBB123_253:
	s_and_saveexec_b32 s4, s0
	s_cbranch_execz .LBB123_257
; %bb.254:
	v_subrev_nc_u32_e32 v143, 34, v0
	s_movk_i32 s5, 0x2f0
	s_mov_b32 s0, 0
.LBB123_255:                            ; =>This Inner Loop Header: Depth=1
	scratch_load_b64 v[144:145], v142, off
	v_dual_mov_b32 v146, s5 :: v_dual_add_nc_u32 v143, -1, v143
	v_add_nc_u32_e32 v142, 8, v142
	s_add_i32 s5, s5, 8
	ds_load_b64 v[146:147], v146
	v_cmp_eq_u32_e32 vcc_lo, 0, v143
	s_or_b32 s0, vcc_lo, s0
	s_waitcnt vmcnt(0) lgkmcnt(0)
	v_fma_f64 v[121:122], v[144:145], v[146:147], v[121:122]
	s_and_not1_b32 exec_lo, exec_lo, s0
	s_cbranch_execnz .LBB123_255
; %bb.256:
	s_or_b32 exec_lo, exec_lo, s0
.LBB123_257:
	s_delay_alu instid0(SALU_CYCLE_1)
	s_or_b32 exec_lo, exec_lo, s4
	v_mov_b32_e32 v142, 0
	ds_load_b64 v[142:143], v142 offset:264
	s_waitcnt lgkmcnt(0)
	v_mul_f64 v[121:122], v[121:122], v[142:143]
	scratch_store_b64 off, v[121:122], off offset:264
.LBB123_258:
	s_or_b32 exec_lo, exec_lo, s3
	scratch_load_b64 v[121:122], off, off offset:256
	v_cmp_lt_u32_e64 s0, 32, v0
	s_waitcnt vmcnt(0)
	ds_store_b64 v124, v[121:122]
	s_waitcnt lgkmcnt(0)
	s_waitcnt_vscnt null, 0x0
	s_barrier
	buffer_gl0_inv
	s_and_saveexec_b32 s3, s0
	s_cbranch_execz .LBB123_268
; %bb.259:
	s_and_not1_b32 vcc_lo, exec_lo, s2
	s_cbranch_vccnz .LBB123_261
; %bb.260:
	scratch_load_b64 v[121:122], v125, off
	ds_load_b64 v[142:143], v124
	s_waitcnt vmcnt(0) lgkmcnt(0)
	v_mul_f64 v[121:122], v[121:122], v[142:143]
	s_cbranch_execz .LBB123_262
	s_branch .LBB123_263
.LBB123_261:
                                        ; implicit-def: $vgpr121_vgpr122
.LBB123_262:
	ds_load_b64 v[121:122], v124
.LBB123_263:
	s_and_saveexec_b32 s4, s1
	s_cbranch_execz .LBB123_267
; %bb.264:
	v_mov_b32_e32 v142, 0
	v_subrev_nc_u32_e32 v143, 33, v0
	s_movk_i32 s5, 0x2e8
	s_mov_b32 s1, 0
	s_delay_alu instid0(VALU_DEP_2)
	v_add_nc_u32_e32 v142, 0x108, v142
.LBB123_265:                            ; =>This Inner Loop Header: Depth=1
	scratch_load_b64 v[144:145], v142, off
	v_dual_mov_b32 v146, s5 :: v_dual_add_nc_u32 v143, -1, v143
	v_add_nc_u32_e32 v142, 8, v142
	s_add_i32 s5, s5, 8
	ds_load_b64 v[146:147], v146
	v_cmp_eq_u32_e32 vcc_lo, 0, v143
	s_or_b32 s1, vcc_lo, s1
	s_waitcnt vmcnt(0) lgkmcnt(0)
	v_fma_f64 v[121:122], v[144:145], v[146:147], v[121:122]
	s_and_not1_b32 exec_lo, exec_lo, s1
	s_cbranch_execnz .LBB123_265
; %bb.266:
	s_or_b32 exec_lo, exec_lo, s1
.LBB123_267:
	s_delay_alu instid0(SALU_CYCLE_1)
	s_or_b32 exec_lo, exec_lo, s4
	v_mov_b32_e32 v142, 0
	ds_load_b64 v[142:143], v142 offset:256
	s_waitcnt lgkmcnt(0)
	v_mul_f64 v[121:122], v[121:122], v[142:143]
	scratch_store_b64 off, v[121:122], off offset:256
.LBB123_268:
	s_or_b32 exec_lo, exec_lo, s3
	scratch_load_b64 v[121:122], off, off offset:248
	v_cmp_lt_u32_e64 s1, 31, v0
	s_waitcnt vmcnt(0)
	ds_store_b64 v124, v[121:122]
	s_waitcnt lgkmcnt(0)
	s_waitcnt_vscnt null, 0x0
	s_barrier
	buffer_gl0_inv
	s_and_saveexec_b32 s3, s1
	s_cbranch_execz .LBB123_278
; %bb.269:
	s_and_not1_b32 vcc_lo, exec_lo, s2
	s_cbranch_vccnz .LBB123_271
; %bb.270:
	scratch_load_b64 v[121:122], v125, off
	ds_load_b64 v[142:143], v124
	s_waitcnt vmcnt(0) lgkmcnt(0)
	v_mul_f64 v[121:122], v[121:122], v[142:143]
	s_cbranch_execz .LBB123_272
	s_branch .LBB123_273
.LBB123_271:
                                        ; implicit-def: $vgpr121_vgpr122
.LBB123_272:
	ds_load_b64 v[121:122], v124
.LBB123_273:
	s_and_saveexec_b32 s4, s0
	s_cbranch_execz .LBB123_277
; %bb.274:
	v_subrev_nc_u32_e32 v142, 32, v0
	s_movk_i32 s5, 0x2e0
	s_mov_b32 s0, 0
.LBB123_275:                            ; =>This Inner Loop Header: Depth=1
	scratch_load_b64 v[143:144], v141, off
	v_dual_mov_b32 v145, s5 :: v_dual_add_nc_u32 v142, -1, v142
	v_add_nc_u32_e32 v141, 8, v141
	s_add_i32 s5, s5, 8
	ds_load_b64 v[145:146], v145
	v_cmp_eq_u32_e32 vcc_lo, 0, v142
	s_or_b32 s0, vcc_lo, s0
	s_waitcnt vmcnt(0) lgkmcnt(0)
	v_fma_f64 v[121:122], v[143:144], v[145:146], v[121:122]
	s_and_not1_b32 exec_lo, exec_lo, s0
	s_cbranch_execnz .LBB123_275
; %bb.276:
	s_or_b32 exec_lo, exec_lo, s0
.LBB123_277:
	s_delay_alu instid0(SALU_CYCLE_1)
	s_or_b32 exec_lo, exec_lo, s4
	v_mov_b32_e32 v141, 0
	ds_load_b64 v[141:142], v141 offset:248
	s_waitcnt lgkmcnt(0)
	v_mul_f64 v[121:122], v[121:122], v[141:142]
	scratch_store_b64 off, v[121:122], off offset:248
.LBB123_278:
	s_or_b32 exec_lo, exec_lo, s3
	scratch_load_b64 v[121:122], off, off offset:240
	v_cmp_lt_u32_e64 s0, 30, v0
	s_waitcnt vmcnt(0)
	ds_store_b64 v124, v[121:122]
	s_waitcnt lgkmcnt(0)
	s_waitcnt_vscnt null, 0x0
	s_barrier
	buffer_gl0_inv
	s_and_saveexec_b32 s3, s0
	s_cbranch_execz .LBB123_288
; %bb.279:
	s_and_not1_b32 vcc_lo, exec_lo, s2
	s_cbranch_vccnz .LBB123_281
; %bb.280:
	scratch_load_b64 v[121:122], v125, off
	ds_load_b64 v[141:142], v124
	s_waitcnt vmcnt(0) lgkmcnt(0)
	v_mul_f64 v[121:122], v[121:122], v[141:142]
	s_cbranch_execz .LBB123_282
	s_branch .LBB123_283
.LBB123_281:
                                        ; implicit-def: $vgpr121_vgpr122
.LBB123_282:
	ds_load_b64 v[121:122], v124
.LBB123_283:
	s_and_saveexec_b32 s4, s1
	s_cbranch_execz .LBB123_287
; %bb.284:
	v_mov_b32_e32 v141, 0
	v_subrev_nc_u32_e32 v142, 31, v0
	s_movk_i32 s5, 0x2d8
	s_mov_b32 s1, 0
	s_delay_alu instid0(VALU_DEP_2)
	v_add_nc_u32_e32 v141, 0xf8, v141
.LBB123_285:                            ; =>This Inner Loop Header: Depth=1
	scratch_load_b64 v[143:144], v141, off
	v_dual_mov_b32 v145, s5 :: v_dual_add_nc_u32 v142, -1, v142
	v_add_nc_u32_e32 v141, 8, v141
	s_add_i32 s5, s5, 8
	ds_load_b64 v[145:146], v145
	v_cmp_eq_u32_e32 vcc_lo, 0, v142
	s_or_b32 s1, vcc_lo, s1
	s_waitcnt vmcnt(0) lgkmcnt(0)
	v_fma_f64 v[121:122], v[143:144], v[145:146], v[121:122]
	s_and_not1_b32 exec_lo, exec_lo, s1
	s_cbranch_execnz .LBB123_285
; %bb.286:
	s_or_b32 exec_lo, exec_lo, s1
.LBB123_287:
	s_delay_alu instid0(SALU_CYCLE_1)
	s_or_b32 exec_lo, exec_lo, s4
	v_mov_b32_e32 v141, 0
	ds_load_b64 v[141:142], v141 offset:240
	s_waitcnt lgkmcnt(0)
	v_mul_f64 v[121:122], v[121:122], v[141:142]
	scratch_store_b64 off, v[121:122], off offset:240
.LBB123_288:
	s_or_b32 exec_lo, exec_lo, s3
	scratch_load_b64 v[121:122], off, off offset:232
	v_cmp_lt_u32_e64 s1, 29, v0
	s_waitcnt vmcnt(0)
	ds_store_b64 v124, v[121:122]
	s_waitcnt lgkmcnt(0)
	s_waitcnt_vscnt null, 0x0
	s_barrier
	buffer_gl0_inv
	s_and_saveexec_b32 s3, s1
	s_cbranch_execz .LBB123_298
; %bb.289:
	s_and_not1_b32 vcc_lo, exec_lo, s2
	s_cbranch_vccnz .LBB123_291
; %bb.290:
	scratch_load_b64 v[121:122], v125, off
	ds_load_b64 v[141:142], v124
	s_waitcnt vmcnt(0) lgkmcnt(0)
	v_mul_f64 v[121:122], v[121:122], v[141:142]
	s_cbranch_execz .LBB123_292
	s_branch .LBB123_293
.LBB123_291:
                                        ; implicit-def: $vgpr121_vgpr122
.LBB123_292:
	ds_load_b64 v[121:122], v124
.LBB123_293:
	s_and_saveexec_b32 s4, s0
	s_cbranch_execz .LBB123_297
; %bb.294:
	v_subrev_nc_u32_e32 v141, 30, v0
	s_movk_i32 s5, 0x2d0
	s_mov_b32 s0, 0
.LBB123_295:                            ; =>This Inner Loop Header: Depth=1
	scratch_load_b64 v[142:143], v140, off
	v_dual_mov_b32 v144, s5 :: v_dual_add_nc_u32 v141, -1, v141
	v_add_nc_u32_e32 v140, 8, v140
	s_add_i32 s5, s5, 8
	ds_load_b64 v[144:145], v144
	v_cmp_eq_u32_e32 vcc_lo, 0, v141
	s_or_b32 s0, vcc_lo, s0
	s_waitcnt vmcnt(0) lgkmcnt(0)
	v_fma_f64 v[121:122], v[142:143], v[144:145], v[121:122]
	s_and_not1_b32 exec_lo, exec_lo, s0
	s_cbranch_execnz .LBB123_295
; %bb.296:
	s_or_b32 exec_lo, exec_lo, s0
.LBB123_297:
	s_delay_alu instid0(SALU_CYCLE_1)
	s_or_b32 exec_lo, exec_lo, s4
	v_mov_b32_e32 v140, 0
	ds_load_b64 v[140:141], v140 offset:232
	s_waitcnt lgkmcnt(0)
	v_mul_f64 v[121:122], v[121:122], v[140:141]
	scratch_store_b64 off, v[121:122], off offset:232
.LBB123_298:
	s_or_b32 exec_lo, exec_lo, s3
	scratch_load_b64 v[121:122], off, off offset:224
	v_cmp_lt_u32_e64 s0, 28, v0
	s_waitcnt vmcnt(0)
	ds_store_b64 v124, v[121:122]
	s_waitcnt lgkmcnt(0)
	s_waitcnt_vscnt null, 0x0
	s_barrier
	buffer_gl0_inv
	s_and_saveexec_b32 s3, s0
	s_cbranch_execz .LBB123_308
; %bb.299:
	s_and_not1_b32 vcc_lo, exec_lo, s2
	s_cbranch_vccnz .LBB123_301
; %bb.300:
	scratch_load_b64 v[121:122], v125, off
	ds_load_b64 v[140:141], v124
	s_waitcnt vmcnt(0) lgkmcnt(0)
	v_mul_f64 v[121:122], v[121:122], v[140:141]
	s_cbranch_execz .LBB123_302
	s_branch .LBB123_303
.LBB123_301:
                                        ; implicit-def: $vgpr121_vgpr122
.LBB123_302:
	ds_load_b64 v[121:122], v124
.LBB123_303:
	s_and_saveexec_b32 s4, s1
	s_cbranch_execz .LBB123_307
; %bb.304:
	v_mov_b32_e32 v140, 0
	v_subrev_nc_u32_e32 v141, 29, v0
	s_movk_i32 s5, 0x2c8
	s_mov_b32 s1, 0
	s_delay_alu instid0(VALU_DEP_2)
	v_add_nc_u32_e32 v140, 0xe8, v140
.LBB123_305:                            ; =>This Inner Loop Header: Depth=1
	scratch_load_b64 v[142:143], v140, off
	v_dual_mov_b32 v144, s5 :: v_dual_add_nc_u32 v141, -1, v141
	v_add_nc_u32_e32 v140, 8, v140
	s_add_i32 s5, s5, 8
	ds_load_b64 v[144:145], v144
	v_cmp_eq_u32_e32 vcc_lo, 0, v141
	s_or_b32 s1, vcc_lo, s1
	s_waitcnt vmcnt(0) lgkmcnt(0)
	v_fma_f64 v[121:122], v[142:143], v[144:145], v[121:122]
	s_and_not1_b32 exec_lo, exec_lo, s1
	s_cbranch_execnz .LBB123_305
; %bb.306:
	s_or_b32 exec_lo, exec_lo, s1
.LBB123_307:
	s_delay_alu instid0(SALU_CYCLE_1)
	s_or_b32 exec_lo, exec_lo, s4
	v_mov_b32_e32 v140, 0
	ds_load_b64 v[140:141], v140 offset:224
	s_waitcnt lgkmcnt(0)
	v_mul_f64 v[121:122], v[121:122], v[140:141]
	scratch_store_b64 off, v[121:122], off offset:224
.LBB123_308:
	s_or_b32 exec_lo, exec_lo, s3
	scratch_load_b64 v[121:122], off, off offset:216
	v_cmp_lt_u32_e64 s1, 27, v0
	s_waitcnt vmcnt(0)
	ds_store_b64 v124, v[121:122]
	s_waitcnt lgkmcnt(0)
	s_waitcnt_vscnt null, 0x0
	s_barrier
	buffer_gl0_inv
	s_and_saveexec_b32 s3, s1
	s_cbranch_execz .LBB123_318
; %bb.309:
	s_and_not1_b32 vcc_lo, exec_lo, s2
	s_cbranch_vccnz .LBB123_311
; %bb.310:
	scratch_load_b64 v[121:122], v125, off
	ds_load_b64 v[140:141], v124
	s_waitcnt vmcnt(0) lgkmcnt(0)
	v_mul_f64 v[121:122], v[121:122], v[140:141]
	s_cbranch_execz .LBB123_312
	s_branch .LBB123_313
.LBB123_311:
                                        ; implicit-def: $vgpr121_vgpr122
.LBB123_312:
	ds_load_b64 v[121:122], v124
.LBB123_313:
	s_and_saveexec_b32 s4, s0
	s_cbranch_execz .LBB123_317
; %bb.314:
	v_subrev_nc_u32_e32 v140, 28, v0
	s_movk_i32 s5, 0x2c0
	s_mov_b32 s0, 0
.LBB123_315:                            ; =>This Inner Loop Header: Depth=1
	scratch_load_b64 v[141:142], v139, off
	v_dual_mov_b32 v143, s5 :: v_dual_add_nc_u32 v140, -1, v140
	v_add_nc_u32_e32 v139, 8, v139
	s_add_i32 s5, s5, 8
	ds_load_b64 v[143:144], v143
	v_cmp_eq_u32_e32 vcc_lo, 0, v140
	s_or_b32 s0, vcc_lo, s0
	s_waitcnt vmcnt(0) lgkmcnt(0)
	v_fma_f64 v[121:122], v[141:142], v[143:144], v[121:122]
	s_and_not1_b32 exec_lo, exec_lo, s0
	s_cbranch_execnz .LBB123_315
; %bb.316:
	s_or_b32 exec_lo, exec_lo, s0
.LBB123_317:
	s_delay_alu instid0(SALU_CYCLE_1)
	s_or_b32 exec_lo, exec_lo, s4
	v_mov_b32_e32 v139, 0
	ds_load_b64 v[139:140], v139 offset:216
	s_waitcnt lgkmcnt(0)
	v_mul_f64 v[121:122], v[121:122], v[139:140]
	scratch_store_b64 off, v[121:122], off offset:216
.LBB123_318:
	s_or_b32 exec_lo, exec_lo, s3
	scratch_load_b64 v[121:122], off, off offset:208
	v_cmp_lt_u32_e64 s0, 26, v0
	s_waitcnt vmcnt(0)
	ds_store_b64 v124, v[121:122]
	s_waitcnt lgkmcnt(0)
	s_waitcnt_vscnt null, 0x0
	s_barrier
	buffer_gl0_inv
	s_and_saveexec_b32 s3, s0
	s_cbranch_execz .LBB123_328
; %bb.319:
	s_and_not1_b32 vcc_lo, exec_lo, s2
	s_cbranch_vccnz .LBB123_321
; %bb.320:
	scratch_load_b64 v[121:122], v125, off
	ds_load_b64 v[139:140], v124
	s_waitcnt vmcnt(0) lgkmcnt(0)
	v_mul_f64 v[121:122], v[121:122], v[139:140]
	s_cbranch_execz .LBB123_322
	s_branch .LBB123_323
.LBB123_321:
                                        ; implicit-def: $vgpr121_vgpr122
.LBB123_322:
	ds_load_b64 v[121:122], v124
.LBB123_323:
	s_and_saveexec_b32 s4, s1
	s_cbranch_execz .LBB123_327
; %bb.324:
	v_mov_b32_e32 v139, 0
	v_subrev_nc_u32_e32 v140, 27, v0
	s_movk_i32 s5, 0x2b8
	s_mov_b32 s1, 0
	s_delay_alu instid0(VALU_DEP_2)
	v_add_nc_u32_e32 v139, 0xd8, v139
.LBB123_325:                            ; =>This Inner Loop Header: Depth=1
	scratch_load_b64 v[141:142], v139, off
	v_dual_mov_b32 v143, s5 :: v_dual_add_nc_u32 v140, -1, v140
	v_add_nc_u32_e32 v139, 8, v139
	s_add_i32 s5, s5, 8
	ds_load_b64 v[143:144], v143
	v_cmp_eq_u32_e32 vcc_lo, 0, v140
	s_or_b32 s1, vcc_lo, s1
	s_waitcnt vmcnt(0) lgkmcnt(0)
	v_fma_f64 v[121:122], v[141:142], v[143:144], v[121:122]
	s_and_not1_b32 exec_lo, exec_lo, s1
	s_cbranch_execnz .LBB123_325
; %bb.326:
	s_or_b32 exec_lo, exec_lo, s1
.LBB123_327:
	s_delay_alu instid0(SALU_CYCLE_1)
	s_or_b32 exec_lo, exec_lo, s4
	v_mov_b32_e32 v139, 0
	ds_load_b64 v[139:140], v139 offset:208
	s_waitcnt lgkmcnt(0)
	v_mul_f64 v[121:122], v[121:122], v[139:140]
	scratch_store_b64 off, v[121:122], off offset:208
.LBB123_328:
	s_or_b32 exec_lo, exec_lo, s3
	scratch_load_b64 v[121:122], off, off offset:200
	v_cmp_lt_u32_e64 s1, 25, v0
	s_waitcnt vmcnt(0)
	ds_store_b64 v124, v[121:122]
	s_waitcnt lgkmcnt(0)
	s_waitcnt_vscnt null, 0x0
	s_barrier
	buffer_gl0_inv
	s_and_saveexec_b32 s3, s1
	s_cbranch_execz .LBB123_338
; %bb.329:
	s_and_not1_b32 vcc_lo, exec_lo, s2
	s_cbranch_vccnz .LBB123_331
; %bb.330:
	scratch_load_b64 v[121:122], v125, off
	ds_load_b64 v[139:140], v124
	s_waitcnt vmcnt(0) lgkmcnt(0)
	v_mul_f64 v[121:122], v[121:122], v[139:140]
	s_cbranch_execz .LBB123_332
	s_branch .LBB123_333
.LBB123_331:
                                        ; implicit-def: $vgpr121_vgpr122
.LBB123_332:
	ds_load_b64 v[121:122], v124
.LBB123_333:
	s_and_saveexec_b32 s4, s0
	s_cbranch_execz .LBB123_337
; %bb.334:
	v_subrev_nc_u32_e32 v139, 26, v0
	s_movk_i32 s5, 0x2b0
	s_mov_b32 s0, 0
.LBB123_335:                            ; =>This Inner Loop Header: Depth=1
	scratch_load_b64 v[140:141], v138, off
	v_dual_mov_b32 v142, s5 :: v_dual_add_nc_u32 v139, -1, v139
	v_add_nc_u32_e32 v138, 8, v138
	s_add_i32 s5, s5, 8
	ds_load_b64 v[142:143], v142
	v_cmp_eq_u32_e32 vcc_lo, 0, v139
	s_or_b32 s0, vcc_lo, s0
	s_waitcnt vmcnt(0) lgkmcnt(0)
	v_fma_f64 v[121:122], v[140:141], v[142:143], v[121:122]
	s_and_not1_b32 exec_lo, exec_lo, s0
	s_cbranch_execnz .LBB123_335
; %bb.336:
	s_or_b32 exec_lo, exec_lo, s0
.LBB123_337:
	s_delay_alu instid0(SALU_CYCLE_1)
	s_or_b32 exec_lo, exec_lo, s4
	v_mov_b32_e32 v138, 0
	ds_load_b64 v[138:139], v138 offset:200
	s_waitcnt lgkmcnt(0)
	v_mul_f64 v[121:122], v[121:122], v[138:139]
	scratch_store_b64 off, v[121:122], off offset:200
.LBB123_338:
	s_or_b32 exec_lo, exec_lo, s3
	scratch_load_b64 v[121:122], off, off offset:192
	v_cmp_lt_u32_e64 s0, 24, v0
	s_waitcnt vmcnt(0)
	ds_store_b64 v124, v[121:122]
	s_waitcnt lgkmcnt(0)
	s_waitcnt_vscnt null, 0x0
	s_barrier
	buffer_gl0_inv
	s_and_saveexec_b32 s3, s0
	s_cbranch_execz .LBB123_348
; %bb.339:
	s_and_not1_b32 vcc_lo, exec_lo, s2
	s_cbranch_vccnz .LBB123_341
; %bb.340:
	scratch_load_b64 v[121:122], v125, off
	ds_load_b64 v[138:139], v124
	s_waitcnt vmcnt(0) lgkmcnt(0)
	v_mul_f64 v[121:122], v[121:122], v[138:139]
	s_cbranch_execz .LBB123_342
	s_branch .LBB123_343
.LBB123_341:
                                        ; implicit-def: $vgpr121_vgpr122
.LBB123_342:
	ds_load_b64 v[121:122], v124
.LBB123_343:
	s_and_saveexec_b32 s4, s1
	s_cbranch_execz .LBB123_347
; %bb.344:
	v_mov_b32_e32 v138, 0
	v_subrev_nc_u32_e32 v139, 25, v0
	s_movk_i32 s5, 0x2a8
	s_mov_b32 s1, 0
	s_delay_alu instid0(VALU_DEP_2)
	v_add_nc_u32_e32 v138, 0xc8, v138
.LBB123_345:                            ; =>This Inner Loop Header: Depth=1
	scratch_load_b64 v[140:141], v138, off
	v_dual_mov_b32 v142, s5 :: v_dual_add_nc_u32 v139, -1, v139
	v_add_nc_u32_e32 v138, 8, v138
	s_add_i32 s5, s5, 8
	ds_load_b64 v[142:143], v142
	v_cmp_eq_u32_e32 vcc_lo, 0, v139
	s_or_b32 s1, vcc_lo, s1
	s_waitcnt vmcnt(0) lgkmcnt(0)
	v_fma_f64 v[121:122], v[140:141], v[142:143], v[121:122]
	s_and_not1_b32 exec_lo, exec_lo, s1
	s_cbranch_execnz .LBB123_345
; %bb.346:
	s_or_b32 exec_lo, exec_lo, s1
.LBB123_347:
	s_delay_alu instid0(SALU_CYCLE_1)
	s_or_b32 exec_lo, exec_lo, s4
	v_mov_b32_e32 v138, 0
	ds_load_b64 v[138:139], v138 offset:192
	s_waitcnt lgkmcnt(0)
	v_mul_f64 v[121:122], v[121:122], v[138:139]
	scratch_store_b64 off, v[121:122], off offset:192
.LBB123_348:
	s_or_b32 exec_lo, exec_lo, s3
	scratch_load_b64 v[121:122], off, off offset:184
	v_cmp_lt_u32_e64 s1, 23, v0
	s_waitcnt vmcnt(0)
	ds_store_b64 v124, v[121:122]
	s_waitcnt lgkmcnt(0)
	s_waitcnt_vscnt null, 0x0
	s_barrier
	buffer_gl0_inv
	s_and_saveexec_b32 s3, s1
	s_cbranch_execz .LBB123_358
; %bb.349:
	s_and_not1_b32 vcc_lo, exec_lo, s2
	s_cbranch_vccnz .LBB123_351
; %bb.350:
	scratch_load_b64 v[121:122], v125, off
	ds_load_b64 v[138:139], v124
	s_waitcnt vmcnt(0) lgkmcnt(0)
	v_mul_f64 v[121:122], v[121:122], v[138:139]
	s_cbranch_execz .LBB123_352
	s_branch .LBB123_353
.LBB123_351:
                                        ; implicit-def: $vgpr121_vgpr122
.LBB123_352:
	ds_load_b64 v[121:122], v124
.LBB123_353:
	s_and_saveexec_b32 s4, s0
	s_cbranch_execz .LBB123_357
; %bb.354:
	v_subrev_nc_u32_e32 v138, 24, v0
	s_movk_i32 s5, 0x2a0
	s_mov_b32 s0, 0
.LBB123_355:                            ; =>This Inner Loop Header: Depth=1
	scratch_load_b64 v[139:140], v137, off
	v_dual_mov_b32 v141, s5 :: v_dual_add_nc_u32 v138, -1, v138
	v_add_nc_u32_e32 v137, 8, v137
	s_add_i32 s5, s5, 8
	ds_load_b64 v[141:142], v141
	v_cmp_eq_u32_e32 vcc_lo, 0, v138
	s_or_b32 s0, vcc_lo, s0
	s_waitcnt vmcnt(0) lgkmcnt(0)
	v_fma_f64 v[121:122], v[139:140], v[141:142], v[121:122]
	s_and_not1_b32 exec_lo, exec_lo, s0
	s_cbranch_execnz .LBB123_355
; %bb.356:
	s_or_b32 exec_lo, exec_lo, s0
.LBB123_357:
	s_delay_alu instid0(SALU_CYCLE_1)
	s_or_b32 exec_lo, exec_lo, s4
	v_mov_b32_e32 v137, 0
	ds_load_b64 v[137:138], v137 offset:184
	s_waitcnt lgkmcnt(0)
	v_mul_f64 v[121:122], v[121:122], v[137:138]
	scratch_store_b64 off, v[121:122], off offset:184
.LBB123_358:
	s_or_b32 exec_lo, exec_lo, s3
	scratch_load_b64 v[121:122], off, off offset:176
	v_cmp_lt_u32_e64 s0, 22, v0
	s_waitcnt vmcnt(0)
	ds_store_b64 v124, v[121:122]
	s_waitcnt lgkmcnt(0)
	s_waitcnt_vscnt null, 0x0
	s_barrier
	buffer_gl0_inv
	s_and_saveexec_b32 s3, s0
	s_cbranch_execz .LBB123_368
; %bb.359:
	s_and_not1_b32 vcc_lo, exec_lo, s2
	s_cbranch_vccnz .LBB123_361
; %bb.360:
	scratch_load_b64 v[121:122], v125, off
	ds_load_b64 v[137:138], v124
	s_waitcnt vmcnt(0) lgkmcnt(0)
	v_mul_f64 v[121:122], v[121:122], v[137:138]
	s_cbranch_execz .LBB123_362
	s_branch .LBB123_363
.LBB123_361:
                                        ; implicit-def: $vgpr121_vgpr122
.LBB123_362:
	ds_load_b64 v[121:122], v124
.LBB123_363:
	s_and_saveexec_b32 s4, s1
	s_cbranch_execz .LBB123_367
; %bb.364:
	v_mov_b32_e32 v137, 0
	v_subrev_nc_u32_e32 v138, 23, v0
	s_movk_i32 s5, 0x298
	s_mov_b32 s1, 0
	s_delay_alu instid0(VALU_DEP_2)
	v_add_nc_u32_e32 v137, 0xb8, v137
.LBB123_365:                            ; =>This Inner Loop Header: Depth=1
	scratch_load_b64 v[139:140], v137, off
	v_dual_mov_b32 v141, s5 :: v_dual_add_nc_u32 v138, -1, v138
	v_add_nc_u32_e32 v137, 8, v137
	s_add_i32 s5, s5, 8
	ds_load_b64 v[141:142], v141
	v_cmp_eq_u32_e32 vcc_lo, 0, v138
	s_or_b32 s1, vcc_lo, s1
	s_waitcnt vmcnt(0) lgkmcnt(0)
	v_fma_f64 v[121:122], v[139:140], v[141:142], v[121:122]
	s_and_not1_b32 exec_lo, exec_lo, s1
	s_cbranch_execnz .LBB123_365
; %bb.366:
	s_or_b32 exec_lo, exec_lo, s1
.LBB123_367:
	s_delay_alu instid0(SALU_CYCLE_1)
	s_or_b32 exec_lo, exec_lo, s4
	v_mov_b32_e32 v137, 0
	ds_load_b64 v[137:138], v137 offset:176
	s_waitcnt lgkmcnt(0)
	v_mul_f64 v[121:122], v[121:122], v[137:138]
	scratch_store_b64 off, v[121:122], off offset:176
.LBB123_368:
	s_or_b32 exec_lo, exec_lo, s3
	scratch_load_b64 v[121:122], off, off offset:168
	v_cmp_lt_u32_e64 s1, 21, v0
	s_waitcnt vmcnt(0)
	ds_store_b64 v124, v[121:122]
	s_waitcnt lgkmcnt(0)
	s_waitcnt_vscnt null, 0x0
	s_barrier
	buffer_gl0_inv
	s_and_saveexec_b32 s3, s1
	s_cbranch_execz .LBB123_378
; %bb.369:
	s_and_not1_b32 vcc_lo, exec_lo, s2
	s_cbranch_vccnz .LBB123_371
; %bb.370:
	scratch_load_b64 v[121:122], v125, off
	ds_load_b64 v[137:138], v124
	s_waitcnt vmcnt(0) lgkmcnt(0)
	v_mul_f64 v[121:122], v[121:122], v[137:138]
	s_cbranch_execz .LBB123_372
	s_branch .LBB123_373
.LBB123_371:
                                        ; implicit-def: $vgpr121_vgpr122
.LBB123_372:
	ds_load_b64 v[121:122], v124
.LBB123_373:
	s_and_saveexec_b32 s4, s0
	s_cbranch_execz .LBB123_377
; %bb.374:
	v_subrev_nc_u32_e32 v137, 22, v0
	s_movk_i32 s5, 0x290
	s_mov_b32 s0, 0
.LBB123_375:                            ; =>This Inner Loop Header: Depth=1
	scratch_load_b64 v[138:139], v136, off
	v_dual_mov_b32 v140, s5 :: v_dual_add_nc_u32 v137, -1, v137
	v_add_nc_u32_e32 v136, 8, v136
	s_add_i32 s5, s5, 8
	ds_load_b64 v[140:141], v140
	v_cmp_eq_u32_e32 vcc_lo, 0, v137
	s_or_b32 s0, vcc_lo, s0
	s_waitcnt vmcnt(0) lgkmcnt(0)
	v_fma_f64 v[121:122], v[138:139], v[140:141], v[121:122]
	s_and_not1_b32 exec_lo, exec_lo, s0
	s_cbranch_execnz .LBB123_375
; %bb.376:
	s_or_b32 exec_lo, exec_lo, s0
.LBB123_377:
	s_delay_alu instid0(SALU_CYCLE_1)
	s_or_b32 exec_lo, exec_lo, s4
	v_mov_b32_e32 v136, 0
	ds_load_b64 v[136:137], v136 offset:168
	s_waitcnt lgkmcnt(0)
	v_mul_f64 v[121:122], v[121:122], v[136:137]
	scratch_store_b64 off, v[121:122], off offset:168
.LBB123_378:
	s_or_b32 exec_lo, exec_lo, s3
	scratch_load_b64 v[121:122], off, off offset:160
	v_cmp_lt_u32_e64 s0, 20, v0
	s_waitcnt vmcnt(0)
	ds_store_b64 v124, v[121:122]
	s_waitcnt lgkmcnt(0)
	s_waitcnt_vscnt null, 0x0
	s_barrier
	buffer_gl0_inv
	s_and_saveexec_b32 s3, s0
	s_cbranch_execz .LBB123_388
; %bb.379:
	s_and_not1_b32 vcc_lo, exec_lo, s2
	s_cbranch_vccnz .LBB123_381
; %bb.380:
	scratch_load_b64 v[121:122], v125, off
	ds_load_b64 v[136:137], v124
	s_waitcnt vmcnt(0) lgkmcnt(0)
	v_mul_f64 v[121:122], v[121:122], v[136:137]
	s_cbranch_execz .LBB123_382
	s_branch .LBB123_383
.LBB123_381:
                                        ; implicit-def: $vgpr121_vgpr122
.LBB123_382:
	ds_load_b64 v[121:122], v124
.LBB123_383:
	s_and_saveexec_b32 s4, s1
	s_cbranch_execz .LBB123_387
; %bb.384:
	v_mov_b32_e32 v136, 0
	v_subrev_nc_u32_e32 v137, 21, v0
	s_movk_i32 s5, 0x288
	s_mov_b32 s1, 0
	s_delay_alu instid0(VALU_DEP_2)
	v_add_nc_u32_e32 v136, 0xa8, v136
.LBB123_385:                            ; =>This Inner Loop Header: Depth=1
	scratch_load_b64 v[138:139], v136, off
	v_dual_mov_b32 v140, s5 :: v_dual_add_nc_u32 v137, -1, v137
	v_add_nc_u32_e32 v136, 8, v136
	s_add_i32 s5, s5, 8
	ds_load_b64 v[140:141], v140
	v_cmp_eq_u32_e32 vcc_lo, 0, v137
	s_or_b32 s1, vcc_lo, s1
	s_waitcnt vmcnt(0) lgkmcnt(0)
	v_fma_f64 v[121:122], v[138:139], v[140:141], v[121:122]
	s_and_not1_b32 exec_lo, exec_lo, s1
	s_cbranch_execnz .LBB123_385
; %bb.386:
	s_or_b32 exec_lo, exec_lo, s1
.LBB123_387:
	s_delay_alu instid0(SALU_CYCLE_1)
	s_or_b32 exec_lo, exec_lo, s4
	v_mov_b32_e32 v136, 0
	ds_load_b64 v[136:137], v136 offset:160
	s_waitcnt lgkmcnt(0)
	v_mul_f64 v[121:122], v[121:122], v[136:137]
	scratch_store_b64 off, v[121:122], off offset:160
.LBB123_388:
	s_or_b32 exec_lo, exec_lo, s3
	scratch_load_b64 v[121:122], off, off offset:152
	v_cmp_lt_u32_e64 s1, 19, v0
	s_waitcnt vmcnt(0)
	ds_store_b64 v124, v[121:122]
	s_waitcnt lgkmcnt(0)
	s_waitcnt_vscnt null, 0x0
	s_barrier
	buffer_gl0_inv
	s_and_saveexec_b32 s3, s1
	s_cbranch_execz .LBB123_398
; %bb.389:
	s_and_not1_b32 vcc_lo, exec_lo, s2
	s_cbranch_vccnz .LBB123_391
; %bb.390:
	scratch_load_b64 v[121:122], v125, off
	ds_load_b64 v[136:137], v124
	s_waitcnt vmcnt(0) lgkmcnt(0)
	v_mul_f64 v[121:122], v[121:122], v[136:137]
	s_cbranch_execz .LBB123_392
	s_branch .LBB123_393
.LBB123_391:
                                        ; implicit-def: $vgpr121_vgpr122
.LBB123_392:
	ds_load_b64 v[121:122], v124
.LBB123_393:
	s_and_saveexec_b32 s4, s0
	s_cbranch_execz .LBB123_397
; %bb.394:
	v_subrev_nc_u32_e32 v136, 20, v0
	s_movk_i32 s5, 0x280
	s_mov_b32 s0, 0
.LBB123_395:                            ; =>This Inner Loop Header: Depth=1
	scratch_load_b64 v[137:138], v135, off
	v_dual_mov_b32 v139, s5 :: v_dual_add_nc_u32 v136, -1, v136
	v_add_nc_u32_e32 v135, 8, v135
	s_add_i32 s5, s5, 8
	ds_load_b64 v[139:140], v139
	v_cmp_eq_u32_e32 vcc_lo, 0, v136
	s_or_b32 s0, vcc_lo, s0
	s_waitcnt vmcnt(0) lgkmcnt(0)
	v_fma_f64 v[121:122], v[137:138], v[139:140], v[121:122]
	s_and_not1_b32 exec_lo, exec_lo, s0
	s_cbranch_execnz .LBB123_395
; %bb.396:
	s_or_b32 exec_lo, exec_lo, s0
.LBB123_397:
	s_delay_alu instid0(SALU_CYCLE_1)
	s_or_b32 exec_lo, exec_lo, s4
	v_mov_b32_e32 v135, 0
	ds_load_b64 v[135:136], v135 offset:152
	s_waitcnt lgkmcnt(0)
	v_mul_f64 v[121:122], v[121:122], v[135:136]
	scratch_store_b64 off, v[121:122], off offset:152
.LBB123_398:
	s_or_b32 exec_lo, exec_lo, s3
	scratch_load_b64 v[121:122], off, off offset:144
	v_cmp_lt_u32_e64 s0, 18, v0
	s_waitcnt vmcnt(0)
	ds_store_b64 v124, v[121:122]
	s_waitcnt lgkmcnt(0)
	s_waitcnt_vscnt null, 0x0
	s_barrier
	buffer_gl0_inv
	s_and_saveexec_b32 s3, s0
	s_cbranch_execz .LBB123_408
; %bb.399:
	s_and_not1_b32 vcc_lo, exec_lo, s2
	s_cbranch_vccnz .LBB123_401
; %bb.400:
	scratch_load_b64 v[121:122], v125, off
	ds_load_b64 v[135:136], v124
	s_waitcnt vmcnt(0) lgkmcnt(0)
	v_mul_f64 v[121:122], v[121:122], v[135:136]
	s_cbranch_execz .LBB123_402
	s_branch .LBB123_403
.LBB123_401:
                                        ; implicit-def: $vgpr121_vgpr122
.LBB123_402:
	ds_load_b64 v[121:122], v124
.LBB123_403:
	s_and_saveexec_b32 s4, s1
	s_cbranch_execz .LBB123_407
; %bb.404:
	v_mov_b32_e32 v135, 0
	v_subrev_nc_u32_e32 v136, 19, v0
	s_movk_i32 s5, 0x278
	s_mov_b32 s1, 0
	s_delay_alu instid0(VALU_DEP_2)
	v_add_nc_u32_e32 v135, 0x98, v135
.LBB123_405:                            ; =>This Inner Loop Header: Depth=1
	scratch_load_b64 v[137:138], v135, off
	v_dual_mov_b32 v139, s5 :: v_dual_add_nc_u32 v136, -1, v136
	v_add_nc_u32_e32 v135, 8, v135
	s_add_i32 s5, s5, 8
	ds_load_b64 v[139:140], v139
	v_cmp_eq_u32_e32 vcc_lo, 0, v136
	s_or_b32 s1, vcc_lo, s1
	s_waitcnt vmcnt(0) lgkmcnt(0)
	v_fma_f64 v[121:122], v[137:138], v[139:140], v[121:122]
	s_and_not1_b32 exec_lo, exec_lo, s1
	s_cbranch_execnz .LBB123_405
; %bb.406:
	s_or_b32 exec_lo, exec_lo, s1
.LBB123_407:
	s_delay_alu instid0(SALU_CYCLE_1)
	s_or_b32 exec_lo, exec_lo, s4
	v_mov_b32_e32 v135, 0
	ds_load_b64 v[135:136], v135 offset:144
	s_waitcnt lgkmcnt(0)
	v_mul_f64 v[121:122], v[121:122], v[135:136]
	scratch_store_b64 off, v[121:122], off offset:144
.LBB123_408:
	s_or_b32 exec_lo, exec_lo, s3
	scratch_load_b64 v[121:122], off, off offset:136
	v_cmp_lt_u32_e64 s1, 17, v0
	s_waitcnt vmcnt(0)
	ds_store_b64 v124, v[121:122]
	s_waitcnt lgkmcnt(0)
	s_waitcnt_vscnt null, 0x0
	s_barrier
	buffer_gl0_inv
	s_and_saveexec_b32 s3, s1
	s_cbranch_execz .LBB123_418
; %bb.409:
	s_and_not1_b32 vcc_lo, exec_lo, s2
	s_cbranch_vccnz .LBB123_411
; %bb.410:
	scratch_load_b64 v[121:122], v125, off
	ds_load_b64 v[135:136], v124
	s_waitcnt vmcnt(0) lgkmcnt(0)
	v_mul_f64 v[121:122], v[121:122], v[135:136]
	s_cbranch_execz .LBB123_412
	s_branch .LBB123_413
.LBB123_411:
                                        ; implicit-def: $vgpr121_vgpr122
.LBB123_412:
	ds_load_b64 v[121:122], v124
.LBB123_413:
	s_and_saveexec_b32 s4, s0
	s_cbranch_execz .LBB123_417
; %bb.414:
	v_subrev_nc_u32_e32 v135, 18, v0
	s_movk_i32 s5, 0x270
	s_mov_b32 s0, 0
.LBB123_415:                            ; =>This Inner Loop Header: Depth=1
	scratch_load_b64 v[136:137], v134, off
	v_dual_mov_b32 v138, s5 :: v_dual_add_nc_u32 v135, -1, v135
	v_add_nc_u32_e32 v134, 8, v134
	s_add_i32 s5, s5, 8
	ds_load_b64 v[138:139], v138
	v_cmp_eq_u32_e32 vcc_lo, 0, v135
	s_or_b32 s0, vcc_lo, s0
	s_waitcnt vmcnt(0) lgkmcnt(0)
	v_fma_f64 v[121:122], v[136:137], v[138:139], v[121:122]
	s_and_not1_b32 exec_lo, exec_lo, s0
	s_cbranch_execnz .LBB123_415
; %bb.416:
	s_or_b32 exec_lo, exec_lo, s0
.LBB123_417:
	s_delay_alu instid0(SALU_CYCLE_1)
	s_or_b32 exec_lo, exec_lo, s4
	v_mov_b32_e32 v134, 0
	ds_load_b64 v[134:135], v134 offset:136
	s_waitcnt lgkmcnt(0)
	v_mul_f64 v[121:122], v[121:122], v[134:135]
	scratch_store_b64 off, v[121:122], off offset:136
.LBB123_418:
	s_or_b32 exec_lo, exec_lo, s3
	scratch_load_b64 v[121:122], off, off offset:128
	v_cmp_lt_u32_e64 s0, 16, v0
	s_waitcnt vmcnt(0)
	ds_store_b64 v124, v[121:122]
	s_waitcnt lgkmcnt(0)
	s_waitcnt_vscnt null, 0x0
	s_barrier
	buffer_gl0_inv
	s_and_saveexec_b32 s3, s0
	s_cbranch_execz .LBB123_428
; %bb.419:
	s_and_not1_b32 vcc_lo, exec_lo, s2
	s_cbranch_vccnz .LBB123_421
; %bb.420:
	scratch_load_b64 v[121:122], v125, off
	ds_load_b64 v[134:135], v124
	s_waitcnt vmcnt(0) lgkmcnt(0)
	v_mul_f64 v[121:122], v[121:122], v[134:135]
	s_cbranch_execz .LBB123_422
	s_branch .LBB123_423
.LBB123_421:
                                        ; implicit-def: $vgpr121_vgpr122
.LBB123_422:
	ds_load_b64 v[121:122], v124
.LBB123_423:
	s_and_saveexec_b32 s4, s1
	s_cbranch_execz .LBB123_427
; %bb.424:
	v_mov_b32_e32 v134, 0
	v_subrev_nc_u32_e32 v135, 17, v0
	s_movk_i32 s5, 0x268
	s_mov_b32 s1, 0
	s_delay_alu instid0(VALU_DEP_2)
	v_add_nc_u32_e32 v134, 0x88, v134
.LBB123_425:                            ; =>This Inner Loop Header: Depth=1
	scratch_load_b64 v[136:137], v134, off
	v_dual_mov_b32 v138, s5 :: v_dual_add_nc_u32 v135, -1, v135
	v_add_nc_u32_e32 v134, 8, v134
	s_add_i32 s5, s5, 8
	ds_load_b64 v[138:139], v138
	v_cmp_eq_u32_e32 vcc_lo, 0, v135
	s_or_b32 s1, vcc_lo, s1
	s_waitcnt vmcnt(0) lgkmcnt(0)
	v_fma_f64 v[121:122], v[136:137], v[138:139], v[121:122]
	s_and_not1_b32 exec_lo, exec_lo, s1
	s_cbranch_execnz .LBB123_425
; %bb.426:
	s_or_b32 exec_lo, exec_lo, s1
.LBB123_427:
	s_delay_alu instid0(SALU_CYCLE_1)
	s_or_b32 exec_lo, exec_lo, s4
	v_mov_b32_e32 v134, 0
	ds_load_b64 v[134:135], v134 offset:128
	s_waitcnt lgkmcnt(0)
	v_mul_f64 v[121:122], v[121:122], v[134:135]
	scratch_store_b64 off, v[121:122], off offset:128
.LBB123_428:
	s_or_b32 exec_lo, exec_lo, s3
	scratch_load_b64 v[121:122], off, off offset:120
	v_cmp_lt_u32_e64 s1, 15, v0
	s_waitcnt vmcnt(0)
	ds_store_b64 v124, v[121:122]
	s_waitcnt lgkmcnt(0)
	s_waitcnt_vscnt null, 0x0
	s_barrier
	buffer_gl0_inv
	s_and_saveexec_b32 s3, s1
	s_cbranch_execz .LBB123_438
; %bb.429:
	s_and_not1_b32 vcc_lo, exec_lo, s2
	s_cbranch_vccnz .LBB123_431
; %bb.430:
	scratch_load_b64 v[121:122], v125, off
	ds_load_b64 v[134:135], v124
	s_waitcnt vmcnt(0) lgkmcnt(0)
	v_mul_f64 v[121:122], v[121:122], v[134:135]
	s_cbranch_execz .LBB123_432
	s_branch .LBB123_433
.LBB123_431:
                                        ; implicit-def: $vgpr121_vgpr122
.LBB123_432:
	ds_load_b64 v[121:122], v124
.LBB123_433:
	s_and_saveexec_b32 s4, s0
	s_cbranch_execz .LBB123_437
; %bb.434:
	v_add_nc_u32_e32 v134, -16, v0
	s_movk_i32 s5, 0x260
	s_mov_b32 s0, 0
.LBB123_435:                            ; =>This Inner Loop Header: Depth=1
	scratch_load_b64 v[135:136], v133, off
	v_dual_mov_b32 v137, s5 :: v_dual_add_nc_u32 v134, -1, v134
	v_add_nc_u32_e32 v133, 8, v133
	s_add_i32 s5, s5, 8
	ds_load_b64 v[137:138], v137
	v_cmp_eq_u32_e32 vcc_lo, 0, v134
	s_or_b32 s0, vcc_lo, s0
	s_waitcnt vmcnt(0) lgkmcnt(0)
	v_fma_f64 v[121:122], v[135:136], v[137:138], v[121:122]
	s_and_not1_b32 exec_lo, exec_lo, s0
	s_cbranch_execnz .LBB123_435
; %bb.436:
	s_or_b32 exec_lo, exec_lo, s0
.LBB123_437:
	s_delay_alu instid0(SALU_CYCLE_1)
	s_or_b32 exec_lo, exec_lo, s4
	v_mov_b32_e32 v133, 0
	ds_load_b64 v[133:134], v133 offset:120
	s_waitcnt lgkmcnt(0)
	v_mul_f64 v[121:122], v[121:122], v[133:134]
	scratch_store_b64 off, v[121:122], off offset:120
.LBB123_438:
	s_or_b32 exec_lo, exec_lo, s3
	scratch_load_b64 v[121:122], off, off offset:112
	v_cmp_lt_u32_e64 s0, 14, v0
	s_waitcnt vmcnt(0)
	ds_store_b64 v124, v[121:122]
	s_waitcnt lgkmcnt(0)
	s_waitcnt_vscnt null, 0x0
	s_barrier
	buffer_gl0_inv
	s_and_saveexec_b32 s3, s0
	s_cbranch_execz .LBB123_448
; %bb.439:
	s_and_not1_b32 vcc_lo, exec_lo, s2
	s_cbranch_vccnz .LBB123_441
; %bb.440:
	scratch_load_b64 v[121:122], v125, off
	ds_load_b64 v[133:134], v124
	s_waitcnt vmcnt(0) lgkmcnt(0)
	v_mul_f64 v[121:122], v[121:122], v[133:134]
	s_cbranch_execz .LBB123_442
	s_branch .LBB123_443
.LBB123_441:
                                        ; implicit-def: $vgpr121_vgpr122
.LBB123_442:
	ds_load_b64 v[121:122], v124
.LBB123_443:
	s_and_saveexec_b32 s4, s1
	s_cbranch_execz .LBB123_447
; %bb.444:
	v_dual_mov_b32 v133, 0 :: v_dual_add_nc_u32 v134, -15, v0
	s_movk_i32 s5, 0x258
	s_mov_b32 s1, 0
	s_delay_alu instid0(VALU_DEP_1)
	v_add_nc_u32_e32 v133, 0x78, v133
.LBB123_445:                            ; =>This Inner Loop Header: Depth=1
	scratch_load_b64 v[135:136], v133, off
	v_dual_mov_b32 v137, s5 :: v_dual_add_nc_u32 v134, -1, v134
	v_add_nc_u32_e32 v133, 8, v133
	s_add_i32 s5, s5, 8
	ds_load_b64 v[137:138], v137
	v_cmp_eq_u32_e32 vcc_lo, 0, v134
	s_or_b32 s1, vcc_lo, s1
	s_waitcnt vmcnt(0) lgkmcnt(0)
	v_fma_f64 v[121:122], v[135:136], v[137:138], v[121:122]
	s_and_not1_b32 exec_lo, exec_lo, s1
	s_cbranch_execnz .LBB123_445
; %bb.446:
	s_or_b32 exec_lo, exec_lo, s1
.LBB123_447:
	s_delay_alu instid0(SALU_CYCLE_1)
	s_or_b32 exec_lo, exec_lo, s4
	v_mov_b32_e32 v133, 0
	ds_load_b64 v[133:134], v133 offset:112
	s_waitcnt lgkmcnt(0)
	v_mul_f64 v[121:122], v[121:122], v[133:134]
	scratch_store_b64 off, v[121:122], off offset:112
.LBB123_448:
	s_or_b32 exec_lo, exec_lo, s3
	scratch_load_b64 v[121:122], off, off offset:104
	v_cmp_lt_u32_e64 s1, 13, v0
	s_waitcnt vmcnt(0)
	ds_store_b64 v124, v[121:122]
	s_waitcnt lgkmcnt(0)
	s_waitcnt_vscnt null, 0x0
	s_barrier
	buffer_gl0_inv
	s_and_saveexec_b32 s3, s1
	s_cbranch_execz .LBB123_458
; %bb.449:
	s_and_not1_b32 vcc_lo, exec_lo, s2
	s_cbranch_vccnz .LBB123_451
; %bb.450:
	scratch_load_b64 v[121:122], v125, off
	ds_load_b64 v[133:134], v124
	s_waitcnt vmcnt(0) lgkmcnt(0)
	v_mul_f64 v[121:122], v[121:122], v[133:134]
	s_cbranch_execz .LBB123_452
	s_branch .LBB123_453
.LBB123_451:
                                        ; implicit-def: $vgpr121_vgpr122
.LBB123_452:
	ds_load_b64 v[121:122], v124
.LBB123_453:
	s_and_saveexec_b32 s4, s0
	s_cbranch_execz .LBB123_457
; %bb.454:
	v_add_nc_u32_e32 v133, -14, v0
	s_movk_i32 s5, 0x250
	s_mov_b32 s0, 0
.LBB123_455:                            ; =>This Inner Loop Header: Depth=1
	scratch_load_b64 v[134:135], v132, off
	v_dual_mov_b32 v136, s5 :: v_dual_add_nc_u32 v133, -1, v133
	v_add_nc_u32_e32 v132, 8, v132
	s_add_i32 s5, s5, 8
	ds_load_b64 v[136:137], v136
	v_cmp_eq_u32_e32 vcc_lo, 0, v133
	s_or_b32 s0, vcc_lo, s0
	s_waitcnt vmcnt(0) lgkmcnt(0)
	v_fma_f64 v[121:122], v[134:135], v[136:137], v[121:122]
	s_and_not1_b32 exec_lo, exec_lo, s0
	s_cbranch_execnz .LBB123_455
; %bb.456:
	s_or_b32 exec_lo, exec_lo, s0
.LBB123_457:
	s_delay_alu instid0(SALU_CYCLE_1)
	s_or_b32 exec_lo, exec_lo, s4
	v_mov_b32_e32 v132, 0
	ds_load_b64 v[132:133], v132 offset:104
	s_waitcnt lgkmcnt(0)
	v_mul_f64 v[121:122], v[121:122], v[132:133]
	scratch_store_b64 off, v[121:122], off offset:104
.LBB123_458:
	s_or_b32 exec_lo, exec_lo, s3
	scratch_load_b64 v[121:122], off, off offset:96
	v_cmp_lt_u32_e64 s0, 12, v0
	s_waitcnt vmcnt(0)
	ds_store_b64 v124, v[121:122]
	s_waitcnt lgkmcnt(0)
	s_waitcnt_vscnt null, 0x0
	s_barrier
	buffer_gl0_inv
	s_and_saveexec_b32 s3, s0
	s_cbranch_execz .LBB123_468
; %bb.459:
	s_and_not1_b32 vcc_lo, exec_lo, s2
	s_cbranch_vccnz .LBB123_461
; %bb.460:
	scratch_load_b64 v[121:122], v125, off
	ds_load_b64 v[132:133], v124
	s_waitcnt vmcnt(0) lgkmcnt(0)
	v_mul_f64 v[121:122], v[121:122], v[132:133]
	s_cbranch_execz .LBB123_462
	s_branch .LBB123_463
.LBB123_461:
                                        ; implicit-def: $vgpr121_vgpr122
.LBB123_462:
	ds_load_b64 v[121:122], v124
.LBB123_463:
	s_and_saveexec_b32 s4, s1
	s_cbranch_execz .LBB123_467
; %bb.464:
	v_dual_mov_b32 v132, 0 :: v_dual_add_nc_u32 v133, -13, v0
	s_movk_i32 s5, 0x248
	s_mov_b32 s1, 0
	s_delay_alu instid0(VALU_DEP_1)
	v_add_nc_u32_e32 v132, 0x68, v132
.LBB123_465:                            ; =>This Inner Loop Header: Depth=1
	scratch_load_b64 v[134:135], v132, off
	v_dual_mov_b32 v136, s5 :: v_dual_add_nc_u32 v133, -1, v133
	v_add_nc_u32_e32 v132, 8, v132
	s_add_i32 s5, s5, 8
	ds_load_b64 v[136:137], v136
	v_cmp_eq_u32_e32 vcc_lo, 0, v133
	s_or_b32 s1, vcc_lo, s1
	s_waitcnt vmcnt(0) lgkmcnt(0)
	v_fma_f64 v[121:122], v[134:135], v[136:137], v[121:122]
	s_and_not1_b32 exec_lo, exec_lo, s1
	s_cbranch_execnz .LBB123_465
; %bb.466:
	s_or_b32 exec_lo, exec_lo, s1
.LBB123_467:
	s_delay_alu instid0(SALU_CYCLE_1)
	s_or_b32 exec_lo, exec_lo, s4
	v_mov_b32_e32 v132, 0
	ds_load_b64 v[132:133], v132 offset:96
	s_waitcnt lgkmcnt(0)
	v_mul_f64 v[121:122], v[121:122], v[132:133]
	scratch_store_b64 off, v[121:122], off offset:96
.LBB123_468:
	s_or_b32 exec_lo, exec_lo, s3
	scratch_load_b64 v[121:122], off, off offset:88
	v_cmp_lt_u32_e64 s1, 11, v0
	s_waitcnt vmcnt(0)
	ds_store_b64 v124, v[121:122]
	s_waitcnt lgkmcnt(0)
	s_waitcnt_vscnt null, 0x0
	s_barrier
	buffer_gl0_inv
	s_and_saveexec_b32 s3, s1
	s_cbranch_execz .LBB123_478
; %bb.469:
	s_and_not1_b32 vcc_lo, exec_lo, s2
	s_cbranch_vccnz .LBB123_471
; %bb.470:
	scratch_load_b64 v[121:122], v125, off
	ds_load_b64 v[132:133], v124
	s_waitcnt vmcnt(0) lgkmcnt(0)
	v_mul_f64 v[121:122], v[121:122], v[132:133]
	s_cbranch_execz .LBB123_472
	s_branch .LBB123_473
.LBB123_471:
                                        ; implicit-def: $vgpr121_vgpr122
.LBB123_472:
	ds_load_b64 v[121:122], v124
.LBB123_473:
	s_and_saveexec_b32 s4, s0
	s_cbranch_execz .LBB123_477
; %bb.474:
	v_add_nc_u32_e32 v132, -12, v0
	s_movk_i32 s5, 0x240
	s_mov_b32 s0, 0
.LBB123_475:                            ; =>This Inner Loop Header: Depth=1
	scratch_load_b64 v[133:134], v131, off
	v_dual_mov_b32 v135, s5 :: v_dual_add_nc_u32 v132, -1, v132
	v_add_nc_u32_e32 v131, 8, v131
	s_add_i32 s5, s5, 8
	ds_load_b64 v[135:136], v135
	v_cmp_eq_u32_e32 vcc_lo, 0, v132
	s_or_b32 s0, vcc_lo, s0
	s_waitcnt vmcnt(0) lgkmcnt(0)
	v_fma_f64 v[121:122], v[133:134], v[135:136], v[121:122]
	s_and_not1_b32 exec_lo, exec_lo, s0
	s_cbranch_execnz .LBB123_475
; %bb.476:
	s_or_b32 exec_lo, exec_lo, s0
.LBB123_477:
	s_delay_alu instid0(SALU_CYCLE_1)
	s_or_b32 exec_lo, exec_lo, s4
	v_mov_b32_e32 v131, 0
	ds_load_b64 v[131:132], v131 offset:88
	s_waitcnt lgkmcnt(0)
	v_mul_f64 v[121:122], v[121:122], v[131:132]
	scratch_store_b64 off, v[121:122], off offset:88
.LBB123_478:
	s_or_b32 exec_lo, exec_lo, s3
	scratch_load_b64 v[121:122], off, off offset:80
	v_cmp_lt_u32_e64 s0, 10, v0
	s_waitcnt vmcnt(0)
	ds_store_b64 v124, v[121:122]
	s_waitcnt lgkmcnt(0)
	s_waitcnt_vscnt null, 0x0
	s_barrier
	buffer_gl0_inv
	s_and_saveexec_b32 s3, s0
	s_cbranch_execz .LBB123_488
; %bb.479:
	s_and_not1_b32 vcc_lo, exec_lo, s2
	s_cbranch_vccnz .LBB123_481
; %bb.480:
	scratch_load_b64 v[121:122], v125, off
	ds_load_b64 v[131:132], v124
	s_waitcnt vmcnt(0) lgkmcnt(0)
	v_mul_f64 v[121:122], v[121:122], v[131:132]
	s_cbranch_execz .LBB123_482
	s_branch .LBB123_483
.LBB123_481:
                                        ; implicit-def: $vgpr121_vgpr122
.LBB123_482:
	ds_load_b64 v[121:122], v124
.LBB123_483:
	s_and_saveexec_b32 s4, s1
	s_cbranch_execz .LBB123_487
; %bb.484:
	v_dual_mov_b32 v131, 0 :: v_dual_add_nc_u32 v132, -11, v0
	s_movk_i32 s5, 0x238
	s_mov_b32 s1, 0
	s_delay_alu instid0(VALU_DEP_1)
	v_add_nc_u32_e32 v131, 0x58, v131
.LBB123_485:                            ; =>This Inner Loop Header: Depth=1
	scratch_load_b64 v[133:134], v131, off
	v_dual_mov_b32 v135, s5 :: v_dual_add_nc_u32 v132, -1, v132
	v_add_nc_u32_e32 v131, 8, v131
	s_add_i32 s5, s5, 8
	ds_load_b64 v[135:136], v135
	v_cmp_eq_u32_e32 vcc_lo, 0, v132
	s_or_b32 s1, vcc_lo, s1
	s_waitcnt vmcnt(0) lgkmcnt(0)
	v_fma_f64 v[121:122], v[133:134], v[135:136], v[121:122]
	s_and_not1_b32 exec_lo, exec_lo, s1
	s_cbranch_execnz .LBB123_485
; %bb.486:
	s_or_b32 exec_lo, exec_lo, s1
.LBB123_487:
	s_delay_alu instid0(SALU_CYCLE_1)
	s_or_b32 exec_lo, exec_lo, s4
	v_mov_b32_e32 v131, 0
	ds_load_b64 v[131:132], v131 offset:80
	s_waitcnt lgkmcnt(0)
	v_mul_f64 v[121:122], v[121:122], v[131:132]
	scratch_store_b64 off, v[121:122], off offset:80
.LBB123_488:
	s_or_b32 exec_lo, exec_lo, s3
	scratch_load_b64 v[121:122], off, off offset:72
	v_cmp_lt_u32_e64 s1, 9, v0
	s_waitcnt vmcnt(0)
	ds_store_b64 v124, v[121:122]
	s_waitcnt lgkmcnt(0)
	s_waitcnt_vscnt null, 0x0
	s_barrier
	buffer_gl0_inv
	s_and_saveexec_b32 s3, s1
	s_cbranch_execz .LBB123_498
; %bb.489:
	s_and_not1_b32 vcc_lo, exec_lo, s2
	s_cbranch_vccnz .LBB123_491
; %bb.490:
	scratch_load_b64 v[121:122], v125, off
	ds_load_b64 v[131:132], v124
	s_waitcnt vmcnt(0) lgkmcnt(0)
	v_mul_f64 v[121:122], v[121:122], v[131:132]
	s_cbranch_execz .LBB123_492
	s_branch .LBB123_493
.LBB123_491:
                                        ; implicit-def: $vgpr121_vgpr122
.LBB123_492:
	ds_load_b64 v[121:122], v124
.LBB123_493:
	s_and_saveexec_b32 s4, s0
	s_cbranch_execz .LBB123_497
; %bb.494:
	v_add_nc_u32_e32 v131, -10, v0
	s_movk_i32 s5, 0x230
	s_mov_b32 s0, 0
.LBB123_495:                            ; =>This Inner Loop Header: Depth=1
	scratch_load_b64 v[132:133], v130, off
	v_dual_mov_b32 v134, s5 :: v_dual_add_nc_u32 v131, -1, v131
	v_add_nc_u32_e32 v130, 8, v130
	s_add_i32 s5, s5, 8
	ds_load_b64 v[134:135], v134
	v_cmp_eq_u32_e32 vcc_lo, 0, v131
	s_or_b32 s0, vcc_lo, s0
	s_waitcnt vmcnt(0) lgkmcnt(0)
	v_fma_f64 v[121:122], v[132:133], v[134:135], v[121:122]
	s_and_not1_b32 exec_lo, exec_lo, s0
	s_cbranch_execnz .LBB123_495
; %bb.496:
	s_or_b32 exec_lo, exec_lo, s0
.LBB123_497:
	s_delay_alu instid0(SALU_CYCLE_1)
	s_or_b32 exec_lo, exec_lo, s4
	v_mov_b32_e32 v130, 0
	ds_load_b64 v[130:131], v130 offset:72
	s_waitcnt lgkmcnt(0)
	v_mul_f64 v[121:122], v[121:122], v[130:131]
	scratch_store_b64 off, v[121:122], off offset:72
.LBB123_498:
	s_or_b32 exec_lo, exec_lo, s3
	scratch_load_b64 v[121:122], off, off offset:64
	v_cmp_lt_u32_e64 s0, 8, v0
	s_waitcnt vmcnt(0)
	ds_store_b64 v124, v[121:122]
	s_waitcnt lgkmcnt(0)
	s_waitcnt_vscnt null, 0x0
	s_barrier
	buffer_gl0_inv
	s_and_saveexec_b32 s3, s0
	s_cbranch_execz .LBB123_508
; %bb.499:
	s_and_not1_b32 vcc_lo, exec_lo, s2
	s_cbranch_vccnz .LBB123_501
; %bb.500:
	scratch_load_b64 v[121:122], v125, off
	ds_load_b64 v[130:131], v124
	s_waitcnt vmcnt(0) lgkmcnt(0)
	v_mul_f64 v[121:122], v[121:122], v[130:131]
	s_cbranch_execz .LBB123_502
	s_branch .LBB123_503
.LBB123_501:
                                        ; implicit-def: $vgpr121_vgpr122
.LBB123_502:
	ds_load_b64 v[121:122], v124
.LBB123_503:
	s_and_saveexec_b32 s4, s1
	s_cbranch_execz .LBB123_507
; %bb.504:
	v_dual_mov_b32 v130, 0 :: v_dual_add_nc_u32 v131, -9, v0
	s_movk_i32 s5, 0x228
	s_mov_b32 s1, 0
	s_delay_alu instid0(VALU_DEP_1)
	v_add_nc_u32_e32 v130, 0x48, v130
.LBB123_505:                            ; =>This Inner Loop Header: Depth=1
	scratch_load_b64 v[132:133], v130, off
	v_dual_mov_b32 v134, s5 :: v_dual_add_nc_u32 v131, -1, v131
	v_add_nc_u32_e32 v130, 8, v130
	s_add_i32 s5, s5, 8
	ds_load_b64 v[134:135], v134
	v_cmp_eq_u32_e32 vcc_lo, 0, v131
	s_or_b32 s1, vcc_lo, s1
	s_waitcnt vmcnt(0) lgkmcnt(0)
	v_fma_f64 v[121:122], v[132:133], v[134:135], v[121:122]
	s_and_not1_b32 exec_lo, exec_lo, s1
	s_cbranch_execnz .LBB123_505
; %bb.506:
	s_or_b32 exec_lo, exec_lo, s1
.LBB123_507:
	s_delay_alu instid0(SALU_CYCLE_1)
	s_or_b32 exec_lo, exec_lo, s4
	v_mov_b32_e32 v130, 0
	ds_load_b64 v[130:131], v130 offset:64
	s_waitcnt lgkmcnt(0)
	v_mul_f64 v[121:122], v[121:122], v[130:131]
	scratch_store_b64 off, v[121:122], off offset:64
.LBB123_508:
	s_or_b32 exec_lo, exec_lo, s3
	scratch_load_b64 v[121:122], off, off offset:56
	v_cmp_lt_u32_e64 s1, 7, v0
	s_waitcnt vmcnt(0)
	ds_store_b64 v124, v[121:122]
	s_waitcnt lgkmcnt(0)
	s_waitcnt_vscnt null, 0x0
	s_barrier
	buffer_gl0_inv
	s_and_saveexec_b32 s3, s1
	s_cbranch_execz .LBB123_518
; %bb.509:
	s_and_not1_b32 vcc_lo, exec_lo, s2
	s_cbranch_vccnz .LBB123_511
; %bb.510:
	scratch_load_b64 v[121:122], v125, off
	ds_load_b64 v[130:131], v124
	s_waitcnt vmcnt(0) lgkmcnt(0)
	v_mul_f64 v[121:122], v[121:122], v[130:131]
	s_cbranch_execz .LBB123_512
	s_branch .LBB123_513
.LBB123_511:
                                        ; implicit-def: $vgpr121_vgpr122
.LBB123_512:
	ds_load_b64 v[121:122], v124
.LBB123_513:
	s_and_saveexec_b32 s4, s0
	s_cbranch_execz .LBB123_517
; %bb.514:
	v_add_nc_u32_e32 v130, -8, v0
	s_movk_i32 s5, 0x220
	s_mov_b32 s0, 0
.LBB123_515:                            ; =>This Inner Loop Header: Depth=1
	scratch_load_b64 v[131:132], v129, off
	v_dual_mov_b32 v133, s5 :: v_dual_add_nc_u32 v130, -1, v130
	v_add_nc_u32_e32 v129, 8, v129
	s_add_i32 s5, s5, 8
	ds_load_b64 v[133:134], v133
	v_cmp_eq_u32_e32 vcc_lo, 0, v130
	s_or_b32 s0, vcc_lo, s0
	s_waitcnt vmcnt(0) lgkmcnt(0)
	v_fma_f64 v[121:122], v[131:132], v[133:134], v[121:122]
	s_and_not1_b32 exec_lo, exec_lo, s0
	s_cbranch_execnz .LBB123_515
; %bb.516:
	s_or_b32 exec_lo, exec_lo, s0
.LBB123_517:
	s_delay_alu instid0(SALU_CYCLE_1)
	s_or_b32 exec_lo, exec_lo, s4
	v_mov_b32_e32 v129, 0
	ds_load_b64 v[129:130], v129 offset:56
	s_waitcnt lgkmcnt(0)
	v_mul_f64 v[121:122], v[121:122], v[129:130]
	scratch_store_b64 off, v[121:122], off offset:56
.LBB123_518:
	s_or_b32 exec_lo, exec_lo, s3
	scratch_load_b64 v[121:122], off, off offset:48
	v_cmp_lt_u32_e64 s0, 6, v0
	s_waitcnt vmcnt(0)
	ds_store_b64 v124, v[121:122]
	s_waitcnt lgkmcnt(0)
	s_waitcnt_vscnt null, 0x0
	s_barrier
	buffer_gl0_inv
	s_and_saveexec_b32 s3, s0
	s_cbranch_execz .LBB123_528
; %bb.519:
	s_and_not1_b32 vcc_lo, exec_lo, s2
	s_cbranch_vccnz .LBB123_521
; %bb.520:
	scratch_load_b64 v[121:122], v125, off
	ds_load_b64 v[129:130], v124
	s_waitcnt vmcnt(0) lgkmcnt(0)
	v_mul_f64 v[121:122], v[121:122], v[129:130]
	s_cbranch_execz .LBB123_522
	s_branch .LBB123_523
.LBB123_521:
                                        ; implicit-def: $vgpr121_vgpr122
.LBB123_522:
	ds_load_b64 v[121:122], v124
.LBB123_523:
	s_and_saveexec_b32 s4, s1
	s_cbranch_execz .LBB123_527
; %bb.524:
	v_add_nc_u32_e64 v129, 0, 56
	v_add_nc_u32_e32 v130, -7, v0
	s_movk_i32 s5, 0x218
	s_mov_b32 s1, 0
.LBB123_525:                            ; =>This Inner Loop Header: Depth=1
	scratch_load_b64 v[131:132], v129, off
	v_dual_mov_b32 v133, s5 :: v_dual_add_nc_u32 v130, -1, v130
	v_add_nc_u32_e32 v129, 8, v129
	s_add_i32 s5, s5, 8
	ds_load_b64 v[133:134], v133
	v_cmp_eq_u32_e32 vcc_lo, 0, v130
	s_or_b32 s1, vcc_lo, s1
	s_waitcnt vmcnt(0) lgkmcnt(0)
	v_fma_f64 v[121:122], v[131:132], v[133:134], v[121:122]
	s_and_not1_b32 exec_lo, exec_lo, s1
	s_cbranch_execnz .LBB123_525
; %bb.526:
	s_or_b32 exec_lo, exec_lo, s1
.LBB123_527:
	s_delay_alu instid0(SALU_CYCLE_1)
	s_or_b32 exec_lo, exec_lo, s4
	v_mov_b32_e32 v129, 0
	ds_load_b64 v[129:130], v129 offset:48
	s_waitcnt lgkmcnt(0)
	v_mul_f64 v[121:122], v[121:122], v[129:130]
	scratch_store_b64 off, v[121:122], off offset:48
.LBB123_528:
	s_or_b32 exec_lo, exec_lo, s3
	scratch_load_b64 v[121:122], off, off offset:40
	v_cmp_lt_u32_e64 s1, 5, v0
	s_waitcnt vmcnt(0)
	ds_store_b64 v124, v[121:122]
	s_waitcnt lgkmcnt(0)
	s_waitcnt_vscnt null, 0x0
	s_barrier
	buffer_gl0_inv
	s_and_saveexec_b32 s3, s1
	s_cbranch_execz .LBB123_538
; %bb.529:
	s_and_not1_b32 vcc_lo, exec_lo, s2
	s_cbranch_vccnz .LBB123_531
; %bb.530:
	scratch_load_b64 v[121:122], v125, off
	ds_load_b64 v[129:130], v124
	s_waitcnt vmcnt(0) lgkmcnt(0)
	v_mul_f64 v[121:122], v[121:122], v[129:130]
	s_cbranch_execz .LBB123_532
	s_branch .LBB123_533
.LBB123_531:
                                        ; implicit-def: $vgpr121_vgpr122
.LBB123_532:
	ds_load_b64 v[121:122], v124
.LBB123_533:
	s_and_saveexec_b32 s4, s0
	s_cbranch_execz .LBB123_537
; %bb.534:
	v_add_nc_u32_e32 v129, -6, v0
	s_movk_i32 s5, 0x210
	s_mov_b32 s0, 0
.LBB123_535:                            ; =>This Inner Loop Header: Depth=1
	scratch_load_b64 v[130:131], v128, off
	v_dual_mov_b32 v132, s5 :: v_dual_add_nc_u32 v129, -1, v129
	v_add_nc_u32_e32 v128, 8, v128
	s_add_i32 s5, s5, 8
	ds_load_b64 v[132:133], v132
	v_cmp_eq_u32_e32 vcc_lo, 0, v129
	s_or_b32 s0, vcc_lo, s0
	s_waitcnt vmcnt(0) lgkmcnt(0)
	v_fma_f64 v[121:122], v[130:131], v[132:133], v[121:122]
	s_and_not1_b32 exec_lo, exec_lo, s0
	s_cbranch_execnz .LBB123_535
; %bb.536:
	s_or_b32 exec_lo, exec_lo, s0
.LBB123_537:
	s_delay_alu instid0(SALU_CYCLE_1)
	s_or_b32 exec_lo, exec_lo, s4
	v_mov_b32_e32 v128, 0
	ds_load_b64 v[128:129], v128 offset:40
	s_waitcnt lgkmcnt(0)
	v_mul_f64 v[121:122], v[121:122], v[128:129]
	scratch_store_b64 off, v[121:122], off offset:40
.LBB123_538:
	s_or_b32 exec_lo, exec_lo, s3
	scratch_load_b64 v[121:122], off, off offset:32
	v_cmp_lt_u32_e64 s0, 4, v0
	s_waitcnt vmcnt(0)
	ds_store_b64 v124, v[121:122]
	s_waitcnt lgkmcnt(0)
	s_waitcnt_vscnt null, 0x0
	s_barrier
	buffer_gl0_inv
	s_and_saveexec_b32 s3, s0
	s_cbranch_execz .LBB123_548
; %bb.539:
	s_and_not1_b32 vcc_lo, exec_lo, s2
	s_cbranch_vccnz .LBB123_541
; %bb.540:
	scratch_load_b64 v[121:122], v125, off
	ds_load_b64 v[128:129], v124
	s_waitcnt vmcnt(0) lgkmcnt(0)
	v_mul_f64 v[121:122], v[121:122], v[128:129]
	s_cbranch_execz .LBB123_542
	s_branch .LBB123_543
.LBB123_541:
                                        ; implicit-def: $vgpr121_vgpr122
.LBB123_542:
	ds_load_b64 v[121:122], v124
.LBB123_543:
	s_and_saveexec_b32 s4, s1
	s_cbranch_execz .LBB123_547
; %bb.544:
	v_add_nc_u32_e64 v128, 0, 40
	v_add_nc_u32_e32 v129, -5, v0
	s_movk_i32 s5, 0x208
	s_mov_b32 s1, 0
.LBB123_545:                            ; =>This Inner Loop Header: Depth=1
	scratch_load_b64 v[130:131], v128, off
	v_dual_mov_b32 v132, s5 :: v_dual_add_nc_u32 v129, -1, v129
	v_add_nc_u32_e32 v128, 8, v128
	s_add_i32 s5, s5, 8
	ds_load_b64 v[132:133], v132
	v_cmp_eq_u32_e32 vcc_lo, 0, v129
	s_or_b32 s1, vcc_lo, s1
	s_waitcnt vmcnt(0) lgkmcnt(0)
	v_fma_f64 v[121:122], v[130:131], v[132:133], v[121:122]
	s_and_not1_b32 exec_lo, exec_lo, s1
	s_cbranch_execnz .LBB123_545
; %bb.546:
	s_or_b32 exec_lo, exec_lo, s1
.LBB123_547:
	s_delay_alu instid0(SALU_CYCLE_1)
	s_or_b32 exec_lo, exec_lo, s4
	v_mov_b32_e32 v128, 0
	ds_load_b64 v[128:129], v128 offset:32
	s_waitcnt lgkmcnt(0)
	v_mul_f64 v[121:122], v[121:122], v[128:129]
	scratch_store_b64 off, v[121:122], off offset:32
.LBB123_548:
	s_or_b32 exec_lo, exec_lo, s3
	scratch_load_b64 v[121:122], off, off offset:24
	v_cmp_lt_u32_e64 s1, 3, v0
	s_waitcnt vmcnt(0)
	ds_store_b64 v124, v[121:122]
	s_waitcnt lgkmcnt(0)
	s_waitcnt_vscnt null, 0x0
	s_barrier
	buffer_gl0_inv
	s_and_saveexec_b32 s3, s1
	s_cbranch_execz .LBB123_558
; %bb.549:
	s_and_not1_b32 vcc_lo, exec_lo, s2
	s_cbranch_vccnz .LBB123_551
; %bb.550:
	scratch_load_b64 v[121:122], v125, off
	ds_load_b64 v[128:129], v124
	s_waitcnt vmcnt(0) lgkmcnt(0)
	v_mul_f64 v[121:122], v[121:122], v[128:129]
	s_cbranch_execz .LBB123_552
	s_branch .LBB123_553
.LBB123_551:
                                        ; implicit-def: $vgpr121_vgpr122
.LBB123_552:
	ds_load_b64 v[121:122], v124
.LBB123_553:
	s_and_saveexec_b32 s4, s0
	s_cbranch_execz .LBB123_557
; %bb.554:
	v_add_nc_u32_e32 v128, -4, v0
	s_movk_i32 s5, 0x200
	s_mov_b32 s0, 0
.LBB123_555:                            ; =>This Inner Loop Header: Depth=1
	scratch_load_b64 v[129:130], v127, off
	v_dual_mov_b32 v131, s5 :: v_dual_add_nc_u32 v128, -1, v128
	v_add_nc_u32_e32 v127, 8, v127
	s_add_i32 s5, s5, 8
	ds_load_b64 v[131:132], v131
	v_cmp_eq_u32_e32 vcc_lo, 0, v128
	s_or_b32 s0, vcc_lo, s0
	s_waitcnt vmcnt(0) lgkmcnt(0)
	v_fma_f64 v[121:122], v[129:130], v[131:132], v[121:122]
	s_and_not1_b32 exec_lo, exec_lo, s0
	s_cbranch_execnz .LBB123_555
; %bb.556:
	s_or_b32 exec_lo, exec_lo, s0
.LBB123_557:
	s_delay_alu instid0(SALU_CYCLE_1)
	s_or_b32 exec_lo, exec_lo, s4
	v_mov_b32_e32 v127, 0
	ds_load_b64 v[127:128], v127 offset:24
	s_waitcnt lgkmcnt(0)
	v_mul_f64 v[121:122], v[121:122], v[127:128]
	scratch_store_b64 off, v[121:122], off offset:24
.LBB123_558:
	s_or_b32 exec_lo, exec_lo, s3
	scratch_load_b64 v[121:122], off, off offset:16
	v_cmp_lt_u32_e64 s0, 2, v0
	s_waitcnt vmcnt(0)
	ds_store_b64 v124, v[121:122]
	s_waitcnt lgkmcnt(0)
	s_waitcnt_vscnt null, 0x0
	s_barrier
	buffer_gl0_inv
	s_and_saveexec_b32 s3, s0
	s_cbranch_execz .LBB123_568
; %bb.559:
	s_and_not1_b32 vcc_lo, exec_lo, s2
	s_cbranch_vccnz .LBB123_561
; %bb.560:
	scratch_load_b64 v[121:122], v125, off
	ds_load_b64 v[127:128], v124
	s_waitcnt vmcnt(0) lgkmcnt(0)
	v_mul_f64 v[121:122], v[121:122], v[127:128]
	s_cbranch_execz .LBB123_562
	s_branch .LBB123_563
.LBB123_561:
                                        ; implicit-def: $vgpr121_vgpr122
.LBB123_562:
	ds_load_b64 v[121:122], v124
.LBB123_563:
	s_and_saveexec_b32 s4, s1
	s_cbranch_execz .LBB123_567
; %bb.564:
	v_add_nc_u32_e64 v127, 0, 24
	v_add_nc_u32_e32 v128, -3, v0
	s_movk_i32 s5, 0x1f8
	s_mov_b32 s1, 0
.LBB123_565:                            ; =>This Inner Loop Header: Depth=1
	scratch_load_b64 v[129:130], v127, off
	v_dual_mov_b32 v131, s5 :: v_dual_add_nc_u32 v128, -1, v128
	v_add_nc_u32_e32 v127, 8, v127
	s_add_i32 s5, s5, 8
	ds_load_b64 v[131:132], v131
	v_cmp_eq_u32_e32 vcc_lo, 0, v128
	s_or_b32 s1, vcc_lo, s1
	s_waitcnt vmcnt(0) lgkmcnt(0)
	v_fma_f64 v[121:122], v[129:130], v[131:132], v[121:122]
	s_and_not1_b32 exec_lo, exec_lo, s1
	s_cbranch_execnz .LBB123_565
; %bb.566:
	s_or_b32 exec_lo, exec_lo, s1
.LBB123_567:
	s_delay_alu instid0(SALU_CYCLE_1)
	s_or_b32 exec_lo, exec_lo, s4
	v_mov_b32_e32 v127, 0
	ds_load_b64 v[127:128], v127 offset:16
	s_waitcnt lgkmcnt(0)
	v_mul_f64 v[121:122], v[121:122], v[127:128]
	scratch_store_b64 off, v[121:122], off offset:16
.LBB123_568:
	s_or_b32 exec_lo, exec_lo, s3
	scratch_load_b64 v[121:122], off, off offset:8
	v_cmp_lt_u32_e64 s1, 1, v0
	s_waitcnt vmcnt(0)
	ds_store_b64 v124, v[121:122]
	s_waitcnt lgkmcnt(0)
	s_waitcnt_vscnt null, 0x0
	s_barrier
	buffer_gl0_inv
	s_and_saveexec_b32 s3, s1
	s_cbranch_execz .LBB123_578
; %bb.569:
	s_and_not1_b32 vcc_lo, exec_lo, s2
	s_cbranch_vccnz .LBB123_571
; %bb.570:
	scratch_load_b64 v[121:122], v125, off
	ds_load_b64 v[127:128], v124
	s_waitcnt vmcnt(0) lgkmcnt(0)
	v_mul_f64 v[121:122], v[121:122], v[127:128]
	s_cbranch_execz .LBB123_572
	s_branch .LBB123_573
.LBB123_571:
                                        ; implicit-def: $vgpr121_vgpr122
.LBB123_572:
	ds_load_b64 v[121:122], v124
.LBB123_573:
	s_and_saveexec_b32 s4, s0
	s_cbranch_execz .LBB123_577
; %bb.574:
	v_add_nc_u32_e32 v127, -2, v0
	s_movk_i32 s5, 0x1f0
	s_mov_b32 s0, 0
.LBB123_575:                            ; =>This Inner Loop Header: Depth=1
	scratch_load_b64 v[128:129], v126, off
	v_dual_mov_b32 v130, s5 :: v_dual_add_nc_u32 v127, -1, v127
	v_add_nc_u32_e32 v126, 8, v126
	s_add_i32 s5, s5, 8
	ds_load_b64 v[130:131], v130
	v_cmp_eq_u32_e32 vcc_lo, 0, v127
	s_or_b32 s0, vcc_lo, s0
	s_waitcnt vmcnt(0) lgkmcnt(0)
	v_fma_f64 v[121:122], v[128:129], v[130:131], v[121:122]
	s_and_not1_b32 exec_lo, exec_lo, s0
	s_cbranch_execnz .LBB123_575
; %bb.576:
	s_or_b32 exec_lo, exec_lo, s0
.LBB123_577:
	s_delay_alu instid0(SALU_CYCLE_1)
	s_or_b32 exec_lo, exec_lo, s4
	v_mov_b32_e32 v126, 0
	ds_load_b64 v[126:127], v126 offset:8
	s_waitcnt lgkmcnt(0)
	v_mul_f64 v[121:122], v[121:122], v[126:127]
	scratch_store_b64 off, v[121:122], off offset:8
.LBB123_578:
	s_or_b32 exec_lo, exec_lo, s3
	scratch_load_b64 v[121:122], off, off
	s_mov_b32 s0, 0
	s_mov_b32 s3, exec_lo
	s_waitcnt vmcnt(0)
	ds_store_b64 v124, v[121:122]
	s_waitcnt lgkmcnt(0)
	s_waitcnt_vscnt null, 0x0
	s_barrier
	buffer_gl0_inv
	v_cmpx_ne_u32_e32 0, v0
	s_cbranch_execz .LBB123_588
; %bb.579:
	s_and_not1_b32 vcc_lo, exec_lo, s2
	s_cbranch_vccnz .LBB123_581
; %bb.580:
	scratch_load_b64 v[121:122], v125, off
	ds_load_b64 v[126:127], v124
	s_waitcnt vmcnt(0) lgkmcnt(0)
	v_mul_f64 v[121:122], v[121:122], v[126:127]
	s_cbranch_execz .LBB123_582
	s_branch .LBB123_583
.LBB123_581:
                                        ; implicit-def: $vgpr121_vgpr122
.LBB123_582:
	ds_load_b64 v[121:122], v124
.LBB123_583:
	s_and_saveexec_b32 s4, s1
	s_cbranch_execz .LBB123_587
; %bb.584:
	v_or_b32_e64 v126, 0, 8
	v_add_nc_u32_e32 v127, -1, v0
	s_movk_i32 s5, 0x1e8
	s_mov_b32 s1, 0
.LBB123_585:                            ; =>This Inner Loop Header: Depth=1
	scratch_load_b64 v[128:129], v126, off
	v_dual_mov_b32 v130, s5 :: v_dual_add_nc_u32 v127, -1, v127
	v_add_nc_u32_e32 v126, 8, v126
	s_add_i32 s5, s5, 8
	ds_load_b64 v[130:131], v130
	v_cmp_eq_u32_e32 vcc_lo, 0, v127
	s_or_b32 s1, vcc_lo, s1
	s_waitcnt vmcnt(0) lgkmcnt(0)
	v_fma_f64 v[121:122], v[128:129], v[130:131], v[121:122]
	s_and_not1_b32 exec_lo, exec_lo, s1
	s_cbranch_execnz .LBB123_585
; %bb.586:
	s_or_b32 exec_lo, exec_lo, s1
.LBB123_587:
	s_delay_alu instid0(SALU_CYCLE_1)
	s_or_b32 exec_lo, exec_lo, s4
	v_mov_b32_e32 v126, 0
	ds_load_b64 v[126:127], v126
	s_waitcnt lgkmcnt(0)
	v_mul_f64 v[121:122], v[121:122], v[126:127]
	scratch_store_b64 off, v[121:122], off
.LBB123_588:
	s_or_b32 exec_lo, exec_lo, s3
.LBB123_589:
	s_delay_alu instid0(SALU_CYCLE_1)
	s_and_b32 vcc_lo, exec_lo, s0
	s_cbranch_vccz .LBB123_1175
; %bb.590:
	scratch_load_b64 v[121:122], off, off offset:8
	v_cmp_eq_u32_e64 s0, 0, v0
	s_waitcnt vmcnt(0)
	ds_store_b64 v124, v[121:122]
	s_waitcnt lgkmcnt(0)
	s_waitcnt_vscnt null, 0x0
	s_barrier
	buffer_gl0_inv
	s_and_saveexec_b32 s1, s0
	s_cbranch_execz .LBB123_596
; %bb.591:
	s_and_b32 vcc_lo, exec_lo, s2
	s_cbranch_vccz .LBB123_593
; %bb.592:
	scratch_load_b64 v[121:122], v125, off
	ds_load_b64 v[126:127], v124
	s_waitcnt vmcnt(0) lgkmcnt(0)
	v_mul_f64 v[121:122], v[121:122], v[126:127]
	s_cbranch_execz .LBB123_594
	s_branch .LBB123_595
.LBB123_593:
                                        ; implicit-def: $vgpr121_vgpr122
.LBB123_594:
	ds_load_b64 v[121:122], v124
.LBB123_595:
	v_mov_b32_e32 v126, 0
	ds_load_b64 v[126:127], v126 offset:8
	s_waitcnt lgkmcnt(0)
	v_mul_f64 v[121:122], v[121:122], v[126:127]
	scratch_store_b64 off, v[121:122], off offset:8
.LBB123_596:
	s_or_b32 exec_lo, exec_lo, s1
	scratch_load_b64 v[121:122], off, off offset:16
	v_cndmask_b32_e64 v126, 0, 1, s2
	s_mov_b32 s1, exec_lo
	s_waitcnt vmcnt(0)
	ds_store_b64 v124, v[121:122]
	s_waitcnt lgkmcnt(0)
	s_waitcnt_vscnt null, 0x0
	s_barrier
	buffer_gl0_inv
	v_cmpx_gt_u32_e32 2, v0
	s_cbranch_execz .LBB123_604
; %bb.597:
	s_and_not1_b32 vcc_lo, exec_lo, s2
	s_cbranch_vccnz .LBB123_599
; %bb.598:
	scratch_load_b64 v[121:122], v125, off
	ds_load_b64 v[127:128], v124
	s_waitcnt vmcnt(0) lgkmcnt(0)
	v_mul_f64 v[121:122], v[121:122], v[127:128]
	s_cbranch_execz .LBB123_600
	s_branch .LBB123_601
.LBB123_599:
                                        ; implicit-def: $vgpr121_vgpr122
.LBB123_600:
	ds_load_b64 v[121:122], v124
.LBB123_601:
	s_and_saveexec_b32 s2, s0
	s_cbranch_execz .LBB123_603
; %bb.602:
	scratch_load_b64 v[127:128], v125, off offset:8
	ds_load_b64 v[129:130], v124 offset:8
	s_waitcnt vmcnt(0) lgkmcnt(0)
	v_fma_f64 v[121:122], v[127:128], v[129:130], v[121:122]
.LBB123_603:
	s_or_b32 exec_lo, exec_lo, s2
	v_mov_b32_e32 v127, 0
	ds_load_b64 v[127:128], v127 offset:16
	s_waitcnt lgkmcnt(0)
	v_mul_f64 v[121:122], v[121:122], v[127:128]
	scratch_store_b64 off, v[121:122], off offset:16
.LBB123_604:
	s_or_b32 exec_lo, exec_lo, s1
	scratch_load_b64 v[121:122], off, off offset:24
	s_mov_b32 s1, exec_lo
	s_waitcnt vmcnt(0)
	ds_store_b64 v124, v[121:122]
	s_waitcnt lgkmcnt(0)
	s_waitcnt_vscnt null, 0x0
	s_barrier
	buffer_gl0_inv
	v_cmpx_gt_u32_e32 3, v0
	s_cbranch_execz .LBB123_614
; %bb.605:
	v_cmp_ne_u32_e32 vcc_lo, 1, v126
	s_cbranch_vccnz .LBB123_607
; %bb.606:
	scratch_load_b64 v[121:122], v125, off
	ds_load_b64 v[127:128], v124
	s_waitcnt vmcnt(0) lgkmcnt(0)
	v_mul_f64 v[121:122], v[121:122], v[127:128]
	s_cbranch_execz .LBB123_608
	s_branch .LBB123_609
.LBB123_607:
                                        ; implicit-def: $vgpr121_vgpr122
.LBB123_608:
	ds_load_b64 v[121:122], v124
.LBB123_609:
	s_mov_b32 s2, exec_lo
	v_cmpx_ne_u32_e32 2, v0
	s_cbranch_execz .LBB123_613
; %bb.610:
	scratch_load_b64 v[127:128], v125, off offset:8
	ds_load_b64 v[129:130], v124 offset:8
	s_waitcnt vmcnt(0) lgkmcnt(0)
	v_fma_f64 v[121:122], v[127:128], v[129:130], v[121:122]
	s_and_saveexec_b32 s3, s0
	s_cbranch_execz .LBB123_612
; %bb.611:
	scratch_load_b64 v[127:128], off, off offset:16
	v_mov_b32_e32 v129, 0
	ds_load_b64 v[129:130], v129 offset:496
	s_waitcnt vmcnt(0) lgkmcnt(0)
	v_fma_f64 v[121:122], v[127:128], v[129:130], v[121:122]
.LBB123_612:
	s_or_b32 exec_lo, exec_lo, s3
.LBB123_613:
	s_delay_alu instid0(SALU_CYCLE_1)
	s_or_b32 exec_lo, exec_lo, s2
	v_mov_b32_e32 v127, 0
	ds_load_b64 v[127:128], v127 offset:24
	s_waitcnt lgkmcnt(0)
	v_mul_f64 v[121:122], v[121:122], v[127:128]
	scratch_store_b64 off, v[121:122], off offset:24
.LBB123_614:
	s_or_b32 exec_lo, exec_lo, s1
	scratch_load_b64 v[121:122], off, off offset:32
	s_mov_b32 s0, exec_lo
	s_waitcnt vmcnt(0)
	ds_store_b64 v124, v[121:122]
	s_waitcnt lgkmcnt(0)
	s_waitcnt_vscnt null, 0x0
	s_barrier
	buffer_gl0_inv
	v_cmpx_gt_u32_e32 4, v0
	s_cbranch_execz .LBB123_624
; %bb.615:
	v_cmp_ne_u32_e32 vcc_lo, 1, v126
	s_cbranch_vccnz .LBB123_617
; %bb.616:
	scratch_load_b64 v[121:122], v125, off
	ds_load_b64 v[127:128], v124
	s_waitcnt vmcnt(0) lgkmcnt(0)
	v_mul_f64 v[121:122], v[121:122], v[127:128]
	s_cbranch_execz .LBB123_618
	s_branch .LBB123_619
.LBB123_617:
                                        ; implicit-def: $vgpr121_vgpr122
.LBB123_618:
	ds_load_b64 v[121:122], v124
.LBB123_619:
	s_mov_b32 s1, exec_lo
	v_cmpx_ne_u32_e32 3, v0
	s_cbranch_execz .LBB123_623
; %bb.620:
	v_add_nc_u32_e32 v127, 0x1e8, v123
	v_add3_u32 v128, 0, v123, 8
	v_mov_b32_e32 v129, v0
	s_mov_b32 s2, 0
.LBB123_621:                            ; =>This Inner Loop Header: Depth=1
	scratch_load_b64 v[130:131], v128, off
	ds_load_b64 v[132:133], v127
	v_add_nc_u32_e32 v129, 1, v129
	v_add_nc_u32_e32 v127, 8, v127
	v_add_nc_u32_e32 v128, 8, v128
	s_delay_alu instid0(VALU_DEP_3)
	v_cmp_lt_u32_e32 vcc_lo, 2, v129
	s_or_b32 s2, vcc_lo, s2
	s_waitcnt vmcnt(0) lgkmcnt(0)
	v_fma_f64 v[121:122], v[130:131], v[132:133], v[121:122]
	s_and_not1_b32 exec_lo, exec_lo, s2
	s_cbranch_execnz .LBB123_621
; %bb.622:
	s_or_b32 exec_lo, exec_lo, s2
.LBB123_623:
	s_delay_alu instid0(SALU_CYCLE_1)
	s_or_b32 exec_lo, exec_lo, s1
	v_mov_b32_e32 v127, 0
	ds_load_b64 v[127:128], v127 offset:32
	s_waitcnt lgkmcnt(0)
	v_mul_f64 v[121:122], v[121:122], v[127:128]
	scratch_store_b64 off, v[121:122], off offset:32
.LBB123_624:
	s_or_b32 exec_lo, exec_lo, s0
	scratch_load_b64 v[121:122], off, off offset:40
	s_mov_b32 s0, exec_lo
	s_waitcnt vmcnt(0)
	ds_store_b64 v124, v[121:122]
	s_waitcnt lgkmcnt(0)
	s_waitcnt_vscnt null, 0x0
	s_barrier
	buffer_gl0_inv
	v_cmpx_gt_u32_e32 5, v0
	s_cbranch_execz .LBB123_634
; %bb.625:
	v_cmp_ne_u32_e32 vcc_lo, 1, v126
	s_cbranch_vccnz .LBB123_627
; %bb.626:
	scratch_load_b64 v[121:122], v125, off
	ds_load_b64 v[127:128], v124
	s_waitcnt vmcnt(0) lgkmcnt(0)
	v_mul_f64 v[121:122], v[121:122], v[127:128]
	s_cbranch_execz .LBB123_628
	s_branch .LBB123_629
.LBB123_627:
                                        ; implicit-def: $vgpr121_vgpr122
.LBB123_628:
	ds_load_b64 v[121:122], v124
.LBB123_629:
	s_mov_b32 s1, exec_lo
	v_cmpx_ne_u32_e32 4, v0
	s_cbranch_execz .LBB123_633
; %bb.630:
	v_add_nc_u32_e32 v127, 0x1e8, v123
	v_add3_u32 v128, 0, v123, 8
	v_mov_b32_e32 v129, v0
	s_mov_b32 s2, 0
.LBB123_631:                            ; =>This Inner Loop Header: Depth=1
	scratch_load_b64 v[130:131], v128, off
	ds_load_b64 v[132:133], v127
	v_add_nc_u32_e32 v129, 1, v129
	v_add_nc_u32_e32 v127, 8, v127
	v_add_nc_u32_e32 v128, 8, v128
	s_delay_alu instid0(VALU_DEP_3)
	v_cmp_lt_u32_e32 vcc_lo, 3, v129
	s_or_b32 s2, vcc_lo, s2
	s_waitcnt vmcnt(0) lgkmcnt(0)
	v_fma_f64 v[121:122], v[130:131], v[132:133], v[121:122]
	s_and_not1_b32 exec_lo, exec_lo, s2
	s_cbranch_execnz .LBB123_631
; %bb.632:
	s_or_b32 exec_lo, exec_lo, s2
.LBB123_633:
	s_delay_alu instid0(SALU_CYCLE_1)
	s_or_b32 exec_lo, exec_lo, s1
	v_mov_b32_e32 v127, 0
	ds_load_b64 v[127:128], v127 offset:40
	s_waitcnt lgkmcnt(0)
	v_mul_f64 v[121:122], v[121:122], v[127:128]
	scratch_store_b64 off, v[121:122], off offset:40
.LBB123_634:
	;; [unrolled: 58-line block ×38, first 2 shown]
	s_or_b32 exec_lo, exec_lo, s0
	scratch_load_b64 v[121:122], off, off offset:336
	s_mov_b32 s0, exec_lo
	s_waitcnt vmcnt(0)
	ds_store_b64 v124, v[121:122]
	s_waitcnt lgkmcnt(0)
	s_waitcnt_vscnt null, 0x0
	s_barrier
	buffer_gl0_inv
	v_cmpx_gt_u32_e32 42, v0
	s_cbranch_execz .LBB123_1004
; %bb.995:
	v_cmp_ne_u32_e32 vcc_lo, 1, v126
	s_cbranch_vccnz .LBB123_997
; %bb.996:
	scratch_load_b64 v[121:122], v125, off
	ds_load_b64 v[127:128], v124
	s_waitcnt vmcnt(0) lgkmcnt(0)
	v_mul_f64 v[121:122], v[121:122], v[127:128]
	s_cbranch_execz .LBB123_998
	s_branch .LBB123_999
.LBB123_997:
                                        ; implicit-def: $vgpr121_vgpr122
.LBB123_998:
	ds_load_b64 v[121:122], v124
.LBB123_999:
	s_mov_b32 s1, exec_lo
	v_cmpx_ne_u32_e32 41, v0
	s_cbranch_execz .LBB123_1003
; %bb.1000:
	v_add_nc_u32_e32 v127, 0x1e8, v123
	v_add3_u32 v128, 0, v123, 8
	v_mov_b32_e32 v129, v0
	s_mov_b32 s2, 0
.LBB123_1001:                           ; =>This Inner Loop Header: Depth=1
	scratch_load_b64 v[130:131], v128, off
	ds_load_b64 v[132:133], v127
	v_add_nc_u32_e32 v129, 1, v129
	v_add_nc_u32_e32 v127, 8, v127
	v_add_nc_u32_e32 v128, 8, v128
	s_delay_alu instid0(VALU_DEP_3)
	v_cmp_lt_u32_e32 vcc_lo, 40, v129
	s_or_b32 s2, vcc_lo, s2
	s_waitcnt vmcnt(0) lgkmcnt(0)
	v_fma_f64 v[121:122], v[130:131], v[132:133], v[121:122]
	s_and_not1_b32 exec_lo, exec_lo, s2
	s_cbranch_execnz .LBB123_1001
; %bb.1002:
	s_or_b32 exec_lo, exec_lo, s2
.LBB123_1003:
	s_delay_alu instid0(SALU_CYCLE_1)
	s_or_b32 exec_lo, exec_lo, s1
	v_mov_b32_e32 v127, 0
	ds_load_b64 v[127:128], v127 offset:336
	s_waitcnt lgkmcnt(0)
	v_mul_f64 v[121:122], v[121:122], v[127:128]
	scratch_store_b64 off, v[121:122], off offset:336
.LBB123_1004:
	s_or_b32 exec_lo, exec_lo, s0
	scratch_load_b64 v[121:122], off, off offset:344
	s_mov_b32 s0, exec_lo
	s_waitcnt vmcnt(0)
	ds_store_b64 v124, v[121:122]
	s_waitcnt lgkmcnt(0)
	s_waitcnt_vscnt null, 0x0
	s_barrier
	buffer_gl0_inv
	v_cmpx_gt_u32_e32 43, v0
	s_cbranch_execz .LBB123_1014
; %bb.1005:
	v_cmp_ne_u32_e32 vcc_lo, 1, v126
	s_cbranch_vccnz .LBB123_1007
; %bb.1006:
	scratch_load_b64 v[121:122], v125, off
	ds_load_b64 v[127:128], v124
	s_waitcnt vmcnt(0) lgkmcnt(0)
	v_mul_f64 v[121:122], v[121:122], v[127:128]
	s_cbranch_execz .LBB123_1008
	s_branch .LBB123_1009
.LBB123_1007:
                                        ; implicit-def: $vgpr121_vgpr122
.LBB123_1008:
	ds_load_b64 v[121:122], v124
.LBB123_1009:
	s_mov_b32 s1, exec_lo
	v_cmpx_ne_u32_e32 42, v0
	s_cbranch_execz .LBB123_1013
; %bb.1010:
	v_add_nc_u32_e32 v127, 0x1e8, v123
	v_add3_u32 v128, 0, v123, 8
	v_mov_b32_e32 v129, v0
	s_mov_b32 s2, 0
.LBB123_1011:                           ; =>This Inner Loop Header: Depth=1
	scratch_load_b64 v[130:131], v128, off
	ds_load_b64 v[132:133], v127
	v_add_nc_u32_e32 v129, 1, v129
	v_add_nc_u32_e32 v127, 8, v127
	v_add_nc_u32_e32 v128, 8, v128
	s_delay_alu instid0(VALU_DEP_3)
	v_cmp_lt_u32_e32 vcc_lo, 41, v129
	s_or_b32 s2, vcc_lo, s2
	s_waitcnt vmcnt(0) lgkmcnt(0)
	v_fma_f64 v[121:122], v[130:131], v[132:133], v[121:122]
	s_and_not1_b32 exec_lo, exec_lo, s2
	s_cbranch_execnz .LBB123_1011
; %bb.1012:
	s_or_b32 exec_lo, exec_lo, s2
.LBB123_1013:
	s_delay_alu instid0(SALU_CYCLE_1)
	s_or_b32 exec_lo, exec_lo, s1
	v_mov_b32_e32 v127, 0
	ds_load_b64 v[127:128], v127 offset:344
	s_waitcnt lgkmcnt(0)
	v_mul_f64 v[121:122], v[121:122], v[127:128]
	scratch_store_b64 off, v[121:122], off offset:344
.LBB123_1014:
	;; [unrolled: 58-line block ×16, first 2 shown]
	s_or_b32 exec_lo, exec_lo, s0
	scratch_load_b64 v[121:122], off, off offset:464
	v_cmp_gt_u32_e64 s0, 58, v0
	s_waitcnt vmcnt(0)
	ds_store_b64 v124, v[121:122]
	s_waitcnt lgkmcnt(0)
	s_waitcnt_vscnt null, 0x0
	s_barrier
	buffer_gl0_inv
	s_and_saveexec_b32 s1, s0
	s_cbranch_execz .LBB123_1164
; %bb.1155:
	v_cmp_ne_u32_e32 vcc_lo, 1, v126
	s_cbranch_vccnz .LBB123_1157
; %bb.1156:
	scratch_load_b64 v[121:122], v125, off
	ds_load_b64 v[127:128], v124
	s_waitcnt vmcnt(0) lgkmcnt(0)
	v_mul_f64 v[121:122], v[121:122], v[127:128]
	s_cbranch_execz .LBB123_1158
	s_branch .LBB123_1159
.LBB123_1157:
                                        ; implicit-def: $vgpr121_vgpr122
.LBB123_1158:
	ds_load_b64 v[121:122], v124
.LBB123_1159:
	s_mov_b32 s2, exec_lo
	v_cmpx_ne_u32_e32 57, v0
	s_cbranch_execz .LBB123_1163
; %bb.1160:
	v_add_nc_u32_e32 v127, 0x1e8, v123
	v_add3_u32 v128, 0, v123, 8
	v_mov_b32_e32 v129, v0
	s_mov_b32 s3, 0
.LBB123_1161:                           ; =>This Inner Loop Header: Depth=1
	scratch_load_b64 v[130:131], v128, off
	ds_load_b64 v[132:133], v127
	v_add_nc_u32_e32 v129, 1, v129
	v_add_nc_u32_e32 v127, 8, v127
	;; [unrolled: 1-line block ×3, first 2 shown]
	s_delay_alu instid0(VALU_DEP_3)
	v_cmp_lt_u32_e32 vcc_lo, 56, v129
	s_or_b32 s3, vcc_lo, s3
	s_waitcnt vmcnt(0) lgkmcnt(0)
	v_fma_f64 v[121:122], v[130:131], v[132:133], v[121:122]
	s_and_not1_b32 exec_lo, exec_lo, s3
	s_cbranch_execnz .LBB123_1161
; %bb.1162:
	s_or_b32 exec_lo, exec_lo, s3
.LBB123_1163:
	s_delay_alu instid0(SALU_CYCLE_1)
	s_or_b32 exec_lo, exec_lo, s2
	v_mov_b32_e32 v127, 0
	ds_load_b64 v[127:128], v127 offset:464
	s_waitcnt lgkmcnt(0)
	v_mul_f64 v[121:122], v[121:122], v[127:128]
	scratch_store_b64 off, v[121:122], off offset:464
.LBB123_1164:
	s_or_b32 exec_lo, exec_lo, s1
	scratch_load_b64 v[121:122], off, off offset:472
	s_mov_b32 s1, exec_lo
	s_waitcnt vmcnt(0)
	ds_store_b64 v124, v[121:122]
	s_waitcnt lgkmcnt(0)
	s_waitcnt_vscnt null, 0x0
	s_barrier
	buffer_gl0_inv
	v_cmpx_ne_u32_e32 59, v0
	s_cbranch_execz .LBB123_1174
; %bb.1165:
	v_cmp_ne_u32_e32 vcc_lo, 1, v126
	s_cbranch_vccnz .LBB123_1167
; %bb.1166:
	scratch_load_b64 v[121:122], v125, off
	ds_load_b64 v[125:126], v124
	s_waitcnt vmcnt(0) lgkmcnt(0)
	v_mul_f64 v[121:122], v[121:122], v[125:126]
	s_cbranch_execz .LBB123_1168
	s_branch .LBB123_1169
.LBB123_1167:
                                        ; implicit-def: $vgpr121_vgpr122
.LBB123_1168:
	ds_load_b64 v[121:122], v124
.LBB123_1169:
	s_and_saveexec_b32 s2, s0
	s_cbranch_execz .LBB123_1173
; %bb.1170:
	v_add_nc_u32_e32 v124, 0x1e8, v123
	v_add3_u32 v123, 0, v123, 8
	s_mov_b32 s0, 0
.LBB123_1171:                           ; =>This Inner Loop Header: Depth=1
	scratch_load_b64 v[125:126], v123, off
	ds_load_b64 v[127:128], v124
	v_add_nc_u32_e32 v0, 1, v0
	v_add_nc_u32_e32 v124, 8, v124
	;; [unrolled: 1-line block ×3, first 2 shown]
	s_delay_alu instid0(VALU_DEP_3)
	v_cmp_lt_u32_e32 vcc_lo, 57, v0
	s_or_b32 s0, vcc_lo, s0
	s_waitcnt vmcnt(0) lgkmcnt(0)
	v_fma_f64 v[121:122], v[125:126], v[127:128], v[121:122]
	s_and_not1_b32 exec_lo, exec_lo, s0
	s_cbranch_execnz .LBB123_1171
; %bb.1172:
	s_or_b32 exec_lo, exec_lo, s0
.LBB123_1173:
	s_delay_alu instid0(SALU_CYCLE_1)
	s_or_b32 exec_lo, exec_lo, s2
	v_mov_b32_e32 v0, 0
	ds_load_b64 v[123:124], v0 offset:472
	s_waitcnt lgkmcnt(0)
	v_mul_f64 v[121:122], v[121:122], v[123:124]
	scratch_store_b64 off, v[121:122], off offset:472
.LBB123_1174:
	s_or_b32 exec_lo, exec_lo, s1
.LBB123_1175:
	s_clause 0xd
	scratch_load_b128 v[121:124], off, off
	scratch_load_b128 v[125:128], off, off offset:16
	scratch_load_b128 v[129:132], off, off offset:32
	;; [unrolled: 1-line block ×13, first 2 shown]
	s_waitcnt vmcnt(13)
	s_clause 0x1
	global_store_b64 v[27:28], v[121:122], off
	global_store_b64 v[15:16], v[123:124], off
	scratch_load_b128 v[121:124], off, off offset:176
	s_waitcnt vmcnt(13)
	s_clause 0x1
	global_store_b64 v[11:12], v[125:126], off
	global_store_b64 v[3:4], v[127:128], off
	scratch_load_b128 v[125:128], off, off offset:208
	s_waitcnt vmcnt(13)
	s_clause 0x1
	global_store_b64 v[49:50], v[129:130], off
	global_store_b64 v[47:48], v[131:132], off
	s_clause 0x1
	scratch_load_b128 v[47:50], off, off offset:240
	scratch_load_b128 v[129:132], off, off offset:256
	s_waitcnt vmcnt(14)
	s_clause 0x1
	global_store_b64 v[37:38], v[133:134], off
	global_store_b64 v[45:46], v[135:136], off
	scratch_load_b128 v[133:136], off, off offset:272
	s_waitcnt vmcnt(14)
	s_clause 0x1
	global_store_b64 v[41:42], v[137:138], off
	global_store_b64 v[33:34], v[139:140], off
	scratch_load_b128 v[137:140], off, off offset:304
	s_waitcnt vmcnt(14)
	global_store_b64 v[35:36], v[141:142], off
	scratch_load_b128 v[33:36], off, off offset:320
	global_store_b64 v[31:32], v[143:144], off
	scratch_load_b128 v[141:144], off, off offset:336
	s_waitcnt vmcnt(15)
	global_store_b64 v[29:30], v[145:146], off
	scratch_load_b128 v[27:30], off, off offset:352
	;; [unrolled: 5-line block ×4, first 2 shown]
	global_store_b64 v[5:6], v[155:156], off
	scratch_load_b128 v[3:6], off, off offset:432
	s_waitcnt vmcnt(18)
	global_store_b64 v[19:20], v[157:158], off
	s_clause 0x1
	scratch_load_b128 v[19:22], off, off offset:448
	scratch_load_b128 v[153:156], off, off offset:464
	global_store_b64 v[7:8], v[159:160], off
	s_waitcnt vmcnt(19)
	s_clause 0x1
	global_store_b64 v[9:10], v[161:162], off
	global_store_b64 v[13:14], v[163:164], off
	s_waitcnt vmcnt(15)
	s_clause 0x3
	global_store_b64 v[39:40], v[121:122], off
	global_store_b64 v[43:44], v[123:124], off
	global_store_b64 v[51:52], v[165:166], off
	global_store_b64 v[53:54], v[167:168], off
	s_waitcnt vmcnt(14)
	s_clause 0x3
	global_store_b64 v[55:56], v[125:126], off
	global_store_b64 v[57:58], v[127:128], off
	;; [unrolled: 6-line block ×3, first 2 shown]
	s_waitcnt vmcnt(12)
	s_clause 0x1
	global_store_b64 v[67:68], v[129:130], off
	global_store_b64 v[69:70], v[131:132], off
	s_waitcnt vmcnt(11)
	s_clause 0x3
	global_store_b64 v[71:72], v[133:134], off
	global_store_b64 v[73:74], v[135:136], off
	;; [unrolled: 1-line block ×4, first 2 shown]
	s_waitcnt vmcnt(10)
	s_clause 0x1
	global_store_b64 v[79:80], v[137:138], off
	global_store_b64 v[81:82], v[139:140], off
	s_waitcnt vmcnt(9)
	s_clause 0x1
	global_store_b64 v[83:84], v[33:34], off
	global_store_b64 v[85:86], v[35:36], off
	;; [unrolled: 4-line block ×11, first 2 shown]
.LBB123_1176:
	s_endpgm
	.section	.rodata,"a",@progbits
	.p2align	6, 0x0
	.amdhsa_kernel _ZN9rocsolver6v33100L18trti2_kernel_smallILi60EdPKPdEEv13rocblas_fill_17rocblas_diagonal_T1_iil
		.amdhsa_group_segment_fixed_size 960
		.amdhsa_private_segment_fixed_size 496
		.amdhsa_kernarg_size 32
		.amdhsa_user_sgpr_count 15
		.amdhsa_user_sgpr_dispatch_ptr 0
		.amdhsa_user_sgpr_queue_ptr 0
		.amdhsa_user_sgpr_kernarg_segment_ptr 1
		.amdhsa_user_sgpr_dispatch_id 0
		.amdhsa_user_sgpr_private_segment_size 0
		.amdhsa_wavefront_size32 1
		.amdhsa_uses_dynamic_stack 0
		.amdhsa_enable_private_segment 1
		.amdhsa_system_sgpr_workgroup_id_x 1
		.amdhsa_system_sgpr_workgroup_id_y 0
		.amdhsa_system_sgpr_workgroup_id_z 0
		.amdhsa_system_sgpr_workgroup_info 0
		.amdhsa_system_vgpr_workitem_id 0
		.amdhsa_next_free_vgpr 177
		.amdhsa_next_free_sgpr 27
		.amdhsa_reserve_vcc 1
		.amdhsa_float_round_mode_32 0
		.amdhsa_float_round_mode_16_64 0
		.amdhsa_float_denorm_mode_32 3
		.amdhsa_float_denorm_mode_16_64 3
		.amdhsa_dx10_clamp 1
		.amdhsa_ieee_mode 1
		.amdhsa_fp16_overflow 0
		.amdhsa_workgroup_processor_mode 1
		.amdhsa_memory_ordered 1
		.amdhsa_forward_progress 0
		.amdhsa_shared_vgpr_count 0
		.amdhsa_exception_fp_ieee_invalid_op 0
		.amdhsa_exception_fp_denorm_src 0
		.amdhsa_exception_fp_ieee_div_zero 0
		.amdhsa_exception_fp_ieee_overflow 0
		.amdhsa_exception_fp_ieee_underflow 0
		.amdhsa_exception_fp_ieee_inexact 0
		.amdhsa_exception_int_div_zero 0
	.end_amdhsa_kernel
	.section	.text._ZN9rocsolver6v33100L18trti2_kernel_smallILi60EdPKPdEEv13rocblas_fill_17rocblas_diagonal_T1_iil,"axG",@progbits,_ZN9rocsolver6v33100L18trti2_kernel_smallILi60EdPKPdEEv13rocblas_fill_17rocblas_diagonal_T1_iil,comdat
.Lfunc_end123:
	.size	_ZN9rocsolver6v33100L18trti2_kernel_smallILi60EdPKPdEEv13rocblas_fill_17rocblas_diagonal_T1_iil, .Lfunc_end123-_ZN9rocsolver6v33100L18trti2_kernel_smallILi60EdPKPdEEv13rocblas_fill_17rocblas_diagonal_T1_iil
                                        ; -- End function
	.section	.AMDGPU.csdata,"",@progbits
; Kernel info:
; codeLenInByte = 32940
; NumSgprs: 29
; NumVgprs: 177
; ScratchSize: 496
; MemoryBound: 0
; FloatMode: 240
; IeeeMode: 1
; LDSByteSize: 960 bytes/workgroup (compile time only)
; SGPRBlocks: 3
; VGPRBlocks: 22
; NumSGPRsForWavesPerEU: 29
; NumVGPRsForWavesPerEU: 177
; Occupancy: 8
; WaveLimiterHint : 1
; COMPUTE_PGM_RSRC2:SCRATCH_EN: 1
; COMPUTE_PGM_RSRC2:USER_SGPR: 15
; COMPUTE_PGM_RSRC2:TRAP_HANDLER: 0
; COMPUTE_PGM_RSRC2:TGID_X_EN: 1
; COMPUTE_PGM_RSRC2:TGID_Y_EN: 0
; COMPUTE_PGM_RSRC2:TGID_Z_EN: 0
; COMPUTE_PGM_RSRC2:TIDIG_COMP_CNT: 0
	.section	.text._ZN9rocsolver6v33100L18trti2_kernel_smallILi61EdPKPdEEv13rocblas_fill_17rocblas_diagonal_T1_iil,"axG",@progbits,_ZN9rocsolver6v33100L18trti2_kernel_smallILi61EdPKPdEEv13rocblas_fill_17rocblas_diagonal_T1_iil,comdat
	.globl	_ZN9rocsolver6v33100L18trti2_kernel_smallILi61EdPKPdEEv13rocblas_fill_17rocblas_diagonal_T1_iil ; -- Begin function _ZN9rocsolver6v33100L18trti2_kernel_smallILi61EdPKPdEEv13rocblas_fill_17rocblas_diagonal_T1_iil
	.p2align	8
	.type	_ZN9rocsolver6v33100L18trti2_kernel_smallILi61EdPKPdEEv13rocblas_fill_17rocblas_diagonal_T1_iil,@function
_ZN9rocsolver6v33100L18trti2_kernel_smallILi61EdPKPdEEv13rocblas_fill_17rocblas_diagonal_T1_iil: ; @_ZN9rocsolver6v33100L18trti2_kernel_smallILi61EdPKPdEEv13rocblas_fill_17rocblas_diagonal_T1_iil
; %bb.0:
	s_mov_b32 s2, exec_lo
	v_cmpx_gt_u32_e32 61, v0
	s_cbranch_execz .LBB124_1196
; %bb.1:
	s_clause 0x1
	s_load_b64 s[4:5], s[0:1], 0x10
	s_load_b128 s[0:3], s[0:1], 0x0
	s_mov_b32 s6, s15
	s_ashr_i32 s7, s15, 31
	v_lshlrev_b32_e32 v145, 3, v0
	s_lshl_b64 s[6:7], s[6:7], 3
	s_waitcnt lgkmcnt(0)
	s_ashr_i32 s9, s4, 31
	s_add_u32 s2, s2, s6
	s_addc_u32 s3, s3, s7
	v_add3_u32 v1, s5, s5, v0
	s_load_b64 s[2:3], s[2:3], 0x0
	s_mov_b32 s8, s4
	s_mov_b32 s6, s5
	s_lshl_b64 s[8:9], s[8:9], 3
	v_add_nc_u32_e32 v3, s5, v1
	v_ashrrev_i32_e32 v2, 31, v1
	s_delay_alu instid0(VALU_DEP_2) | instskip(SKIP_1) | instid1(VALU_DEP_3)
	v_add_nc_u32_e32 v5, s5, v3
	v_ashrrev_i32_e32 v4, 31, v3
	v_lshlrev_b64 v[9:10], 3, v[1:2]
	s_delay_alu instid0(VALU_DEP_3) | instskip(SKIP_1) | instid1(VALU_DEP_4)
	v_add_nc_u32_e32 v7, s5, v5
	v_ashrrev_i32_e32 v6, 31, v5
	v_lshlrev_b64 v[3:4], 3, v[3:4]
	s_delay_alu instid0(VALU_DEP_3)
	v_add_nc_u32_e32 v11, s5, v7
	s_waitcnt lgkmcnt(0)
	s_add_u32 s2, s2, s8
	v_lshlrev_b64 v[5:6], 3, v[5:6]
	s_addc_u32 s3, s3, s9
	v_add_co_u32 v53, vcc_lo, s2, v9
	v_ashrrev_i32_e32 v8, 31, v7
	v_add_co_ci_u32_e32 v54, vcc_lo, s3, v10, vcc_lo
	v_add_co_u32 v47, vcc_lo, s2, v3
	v_add_nc_u32_e32 v13, s5, v11
	v_add_co_u32 v63, s4, s2, v145
	s_ashr_i32 s7, s5, 31
	v_add_co_ci_u32_e32 v48, vcc_lo, s3, v4, vcc_lo
	v_lshlrev_b64 v[7:8], 3, v[7:8]
	v_add_co_ci_u32_e64 v64, null, s3, 0, s4
	v_add_co_u32 v45, vcc_lo, s2, v5
	s_lshl_b64 s[6:7], s[6:7], 3
	v_ashrrev_i32_e32 v12, 31, v11
	v_add_co_ci_u32_e32 v46, vcc_lo, s3, v6, vcc_lo
	v_ashrrev_i32_e32 v14, 31, v13
	v_add_co_u32 v59, vcc_lo, v63, s6
	v_add_nc_u32_e32 v15, s5, v13
	v_add_co_ci_u32_e32 v60, vcc_lo, s7, v64, vcc_lo
	v_add_co_u32 v49, vcc_lo, s2, v7
	v_lshlrev_b64 v[3:4], 3, v[11:12]
	v_add_co_ci_u32_e32 v50, vcc_lo, s3, v8, vcc_lo
	v_lshlrev_b64 v[7:8], 3, v[13:14]
	v_add_nc_u32_e32 v13, s5, v15
	v_ashrrev_i32_e32 v16, 31, v15
	v_add_co_u32 v51, vcc_lo, s2, v3
	v_add_co_ci_u32_e32 v52, vcc_lo, s3, v4, vcc_lo
	s_delay_alu instid0(VALU_DEP_4)
	v_ashrrev_i32_e32 v14, 31, v13
	v_add_nc_u32_e32 v17, s5, v13
	v_lshlrev_b64 v[15:16], 3, v[15:16]
	v_add_co_u32 v55, vcc_lo, s2, v7
	v_add_co_ci_u32_e32 v56, vcc_lo, s3, v8, vcc_lo
	v_lshlrev_b64 v[7:8], 3, v[13:14]
	v_ashrrev_i32_e32 v18, 31, v17
	v_add_nc_u32_e32 v13, s5, v17
	v_add_co_u32 v57, vcc_lo, s2, v15
	v_add_co_ci_u32_e32 v58, vcc_lo, s3, v16, vcc_lo
	s_delay_alu instid0(VALU_DEP_4) | instskip(NEXT) | instid1(VALU_DEP_4)
	v_lshlrev_b64 v[15:16], 3, v[17:18]
	v_ashrrev_i32_e32 v14, 31, v13
	v_add_nc_u32_e32 v17, s5, v13
	v_add_co_u32 v61, vcc_lo, s2, v7
	v_add_co_ci_u32_e32 v62, vcc_lo, s3, v8, vcc_lo
	s_delay_alu instid0(VALU_DEP_4) | instskip(NEXT) | instid1(VALU_DEP_4)
	v_lshlrev_b64 v[7:8], 3, v[13:14]
	v_ashrrev_i32_e32 v18, 31, v17
	v_add_nc_u32_e32 v13, s5, v17
	v_add_co_u32 v65, vcc_lo, s2, v15
	v_add_co_ci_u32_e32 v66, vcc_lo, s3, v16, vcc_lo
	s_delay_alu instid0(VALU_DEP_4) | instskip(NEXT) | instid1(VALU_DEP_4)
	v_lshlrev_b64 v[15:16], 3, v[17:18]
	v_ashrrev_i32_e32 v14, 31, v13
	v_add_nc_u32_e32 v17, s5, v13
	v_add_co_u32 v67, vcc_lo, s2, v7
	v_add_co_ci_u32_e32 v68, vcc_lo, s3, v8, vcc_lo
	s_delay_alu instid0(VALU_DEP_4) | instskip(NEXT) | instid1(VALU_DEP_4)
	v_lshlrev_b64 v[7:8], 3, v[13:14]
	v_ashrrev_i32_e32 v18, 31, v17
	v_add_nc_u32_e32 v13, s5, v17
	v_add_co_u32 v69, vcc_lo, s2, v15
	v_add_co_ci_u32_e32 v70, vcc_lo, s3, v16, vcc_lo
	s_delay_alu instid0(VALU_DEP_4) | instskip(NEXT) | instid1(VALU_DEP_4)
	v_lshlrev_b64 v[15:16], 3, v[17:18]
	v_ashrrev_i32_e32 v14, 31, v13
	v_add_nc_u32_e32 v17, s5, v13
	v_add_co_u32 v71, vcc_lo, s2, v7
	v_add_co_ci_u32_e32 v72, vcc_lo, s3, v8, vcc_lo
	s_delay_alu instid0(VALU_DEP_4) | instskip(NEXT) | instid1(VALU_DEP_4)
	v_lshlrev_b64 v[7:8], 3, v[13:14]
	v_ashrrev_i32_e32 v18, 31, v17
	v_add_nc_u32_e32 v13, s5, v17
	v_add_co_u32 v73, vcc_lo, s2, v15
	global_load_b64 v[1:2], v145, s[2:3]
	v_add_co_ci_u32_e32 v74, vcc_lo, s3, v16, vcc_lo
	v_lshlrev_b64 v[15:16], 3, v[17:18]
	v_add_nc_u32_e32 v17, s5, v13
	s_clause 0x3
	global_load_b64 v[3:4], v[59:60], off
	global_load_b64 v[9:10], v[53:54], off
	;; [unrolled: 1-line block ×4, first 2 shown]
	v_ashrrev_i32_e32 v14, 31, v13
	v_add_co_u32 v75, vcc_lo, s2, v7
	v_ashrrev_i32_e32 v18, 31, v17
	v_add_nc_u32_e32 v19, s5, v17
	v_add_co_ci_u32_e32 v76, vcc_lo, s3, v8, vcc_lo
	v_lshlrev_b64 v[13:14], 3, v[13:14]
	v_add_co_u32 v93, vcc_lo, s2, v15
	s_clause 0x2
	global_load_b64 v[7:8], v[49:50], off
	global_load_b64 v[146:147], v[51:52], off
	;; [unrolled: 1-line block ×3, first 2 shown]
	v_add_co_ci_u32_e32 v94, vcc_lo, s3, v16, vcc_lo
	v_lshlrev_b64 v[15:16], 3, v[17:18]
	v_ashrrev_i32_e32 v20, 31, v19
	v_add_nc_u32_e32 v17, s5, v19
	v_add_co_u32 v89, vcc_lo, s2, v13
	s_clause 0x1
	global_load_b64 v[150:151], v[57:58], off
	global_load_b64 v[152:153], v[61:62], off
	v_add_co_ci_u32_e32 v90, vcc_lo, s3, v14, vcc_lo
	v_lshlrev_b64 v[13:14], 3, v[19:20]
	v_add_nc_u32_e32 v19, s5, v17
	v_ashrrev_i32_e32 v18, 31, v17
	s_clause 0x3
	global_load_b64 v[33:34], v[65:66], off
	global_load_b64 v[35:36], v[67:68], off
	;; [unrolled: 1-line block ×4, first 2 shown]
	v_add_co_u32 v87, vcc_lo, s2, v15
	v_ashrrev_i32_e32 v20, 31, v19
	s_clause 0x1
	global_load_b64 v[41:42], v[73:74], off
	global_load_b64 v[43:44], v[75:76], off
	v_add_co_ci_u32_e32 v88, vcc_lo, s3, v16, vcc_lo
	v_lshlrev_b64 v[15:16], 3, v[17:18]
	v_add_co_u32 v81, vcc_lo, s2, v13
	v_add_co_ci_u32_e32 v82, vcc_lo, s3, v14, vcc_lo
	v_lshlrev_b64 v[13:14], 3, v[19:20]
	s_delay_alu instid0(VALU_DEP_4) | instskip(SKIP_2) | instid1(VALU_DEP_3)
	v_add_co_u32 v77, vcc_lo, s2, v15
	v_add_co_ci_u32_e32 v78, vcc_lo, s3, v16, vcc_lo
	s_cmpk_lg_i32 s1, 0x84
	v_add_co_u32 v79, vcc_lo, s2, v13
	s_delay_alu instid0(VALU_DEP_4)
	v_add_co_ci_u32_e32 v80, vcc_lo, s3, v14, vcc_lo
	s_clause 0x5
	global_load_b64 v[21:22], v[93:94], off
	global_load_b64 v[23:24], v[89:90], off
	;; [unrolled: 1-line block ×6, first 2 shown]
	v_add_nc_u32_e32 v13, s5, v19
	s_delay_alu instid0(VALU_DEP_1) | instskip(SKIP_1) | instid1(VALU_DEP_2)
	v_add_nc_u32_e32 v15, s5, v13
	v_ashrrev_i32_e32 v14, 31, v13
	v_add_nc_u32_e32 v17, s5, v15
	v_ashrrev_i32_e32 v16, 31, v15
	s_delay_alu instid0(VALU_DEP_3) | instskip(NEXT) | instid1(VALU_DEP_3)
	v_lshlrev_b64 v[13:14], 3, v[13:14]
	v_ashrrev_i32_e32 v18, 31, v17
	v_add_nc_u32_e32 v19, s5, v17
	s_delay_alu instid0(VALU_DEP_4) | instskip(NEXT) | instid1(VALU_DEP_4)
	v_lshlrev_b64 v[15:16], 3, v[15:16]
	v_add_co_u32 v83, vcc_lo, s2, v13
	v_add_co_ci_u32_e32 v84, vcc_lo, s3, v14, vcc_lo
	v_lshlrev_b64 v[13:14], 3, v[17:18]
	v_ashrrev_i32_e32 v20, 31, v19
	v_add_nc_u32_e32 v17, s5, v19
	v_add_co_u32 v85, vcc_lo, s2, v15
	v_add_co_ci_u32_e32 v86, vcc_lo, s3, v16, vcc_lo
	s_delay_alu instid0(VALU_DEP_4) | instskip(NEXT) | instid1(VALU_DEP_4)
	v_lshlrev_b64 v[15:16], 3, v[19:20]
	v_add_nc_u32_e32 v19, s5, v17
	v_ashrrev_i32_e32 v18, 31, v17
	v_add_co_u32 v91, vcc_lo, s2, v13
	v_add_co_ci_u32_e32 v92, vcc_lo, s3, v14, vcc_lo
	s_delay_alu instid0(VALU_DEP_4) | instskip(SKIP_3) | instid1(VALU_DEP_4)
	v_add_nc_u32_e32 v99, s5, v19
	v_ashrrev_i32_e32 v20, 31, v19
	v_lshlrev_b64 v[97:98], 3, v[17:18]
	v_add_co_u32 v95, vcc_lo, s2, v15
	v_add_nc_u32_e32 v101, s5, v99
	s_delay_alu instid0(VALU_DEP_4) | instskip(SKIP_2) | instid1(VALU_DEP_4)
	v_lshlrev_b64 v[19:20], 3, v[19:20]
	v_ashrrev_i32_e32 v100, 31, v99
	v_add_co_ci_u32_e32 v96, vcc_lo, s3, v16, vcc_lo
	v_add_nc_u32_e32 v105, s5, v101
	v_add_co_u32 v97, vcc_lo, s2, v97
	v_ashrrev_i32_e32 v102, 31, v101
	v_add_co_ci_u32_e32 v98, vcc_lo, s3, v98, vcc_lo
	s_delay_alu instid0(VALU_DEP_4) | instskip(SKIP_3) | instid1(VALU_DEP_4)
	v_add_nc_u32_e32 v107, s5, v105
	v_lshlrev_b64 v[103:104], 3, v[99:100]
	v_add_co_u32 v99, vcc_lo, s2, v19
	v_add_co_ci_u32_e32 v100, vcc_lo, s3, v20, vcc_lo
	v_add_nc_u32_e32 v109, s5, v107
	v_lshlrev_b64 v[19:20], 3, v[101:102]
	v_ashrrev_i32_e32 v106, 31, v105
	v_add_co_u32 v101, vcc_lo, s2, v103
	s_delay_alu instid0(VALU_DEP_4) | instskip(SKIP_3) | instid1(VALU_DEP_4)
	v_add_nc_u32_e32 v111, s5, v109
	v_ashrrev_i32_e32 v108, 31, v107
	v_add_co_ci_u32_e32 v102, vcc_lo, s3, v104, vcc_lo
	v_lshlrev_b64 v[105:106], 3, v[105:106]
	v_add_nc_u32_e32 v113, s5, v111
	v_add_co_u32 v103, vcc_lo, s2, v19
	v_add_co_ci_u32_e32 v104, vcc_lo, s3, v20, vcc_lo
	s_delay_alu instid0(VALU_DEP_3) | instskip(SKIP_3) | instid1(VALU_DEP_4)
	v_add_nc_u32_e32 v115, s5, v113
	v_lshlrev_b64 v[19:20], 3, v[107:108]
	v_ashrrev_i32_e32 v110, 31, v109
	v_add_co_u32 v105, vcc_lo, s2, v105
	v_add_nc_u32_e32 v117, s5, v115
	v_ashrrev_i32_e32 v112, 31, v111
	v_add_co_ci_u32_e32 v106, vcc_lo, s3, v106, vcc_lo
	v_lshlrev_b64 v[109:110], 3, v[109:110]
	s_delay_alu instid0(VALU_DEP_4) | instskip(SKIP_2) | instid1(VALU_DEP_3)
	v_add_nc_u32_e32 v119, s5, v117
	v_add_co_u32 v107, vcc_lo, s2, v19
	v_add_co_ci_u32_e32 v108, vcc_lo, s3, v20, vcc_lo
	v_add_nc_u32_e32 v121, s5, v119
	v_lshlrev_b64 v[19:20], 3, v[111:112]
	v_ashrrev_i32_e32 v114, 31, v113
	v_add_co_u32 v109, vcc_lo, s2, v109
	s_delay_alu instid0(VALU_DEP_4)
	v_add_nc_u32_e32 v123, s5, v121
	v_ashrrev_i32_e32 v116, 31, v115
	v_add_co_ci_u32_e32 v110, vcc_lo, s3, v110, vcc_lo
	v_lshlrev_b64 v[113:114], 3, v[113:114]
	v_add_co_u32 v111, vcc_lo, s2, v19
	v_add_nc_u32_e32 v125, s5, v123
	v_add_co_ci_u32_e32 v112, vcc_lo, s3, v20, vcc_lo
	v_lshlrev_b64 v[19:20], 3, v[115:116]
	v_ashrrev_i32_e32 v118, 31, v117
	v_add_co_u32 v113, vcc_lo, s2, v113
	v_ashrrev_i32_e32 v120, 31, v119
	v_add_nc_u32_e32 v127, s5, v125
	v_add_co_ci_u32_e32 v114, vcc_lo, s3, v114, vcc_lo
	v_lshlrev_b64 v[117:118], 3, v[117:118]
	v_add_co_u32 v115, vcc_lo, s2, v19
	v_add_co_ci_u32_e32 v116, vcc_lo, s3, v20, vcc_lo
	v_lshlrev_b64 v[19:20], 3, v[119:120]
	v_ashrrev_i32_e32 v122, 31, v121
	v_add_nc_u32_e32 v129, s5, v127
	v_add_co_u32 v117, vcc_lo, s2, v117
	v_ashrrev_i32_e32 v124, 31, v123
	v_add_co_ci_u32_e32 v118, vcc_lo, s3, v118, vcc_lo
	v_lshlrev_b64 v[121:122], 3, v[121:122]
	v_add_co_u32 v119, vcc_lo, s2, v19
	v_add_nc_u32_e32 v131, s5, v129
	v_add_co_ci_u32_e32 v120, vcc_lo, s3, v20, vcc_lo
	v_ashrrev_i32_e32 v126, 31, v125
	v_lshlrev_b64 v[19:20], 3, v[123:124]
	v_add_co_u32 v121, vcc_lo, s2, v121
	v_ashrrev_i32_e32 v128, 31, v127
	v_add_nc_u32_e32 v133, s5, v131
	v_add_co_ci_u32_e32 v122, vcc_lo, s3, v122, vcc_lo
	v_lshlrev_b64 v[125:126], 3, v[125:126]
	v_add_co_u32 v123, vcc_lo, s2, v19
	v_add_co_ci_u32_e32 v124, vcc_lo, s3, v20, vcc_lo
	v_lshlrev_b64 v[19:20], 3, v[127:128]
	v_ashrrev_i32_e32 v130, 31, v129
	v_add_nc_u32_e32 v135, s5, v133
	v_add_co_u32 v125, vcc_lo, s2, v125
	v_ashrrev_i32_e32 v132, 31, v131
	v_add_co_ci_u32_e32 v126, vcc_lo, s3, v126, vcc_lo
	v_lshlrev_b64 v[129:130], 3, v[129:130]
	v_add_nc_u32_e32 v137, s5, v135
	v_add_co_u32 v127, vcc_lo, s2, v19
	v_add_co_ci_u32_e32 v128, vcc_lo, s3, v20, vcc_lo
	v_lshlrev_b64 v[19:20], 3, v[131:132]
	v_ashrrev_i32_e32 v134, 31, v133
	v_add_nc_u32_e32 v139, s5, v137
	v_add_co_u32 v129, vcc_lo, s2, v129
	v_ashrrev_i32_e32 v136, 31, v135
	v_add_co_ci_u32_e32 v130, vcc_lo, s3, v130, vcc_lo
	v_lshlrev_b64 v[133:134], 3, v[133:134]
	v_add_co_u32 v131, vcc_lo, s2, v19
	v_add_nc_u32_e32 v141, s5, v139
	v_add_co_ci_u32_e32 v132, vcc_lo, s3, v20, vcc_lo
	v_lshlrev_b64 v[19:20], 3, v[135:136]
	v_ashrrev_i32_e32 v138, 31, v137
	v_add_co_u32 v133, vcc_lo, s2, v133
	v_ashrrev_i32_e32 v140, 31, v139
	v_add_nc_u32_e32 v143, s5, v141
	v_add_co_ci_u32_e32 v134, vcc_lo, s3, v134, vcc_lo
	v_lshlrev_b64 v[137:138], 3, v[137:138]
	v_add_co_u32 v135, vcc_lo, s2, v19
	v_add_co_ci_u32_e32 v136, vcc_lo, s3, v20, vcc_lo
	v_lshlrev_b64 v[19:20], 3, v[139:140]
	v_ashrrev_i32_e32 v142, 31, v141
	v_add_nc_u32_e32 v160, s5, v143
	v_add_co_u32 v137, vcc_lo, s2, v137
	v_ashrrev_i32_e32 v144, 31, v143
	v_add_co_ci_u32_e32 v138, vcc_lo, s3, v138, vcc_lo
	v_lshlrev_b64 v[141:142], 3, v[141:142]
	v_add_co_u32 v139, vcc_lo, s2, v19
	v_add_nc_u32_e32 v162, s5, v160
	v_add_co_ci_u32_e32 v140, vcc_lo, s3, v20, vcc_lo
	v_lshlrev_b64 v[19:20], 3, v[143:144]
	v_add_co_u32 v141, vcc_lo, s2, v141
	s_delay_alu instid0(VALU_DEP_4) | instskip(SKIP_1) | instid1(VALU_DEP_4)
	v_add_nc_u32_e32 v164, s5, v162
	v_add_co_ci_u32_e32 v142, vcc_lo, s3, v142, vcc_lo
	v_add_co_u32 v143, vcc_lo, s2, v19
	s_clause 0x2
	global_load_b64 v[13:14], v[83:84], off
	global_load_b64 v[15:16], v[85:86], off
	;; [unrolled: 1-line block ×3, first 2 shown]
	v_add_co_ci_u32_e32 v144, vcc_lo, s3, v20, vcc_lo
	v_ashrrev_i32_e32 v161, 31, v160
	v_ashrrev_i32_e32 v163, 31, v162
	;; [unrolled: 1-line block ×3, first 2 shown]
	s_waitcnt vmcnt(23)
	scratch_store_b128 off, v[1:4], off
	s_clause 0x3
	global_load_b64 v[19:20], v[95:96], off
	global_load_b64 v[154:155], v[97:98], off
	;; [unrolled: 1-line block ×4, first 2 shown]
	s_waitcnt vmcnt(25)
	scratch_store_b128 off, v[9:12], off offset:16
	v_add_nc_u32_e32 v9, s5, v164
	v_lshlrev_b64 v[1:2], 3, v[160:161]
	s_waitcnt vmcnt(23)
	scratch_store_b128 off, v[5:8], off offset:32
	s_waitcnt vmcnt(21)
	scratch_store_b128 off, v[146:149], off offset:48
	v_ashrrev_i32_e32 v10, 31, v9
	v_add_nc_u32_e32 v11, s5, v9
	v_lshlrev_b64 v[3:4], 3, v[162:163]
	v_add_co_u32 v1, vcc_lo, s2, v1
	s_delay_alu instid0(VALU_DEP_4) | instskip(NEXT) | instid1(VALU_DEP_4)
	v_lshlrev_b64 v[7:8], 3, v[9:10]
	v_add_nc_u32_e32 v9, s5, v11
	s_clause 0x3
	global_load_b64 v[160:161], v[103:104], off
	global_load_b64 v[146:147], v[105:106], off
	;; [unrolled: 1-line block ×4, first 2 shown]
	v_lshlrev_b64 v[5:6], 3, v[164:165]
	s_waitcnt vmcnt(23)
	scratch_store_b128 off, v[150:153], off offset:64
	v_ashrrev_i32_e32 v12, 31, v11
	v_add_nc_u32_e32 v150, s5, v9
	v_add_co_ci_u32_e32 v2, vcc_lo, s3, v2, vcc_lo
	v_add_co_u32 v3, vcc_lo, s2, v3
	v_ashrrev_i32_e32 v10, 31, v9
	s_waitcnt vmcnt(21)
	scratch_store_b128 off, v[33:36], off offset:80
	s_waitcnt vmcnt(19)
	scratch_store_b128 off, v[37:40], off offset:96
	v_add_co_ci_u32_e32 v4, vcc_lo, s3, v4, vcc_lo
	s_clause 0x4
	global_load_b64 v[164:165], v[111:112], off
	global_load_b64 v[33:34], v[113:114], off
	;; [unrolled: 1-line block ×5, first 2 shown]
	v_ashrrev_i32_e32 v151, 31, v150
	s_waitcnt vmcnt(22)
	scratch_store_b128 off, v[41:44], off offset:112
	v_add_nc_u32_e32 v41, s5, v150
	v_add_co_u32 v5, vcc_lo, s2, v5
	v_lshlrev_b64 v[11:12], 3, v[11:12]
	v_add_co_ci_u32_e32 v6, vcc_lo, s3, v6, vcc_lo
	v_add_co_u32 v7, vcc_lo, s2, v7
	v_lshlrev_b64 v[152:153], 3, v[9:10]
	v_lshlrev_b64 v[43:44], 3, v[150:151]
	v_add_nc_u32_e32 v150, s5, v41
	v_add_co_ci_u32_e32 v8, vcc_lo, s3, v8, vcc_lo
	v_add_co_u32 v9, vcc_lo, s2, v11
	v_add_co_ci_u32_e32 v10, vcc_lo, s3, v12, vcc_lo
	v_ashrrev_i32_e32 v42, 31, v41
	v_add_co_u32 v11, vcc_lo, s2, v152
	v_ashrrev_i32_e32 v151, 31, v150
	v_add_co_ci_u32_e32 v12, vcc_lo, s3, v153, vcc_lo
	s_waitcnt vmcnt(20)
	scratch_store_b128 off, v[21:24], off offset:128
	s_waitcnt vmcnt(18)
	scratch_store_b128 off, v[25:28], off offset:144
	;; [unrolled: 2-line block ×3, first 2 shown]
	v_add_co_u32 v21, vcc_lo, s2, v43
	v_lshlrev_b64 v[23:24], 3, v[41:42]
	v_add_nc_u32_e32 v25, s5, v150
	v_add_co_ci_u32_e32 v22, vcc_lo, s3, v44, vcc_lo
	v_lshlrev_b64 v[27:28], 3, v[150:151]
	s_clause 0x3
	global_load_b64 v[41:42], v[121:122], off
	global_load_b64 v[43:44], v[123:124], off
	;; [unrolled: 1-line block ×4, first 2 shown]
	v_add_nc_u32_e32 v29, s5, v25
	v_ashrrev_i32_e32 v26, 31, v25
	v_add_co_u32 v23, vcc_lo, s2, v23
	v_add_co_ci_u32_e32 v24, vcc_lo, s3, v24, vcc_lo
	s_delay_alu instid0(VALU_DEP_4) | instskip(NEXT) | instid1(VALU_DEP_4)
	v_ashrrev_i32_e32 v30, 31, v29
	v_lshlrev_b64 v[31:32], 3, v[25:26]
	v_add_co_u32 v25, vcc_lo, s2, v27
	v_add_co_ci_u32_e32 v26, vcc_lo, s3, v28, vcc_lo
	s_delay_alu instid0(VALU_DEP_4) | instskip(NEXT) | instid1(VALU_DEP_4)
	v_lshlrev_b64 v[29:30], 3, v[29:30]
	v_add_co_u32 v27, vcc_lo, s2, v31
	v_add_co_ci_u32_e32 v28, vcc_lo, s3, v32, vcc_lo
	s_waitcnt vmcnt(18)
	scratch_store_b128 off, v[13:16], off offset:176
	s_waitcnt vmcnt(16)
	scratch_store_b128 off, v[17:20], off offset:192
	s_clause 0x2
	global_load_b64 v[13:14], v[129:130], off
	global_load_b64 v[15:16], v[131:132], off
	global_load_b64 v[17:18], v[133:134], off
	s_waitcnt vmcnt(17)
	scratch_store_b128 off, v[154:157], off offset:208
	s_waitcnt vmcnt(15)
	scratch_store_b128 off, v[158:161], off offset:224
	s_clause 0x3
	global_load_b64 v[19:20], v[135:136], off
	global_load_b64 v[154:155], v[137:138], off
	global_load_b64 v[156:157], v[139:140], off
	global_load_b64 v[158:159], v[141:142], off
	s_waitcnt vmcnt(17)
	scratch_store_b128 off, v[146:149], off offset:240
	s_waitcnt vmcnt(15)
	scratch_store_b128 off, v[162:165], off offset:256
	s_clause 0x3
	global_load_b64 v[160:161], v[143:144], off
	global_load_b64 v[146:147], v[1:2], off
	global_load_b64 v[148:149], v[3:4], off
	global_load_b64 v[31:32], v[5:6], off
	s_waitcnt vmcnt(17)
	scratch_store_b128 off, v[33:36], off offset:272
	s_waitcnt vmcnt(15)
	scratch_store_b128 off, v[37:40], off offset:288
	s_clause 0x3
	global_load_b64 v[33:34], v[7:8], off
	global_load_b64 v[35:36], v[9:10], off
	global_load_b64 v[37:38], v[11:12], off
	;; [unrolled: 1-line block ×3, first 2 shown]
	v_add_co_u32 v29, vcc_lo, s2, v29
	v_add_co_ci_u32_e32 v30, vcc_lo, s3, v30, vcc_lo
	s_waitcnt vmcnt(17)
	scratch_store_b128 off, v[41:44], off offset:304
	s_waitcnt vmcnt(15)
	scratch_store_b128 off, v[150:153], off offset:320
	s_clause 0x3
	global_load_b64 v[41:42], v[23:24], off
	global_load_b64 v[150:151], v[25:26], off
	global_load_b64 v[152:153], v[27:28], off
	global_load_b64 v[43:44], v[29:30], off
	s_cselect_b32 s3, -1, 0
	s_cmpk_eq_i32 s1, 0x84
	s_waitcnt vmcnt(17)
	scratch_store_b128 off, v[13:16], off offset:336
	s_waitcnt vmcnt(15)
	scratch_store_b128 off, v[17:20], off offset:352
	;; [unrolled: 2-line block ×7, first 2 shown]
	v_mov_b32_e32 v13, 0
	v_mov_b32_e32 v14, 0xbff00000
	s_waitcnt vmcnt(3)
	scratch_store_b128 off, v[39:42], off offset:448
	s_waitcnt vmcnt(1)
	scratch_store_b128 off, v[150:153], off offset:464
	s_waitcnt vmcnt(0)
	scratch_store_b64 off, v[43:44], off offset:480
	s_cbranch_scc1 .LBB124_3
; %bb.2:
	scratch_load_b64 v[13:14], v145, off
	s_waitcnt vmcnt(0)
	v_div_scale_f64 v[15:16], null, v[13:14], v[13:14], 1.0
	v_div_scale_f64 v[31:32], vcc_lo, 1.0, v[13:14], 1.0
	s_delay_alu instid0(VALU_DEP_2) | instskip(SKIP_2) | instid1(VALU_DEP_1)
	v_rcp_f64_e32 v[17:18], v[15:16]
	s_waitcnt_depctr 0xfff
	v_fma_f64 v[19:20], -v[15:16], v[17:18], 1.0
	v_fma_f64 v[17:18], v[17:18], v[19:20], v[17:18]
	s_delay_alu instid0(VALU_DEP_1) | instskip(NEXT) | instid1(VALU_DEP_1)
	v_fma_f64 v[19:20], -v[15:16], v[17:18], 1.0
	v_fma_f64 v[17:18], v[17:18], v[19:20], v[17:18]
	s_delay_alu instid0(VALU_DEP_1) | instskip(NEXT) | instid1(VALU_DEP_1)
	v_mul_f64 v[19:20], v[31:32], v[17:18]
	v_fma_f64 v[15:16], -v[15:16], v[19:20], v[31:32]
	s_delay_alu instid0(VALU_DEP_1) | instskip(NEXT) | instid1(VALU_DEP_1)
	v_div_fmas_f64 v[15:16], v[15:16], v[17:18], v[19:20]
	v_div_fixup_f64 v[13:14], v[15:16], v[13:14], 1.0
	scratch_store_b64 v145, v[13:14], off
	v_xor_b32_e32 v14, 0x80000000, v14
.LBB124_3:
	v_add_nc_u32_e32 v15, 0x1f0, v145
	v_add_nc_u32_e32 v16, 0, v145
	s_cmpk_eq_i32 s0, 0x79
	s_mov_b32 s0, -1
	ds_store_b64 v145, v[13:14]
	s_cbranch_scc1 .LBB124_599
; %bb.4:
	scratch_load_b64 v[13:14], off, off offset:472
	v_cmp_eq_u32_e64 s0, 60, v0
	s_movk_i32 s1, 0x50
	s_movk_i32 s2, 0x60
	;; [unrolled: 1-line block ×25, first 2 shown]
	s_waitcnt vmcnt(0)
	ds_store_b64 v15, v[13:14]
	s_waitcnt lgkmcnt(0)
	s_waitcnt_vscnt null, 0x0
	s_barrier
	buffer_gl0_inv
	s_and_saveexec_b32 s27, s0
	s_cbranch_execz .LBB124_10
; %bb.5:
	s_and_b32 vcc_lo, exec_lo, s3
	s_cbranch_vccz .LBB124_7
; %bb.6:
	scratch_load_b64 v[13:14], v16, off
	ds_load_b64 v[17:18], v15
	s_waitcnt vmcnt(0) lgkmcnt(0)
	v_mul_f64 v[13:14], v[13:14], v[17:18]
	s_cbranch_execz .LBB124_8
	s_branch .LBB124_9
.LBB124_7:
                                        ; implicit-def: $vgpr13_vgpr14
.LBB124_8:
	ds_load_b64 v[13:14], v15
.LBB124_9:
	v_mov_b32_e32 v17, 0
	ds_load_b64 v[17:18], v17 offset:472
	s_waitcnt lgkmcnt(0)
	v_mul_f64 v[13:14], v[13:14], v[17:18]
	scratch_store_b64 off, v[13:14], off offset:472
.LBB124_10:
	s_or_b32 exec_lo, exec_lo, s27
	scratch_load_b64 v[13:14], off, off offset:464
	v_add_nc_u32_e64 v17, 0, 16
	v_add_nc_u32_e64 v18, 0, 32
	;; [unrolled: 1-line block ×29, first 2 shown]
	v_cmp_lt_u32_e64 s2, 58, v0
	s_waitcnt vmcnt(0)
	ds_store_b64 v15, v[13:14]
	s_waitcnt lgkmcnt(0)
	s_waitcnt_vscnt null, 0x0
	s_barrier
	buffer_gl0_inv
	s_and_saveexec_b32 s1, s2
	s_cbranch_execz .LBB124_18
; %bb.11:
	s_and_not1_b32 vcc_lo, exec_lo, s3
	s_cbranch_vccnz .LBB124_13
; %bb.12:
	scratch_load_b64 v[13:14], v16, off
	ds_load_b64 v[157:158], v15
	s_waitcnt vmcnt(0) lgkmcnt(0)
	v_mul_f64 v[13:14], v[13:14], v[157:158]
	s_cbranch_execz .LBB124_14
	s_branch .LBB124_15
.LBB124_13:
                                        ; implicit-def: $vgpr13_vgpr14
.LBB124_14:
	ds_load_b64 v[13:14], v15
.LBB124_15:
	s_and_saveexec_b32 s4, s0
	s_cbranch_execz .LBB124_17
; %bb.16:
	scratch_load_b64 v[157:158], off, off offset:472
	v_mov_b32_e32 v159, 0
	ds_load_b64 v[159:160], v159 offset:968
	s_waitcnt vmcnt(0) lgkmcnt(0)
	v_fma_f64 v[13:14], v[157:158], v[159:160], v[13:14]
.LBB124_17:
	s_or_b32 exec_lo, exec_lo, s4
	v_mov_b32_e32 v157, 0
	ds_load_b64 v[157:158], v157 offset:464
	s_waitcnt lgkmcnt(0)
	v_mul_f64 v[13:14], v[13:14], v[157:158]
	scratch_store_b64 off, v[13:14], off offset:464
.LBB124_18:
	s_or_b32 exec_lo, exec_lo, s1
	scratch_load_b64 v[13:14], off, off offset:456
	v_cmp_lt_u32_e64 s1, 57, v0
	s_waitcnt vmcnt(0)
	ds_store_b64 v15, v[13:14]
	s_waitcnt lgkmcnt(0)
	s_waitcnt_vscnt null, 0x0
	s_barrier
	buffer_gl0_inv
	s_and_saveexec_b32 s0, s1
	s_cbranch_execz .LBB124_28
; %bb.19:
	s_and_not1_b32 vcc_lo, exec_lo, s3
	s_cbranch_vccnz .LBB124_21
; %bb.20:
	scratch_load_b64 v[13:14], v16, off
	ds_load_b64 v[157:158], v15
	s_waitcnt vmcnt(0) lgkmcnt(0)
	v_mul_f64 v[13:14], v[13:14], v[157:158]
	s_cbranch_execz .LBB124_22
	s_branch .LBB124_23
.LBB124_21:
                                        ; implicit-def: $vgpr13_vgpr14
.LBB124_22:
	ds_load_b64 v[13:14], v15
.LBB124_23:
	s_and_saveexec_b32 s4, s2
	s_cbranch_execz .LBB124_27
; %bb.24:
	v_subrev_nc_u32_e32 v157, 58, v0
	s_movk_i32 s5, 0x3c0
	s_mov_b32 s2, 0
.LBB124_25:                             ; =>This Inner Loop Header: Depth=1
	scratch_load_b64 v[158:159], v156, off
	v_dual_mov_b32 v160, s5 :: v_dual_add_nc_u32 v157, -1, v157
	v_add_nc_u32_e32 v156, 8, v156
	s_add_i32 s5, s5, 8
	ds_load_b64 v[160:161], v160
	v_cmp_eq_u32_e32 vcc_lo, 0, v157
	s_or_b32 s2, vcc_lo, s2
	s_waitcnt vmcnt(0) lgkmcnt(0)
	v_fma_f64 v[13:14], v[158:159], v[160:161], v[13:14]
	s_and_not1_b32 exec_lo, exec_lo, s2
	s_cbranch_execnz .LBB124_25
; %bb.26:
	s_or_b32 exec_lo, exec_lo, s2
.LBB124_27:
	s_delay_alu instid0(SALU_CYCLE_1)
	s_or_b32 exec_lo, exec_lo, s4
	v_mov_b32_e32 v156, 0
	ds_load_b64 v[156:157], v156 offset:456
	s_waitcnt lgkmcnt(0)
	v_mul_f64 v[13:14], v[13:14], v[156:157]
	scratch_store_b64 off, v[13:14], off offset:456
.LBB124_28:
	s_or_b32 exec_lo, exec_lo, s0
	scratch_load_b64 v[13:14], off, off offset:448
	v_cmp_lt_u32_e64 s0, 56, v0
	s_waitcnt vmcnt(0)
	ds_store_b64 v15, v[13:14]
	s_waitcnt lgkmcnt(0)
	s_waitcnt_vscnt null, 0x0
	s_barrier
	buffer_gl0_inv
	s_and_saveexec_b32 s2, s0
	s_cbranch_execz .LBB124_38
; %bb.29:
	s_and_not1_b32 vcc_lo, exec_lo, s3
	s_cbranch_vccnz .LBB124_31
; %bb.30:
	scratch_load_b64 v[13:14], v16, off
	ds_load_b64 v[156:157], v15
	s_waitcnt vmcnt(0) lgkmcnt(0)
	v_mul_f64 v[13:14], v[13:14], v[156:157]
	s_cbranch_execz .LBB124_32
	s_branch .LBB124_33
.LBB124_31:
                                        ; implicit-def: $vgpr13_vgpr14
.LBB124_32:
	ds_load_b64 v[13:14], v15
.LBB124_33:
	s_and_saveexec_b32 s4, s1
	s_cbranch_execz .LBB124_37
; %bb.34:
	v_mov_b32_e32 v156, 0
	v_subrev_nc_u32_e32 v157, 57, v0
	s_movk_i32 s5, 0x3b8
	s_mov_b32 s1, 0
	s_delay_alu instid0(VALU_DEP_2)
	v_add_nc_u32_e32 v156, 0x1c8, v156
.LBB124_35:                             ; =>This Inner Loop Header: Depth=1
	scratch_load_b64 v[158:159], v156, off
	v_dual_mov_b32 v160, s5 :: v_dual_add_nc_u32 v157, -1, v157
	v_add_nc_u32_e32 v156, 8, v156
	s_add_i32 s5, s5, 8
	ds_load_b64 v[160:161], v160
	v_cmp_eq_u32_e32 vcc_lo, 0, v157
	s_or_b32 s1, vcc_lo, s1
	s_waitcnt vmcnt(0) lgkmcnt(0)
	v_fma_f64 v[13:14], v[158:159], v[160:161], v[13:14]
	s_and_not1_b32 exec_lo, exec_lo, s1
	s_cbranch_execnz .LBB124_35
; %bb.36:
	s_or_b32 exec_lo, exec_lo, s1
.LBB124_37:
	s_delay_alu instid0(SALU_CYCLE_1)
	s_or_b32 exec_lo, exec_lo, s4
	v_mov_b32_e32 v156, 0
	ds_load_b64 v[156:157], v156 offset:448
	s_waitcnt lgkmcnt(0)
	v_mul_f64 v[13:14], v[13:14], v[156:157]
	scratch_store_b64 off, v[13:14], off offset:448
.LBB124_38:
	s_or_b32 exec_lo, exec_lo, s2
	scratch_load_b64 v[13:14], off, off offset:440
	v_cmp_lt_u32_e64 s1, 55, v0
	s_waitcnt vmcnt(0)
	ds_store_b64 v15, v[13:14]
	s_waitcnt lgkmcnt(0)
	s_waitcnt_vscnt null, 0x0
	s_barrier
	buffer_gl0_inv
	s_and_saveexec_b32 s2, s1
	s_cbranch_execz .LBB124_48
; %bb.39:
	s_and_not1_b32 vcc_lo, exec_lo, s3
	s_cbranch_vccnz .LBB124_41
; %bb.40:
	scratch_load_b64 v[13:14], v16, off
	ds_load_b64 v[156:157], v15
	s_waitcnt vmcnt(0) lgkmcnt(0)
	v_mul_f64 v[13:14], v[13:14], v[156:157]
	s_cbranch_execz .LBB124_42
	s_branch .LBB124_43
.LBB124_41:
                                        ; implicit-def: $vgpr13_vgpr14
.LBB124_42:
	ds_load_b64 v[13:14], v15
.LBB124_43:
	s_and_saveexec_b32 s4, s0
	s_cbranch_execz .LBB124_47
; %bb.44:
	v_subrev_nc_u32_e32 v156, 56, v0
	s_movk_i32 s5, 0x3b0
	s_mov_b32 s0, 0
.LBB124_45:                             ; =>This Inner Loop Header: Depth=1
	scratch_load_b64 v[157:158], v155, off
	v_dual_mov_b32 v159, s5 :: v_dual_add_nc_u32 v156, -1, v156
	v_add_nc_u32_e32 v155, 8, v155
	s_add_i32 s5, s5, 8
	ds_load_b64 v[159:160], v159
	v_cmp_eq_u32_e32 vcc_lo, 0, v156
	s_or_b32 s0, vcc_lo, s0
	s_waitcnt vmcnt(0) lgkmcnt(0)
	v_fma_f64 v[13:14], v[157:158], v[159:160], v[13:14]
	s_and_not1_b32 exec_lo, exec_lo, s0
	s_cbranch_execnz .LBB124_45
; %bb.46:
	s_or_b32 exec_lo, exec_lo, s0
.LBB124_47:
	s_delay_alu instid0(SALU_CYCLE_1)
	s_or_b32 exec_lo, exec_lo, s4
	v_mov_b32_e32 v155, 0
	ds_load_b64 v[155:156], v155 offset:440
	s_waitcnt lgkmcnt(0)
	v_mul_f64 v[13:14], v[13:14], v[155:156]
	scratch_store_b64 off, v[13:14], off offset:440
.LBB124_48:
	s_or_b32 exec_lo, exec_lo, s2
	scratch_load_b64 v[13:14], off, off offset:432
	v_cmp_lt_u32_e64 s0, 54, v0
	s_waitcnt vmcnt(0)
	ds_store_b64 v15, v[13:14]
	s_waitcnt lgkmcnt(0)
	s_waitcnt_vscnt null, 0x0
	s_barrier
	buffer_gl0_inv
	s_and_saveexec_b32 s2, s0
	s_cbranch_execz .LBB124_58
; %bb.49:
	s_and_not1_b32 vcc_lo, exec_lo, s3
	s_cbranch_vccnz .LBB124_51
; %bb.50:
	scratch_load_b64 v[13:14], v16, off
	ds_load_b64 v[155:156], v15
	s_waitcnt vmcnt(0) lgkmcnt(0)
	v_mul_f64 v[13:14], v[13:14], v[155:156]
	s_cbranch_execz .LBB124_52
	s_branch .LBB124_53
.LBB124_51:
                                        ; implicit-def: $vgpr13_vgpr14
.LBB124_52:
	ds_load_b64 v[13:14], v15
.LBB124_53:
	s_and_saveexec_b32 s4, s1
	s_cbranch_execz .LBB124_57
; %bb.54:
	v_mov_b32_e32 v155, 0
	v_subrev_nc_u32_e32 v156, 55, v0
	s_movk_i32 s5, 0x3a8
	s_mov_b32 s1, 0
	s_delay_alu instid0(VALU_DEP_2)
	v_add_nc_u32_e32 v155, 0x1b8, v155
.LBB124_55:                             ; =>This Inner Loop Header: Depth=1
	scratch_load_b64 v[157:158], v155, off
	v_dual_mov_b32 v159, s5 :: v_dual_add_nc_u32 v156, -1, v156
	v_add_nc_u32_e32 v155, 8, v155
	s_add_i32 s5, s5, 8
	ds_load_b64 v[159:160], v159
	v_cmp_eq_u32_e32 vcc_lo, 0, v156
	s_or_b32 s1, vcc_lo, s1
	s_waitcnt vmcnt(0) lgkmcnt(0)
	v_fma_f64 v[13:14], v[157:158], v[159:160], v[13:14]
	s_and_not1_b32 exec_lo, exec_lo, s1
	s_cbranch_execnz .LBB124_55
; %bb.56:
	s_or_b32 exec_lo, exec_lo, s1
.LBB124_57:
	s_delay_alu instid0(SALU_CYCLE_1)
	s_or_b32 exec_lo, exec_lo, s4
	v_mov_b32_e32 v155, 0
	ds_load_b64 v[155:156], v155 offset:432
	s_waitcnt lgkmcnt(0)
	v_mul_f64 v[13:14], v[13:14], v[155:156]
	scratch_store_b64 off, v[13:14], off offset:432
.LBB124_58:
	s_or_b32 exec_lo, exec_lo, s2
	scratch_load_b64 v[13:14], off, off offset:424
	v_cmp_lt_u32_e64 s1, 53, v0
	s_waitcnt vmcnt(0)
	ds_store_b64 v15, v[13:14]
	s_waitcnt lgkmcnt(0)
	s_waitcnt_vscnt null, 0x0
	s_barrier
	buffer_gl0_inv
	s_and_saveexec_b32 s2, s1
	s_cbranch_execz .LBB124_68
; %bb.59:
	s_and_not1_b32 vcc_lo, exec_lo, s3
	s_cbranch_vccnz .LBB124_61
; %bb.60:
	scratch_load_b64 v[13:14], v16, off
	ds_load_b64 v[155:156], v15
	s_waitcnt vmcnt(0) lgkmcnt(0)
	v_mul_f64 v[13:14], v[13:14], v[155:156]
	s_cbranch_execz .LBB124_62
	s_branch .LBB124_63
.LBB124_61:
                                        ; implicit-def: $vgpr13_vgpr14
.LBB124_62:
	ds_load_b64 v[13:14], v15
.LBB124_63:
	s_and_saveexec_b32 s4, s0
	s_cbranch_execz .LBB124_67
; %bb.64:
	v_subrev_nc_u32_e32 v155, 54, v0
	s_movk_i32 s5, 0x3a0
	s_mov_b32 s0, 0
.LBB124_65:                             ; =>This Inner Loop Header: Depth=1
	scratch_load_b64 v[156:157], v154, off
	v_dual_mov_b32 v158, s5 :: v_dual_add_nc_u32 v155, -1, v155
	v_add_nc_u32_e32 v154, 8, v154
	s_add_i32 s5, s5, 8
	ds_load_b64 v[158:159], v158
	v_cmp_eq_u32_e32 vcc_lo, 0, v155
	s_or_b32 s0, vcc_lo, s0
	s_waitcnt vmcnt(0) lgkmcnt(0)
	v_fma_f64 v[13:14], v[156:157], v[158:159], v[13:14]
	s_and_not1_b32 exec_lo, exec_lo, s0
	s_cbranch_execnz .LBB124_65
; %bb.66:
	s_or_b32 exec_lo, exec_lo, s0
.LBB124_67:
	s_delay_alu instid0(SALU_CYCLE_1)
	s_or_b32 exec_lo, exec_lo, s4
	v_mov_b32_e32 v154, 0
	ds_load_b64 v[154:155], v154 offset:424
	s_waitcnt lgkmcnt(0)
	v_mul_f64 v[13:14], v[13:14], v[154:155]
	scratch_store_b64 off, v[13:14], off offset:424
.LBB124_68:
	s_or_b32 exec_lo, exec_lo, s2
	scratch_load_b64 v[13:14], off, off offset:416
	v_cmp_lt_u32_e64 s0, 52, v0
	s_waitcnt vmcnt(0)
	ds_store_b64 v15, v[13:14]
	s_waitcnt lgkmcnt(0)
	s_waitcnt_vscnt null, 0x0
	s_barrier
	buffer_gl0_inv
	s_and_saveexec_b32 s2, s0
	s_cbranch_execz .LBB124_78
; %bb.69:
	s_and_not1_b32 vcc_lo, exec_lo, s3
	s_cbranch_vccnz .LBB124_71
; %bb.70:
	scratch_load_b64 v[13:14], v16, off
	ds_load_b64 v[154:155], v15
	s_waitcnt vmcnt(0) lgkmcnt(0)
	v_mul_f64 v[13:14], v[13:14], v[154:155]
	s_cbranch_execz .LBB124_72
	s_branch .LBB124_73
.LBB124_71:
                                        ; implicit-def: $vgpr13_vgpr14
.LBB124_72:
	ds_load_b64 v[13:14], v15
.LBB124_73:
	s_and_saveexec_b32 s4, s1
	s_cbranch_execz .LBB124_77
; %bb.74:
	v_mov_b32_e32 v154, 0
	v_subrev_nc_u32_e32 v155, 53, v0
	s_movk_i32 s5, 0x398
	s_mov_b32 s1, 0
	s_delay_alu instid0(VALU_DEP_2)
	v_add_nc_u32_e32 v154, 0x1a8, v154
.LBB124_75:                             ; =>This Inner Loop Header: Depth=1
	scratch_load_b64 v[156:157], v154, off
	v_dual_mov_b32 v158, s5 :: v_dual_add_nc_u32 v155, -1, v155
	v_add_nc_u32_e32 v154, 8, v154
	s_add_i32 s5, s5, 8
	ds_load_b64 v[158:159], v158
	v_cmp_eq_u32_e32 vcc_lo, 0, v155
	s_or_b32 s1, vcc_lo, s1
	s_waitcnt vmcnt(0) lgkmcnt(0)
	v_fma_f64 v[13:14], v[156:157], v[158:159], v[13:14]
	s_and_not1_b32 exec_lo, exec_lo, s1
	s_cbranch_execnz .LBB124_75
; %bb.76:
	s_or_b32 exec_lo, exec_lo, s1
.LBB124_77:
	s_delay_alu instid0(SALU_CYCLE_1)
	s_or_b32 exec_lo, exec_lo, s4
	v_mov_b32_e32 v154, 0
	ds_load_b64 v[154:155], v154 offset:416
	s_waitcnt lgkmcnt(0)
	v_mul_f64 v[13:14], v[13:14], v[154:155]
	scratch_store_b64 off, v[13:14], off offset:416
.LBB124_78:
	s_or_b32 exec_lo, exec_lo, s2
	scratch_load_b64 v[13:14], off, off offset:408
	v_cmp_lt_u32_e64 s1, 51, v0
	s_waitcnt vmcnt(0)
	ds_store_b64 v15, v[13:14]
	s_waitcnt lgkmcnt(0)
	s_waitcnt_vscnt null, 0x0
	s_barrier
	buffer_gl0_inv
	s_and_saveexec_b32 s2, s1
	s_cbranch_execz .LBB124_88
; %bb.79:
	s_and_not1_b32 vcc_lo, exec_lo, s3
	s_cbranch_vccnz .LBB124_81
; %bb.80:
	scratch_load_b64 v[13:14], v16, off
	ds_load_b64 v[154:155], v15
	s_waitcnt vmcnt(0) lgkmcnt(0)
	v_mul_f64 v[13:14], v[13:14], v[154:155]
	s_cbranch_execz .LBB124_82
	s_branch .LBB124_83
.LBB124_81:
                                        ; implicit-def: $vgpr13_vgpr14
.LBB124_82:
	ds_load_b64 v[13:14], v15
.LBB124_83:
	s_and_saveexec_b32 s4, s0
	s_cbranch_execz .LBB124_87
; %bb.84:
	v_subrev_nc_u32_e32 v154, 52, v0
	s_movk_i32 s5, 0x390
	s_mov_b32 s0, 0
.LBB124_85:                             ; =>This Inner Loop Header: Depth=1
	scratch_load_b64 v[155:156], v153, off
	v_dual_mov_b32 v157, s5 :: v_dual_add_nc_u32 v154, -1, v154
	v_add_nc_u32_e32 v153, 8, v153
	s_add_i32 s5, s5, 8
	ds_load_b64 v[157:158], v157
	v_cmp_eq_u32_e32 vcc_lo, 0, v154
	s_or_b32 s0, vcc_lo, s0
	s_waitcnt vmcnt(0) lgkmcnt(0)
	v_fma_f64 v[13:14], v[155:156], v[157:158], v[13:14]
	s_and_not1_b32 exec_lo, exec_lo, s0
	s_cbranch_execnz .LBB124_85
; %bb.86:
	s_or_b32 exec_lo, exec_lo, s0
.LBB124_87:
	s_delay_alu instid0(SALU_CYCLE_1)
	s_or_b32 exec_lo, exec_lo, s4
	v_mov_b32_e32 v153, 0
	ds_load_b64 v[153:154], v153 offset:408
	s_waitcnt lgkmcnt(0)
	v_mul_f64 v[13:14], v[13:14], v[153:154]
	scratch_store_b64 off, v[13:14], off offset:408
.LBB124_88:
	s_or_b32 exec_lo, exec_lo, s2
	scratch_load_b64 v[13:14], off, off offset:400
	v_cmp_lt_u32_e64 s0, 50, v0
	s_waitcnt vmcnt(0)
	ds_store_b64 v15, v[13:14]
	s_waitcnt lgkmcnt(0)
	s_waitcnt_vscnt null, 0x0
	s_barrier
	buffer_gl0_inv
	s_and_saveexec_b32 s2, s0
	s_cbranch_execz .LBB124_98
; %bb.89:
	s_and_not1_b32 vcc_lo, exec_lo, s3
	s_cbranch_vccnz .LBB124_91
; %bb.90:
	scratch_load_b64 v[13:14], v16, off
	ds_load_b64 v[153:154], v15
	s_waitcnt vmcnt(0) lgkmcnt(0)
	v_mul_f64 v[13:14], v[13:14], v[153:154]
	s_cbranch_execz .LBB124_92
	s_branch .LBB124_93
.LBB124_91:
                                        ; implicit-def: $vgpr13_vgpr14
.LBB124_92:
	ds_load_b64 v[13:14], v15
.LBB124_93:
	s_and_saveexec_b32 s4, s1
	s_cbranch_execz .LBB124_97
; %bb.94:
	v_mov_b32_e32 v153, 0
	v_subrev_nc_u32_e32 v154, 51, v0
	s_movk_i32 s5, 0x388
	s_mov_b32 s1, 0
	s_delay_alu instid0(VALU_DEP_2)
	v_add_nc_u32_e32 v153, 0x198, v153
.LBB124_95:                             ; =>This Inner Loop Header: Depth=1
	scratch_load_b64 v[155:156], v153, off
	v_dual_mov_b32 v157, s5 :: v_dual_add_nc_u32 v154, -1, v154
	v_add_nc_u32_e32 v153, 8, v153
	s_add_i32 s5, s5, 8
	ds_load_b64 v[157:158], v157
	v_cmp_eq_u32_e32 vcc_lo, 0, v154
	s_or_b32 s1, vcc_lo, s1
	s_waitcnt vmcnt(0) lgkmcnt(0)
	v_fma_f64 v[13:14], v[155:156], v[157:158], v[13:14]
	s_and_not1_b32 exec_lo, exec_lo, s1
	s_cbranch_execnz .LBB124_95
; %bb.96:
	s_or_b32 exec_lo, exec_lo, s1
.LBB124_97:
	s_delay_alu instid0(SALU_CYCLE_1)
	s_or_b32 exec_lo, exec_lo, s4
	v_mov_b32_e32 v153, 0
	ds_load_b64 v[153:154], v153 offset:400
	s_waitcnt lgkmcnt(0)
	v_mul_f64 v[13:14], v[13:14], v[153:154]
	scratch_store_b64 off, v[13:14], off offset:400
.LBB124_98:
	s_or_b32 exec_lo, exec_lo, s2
	scratch_load_b64 v[13:14], off, off offset:392
	v_cmp_lt_u32_e64 s1, 49, v0
	s_waitcnt vmcnt(0)
	ds_store_b64 v15, v[13:14]
	s_waitcnt lgkmcnt(0)
	s_waitcnt_vscnt null, 0x0
	s_barrier
	buffer_gl0_inv
	s_and_saveexec_b32 s2, s1
	s_cbranch_execz .LBB124_108
; %bb.99:
	s_and_not1_b32 vcc_lo, exec_lo, s3
	s_cbranch_vccnz .LBB124_101
; %bb.100:
	scratch_load_b64 v[13:14], v16, off
	ds_load_b64 v[153:154], v15
	s_waitcnt vmcnt(0) lgkmcnt(0)
	v_mul_f64 v[13:14], v[13:14], v[153:154]
	s_cbranch_execz .LBB124_102
	s_branch .LBB124_103
.LBB124_101:
                                        ; implicit-def: $vgpr13_vgpr14
.LBB124_102:
	ds_load_b64 v[13:14], v15
.LBB124_103:
	s_and_saveexec_b32 s4, s0
	s_cbranch_execz .LBB124_107
; %bb.104:
	v_subrev_nc_u32_e32 v153, 50, v0
	s_movk_i32 s5, 0x380
	s_mov_b32 s0, 0
.LBB124_105:                            ; =>This Inner Loop Header: Depth=1
	scratch_load_b64 v[154:155], v152, off
	v_dual_mov_b32 v156, s5 :: v_dual_add_nc_u32 v153, -1, v153
	v_add_nc_u32_e32 v152, 8, v152
	s_add_i32 s5, s5, 8
	ds_load_b64 v[156:157], v156
	v_cmp_eq_u32_e32 vcc_lo, 0, v153
	s_or_b32 s0, vcc_lo, s0
	s_waitcnt vmcnt(0) lgkmcnt(0)
	v_fma_f64 v[13:14], v[154:155], v[156:157], v[13:14]
	s_and_not1_b32 exec_lo, exec_lo, s0
	s_cbranch_execnz .LBB124_105
; %bb.106:
	s_or_b32 exec_lo, exec_lo, s0
.LBB124_107:
	s_delay_alu instid0(SALU_CYCLE_1)
	s_or_b32 exec_lo, exec_lo, s4
	v_mov_b32_e32 v152, 0
	ds_load_b64 v[152:153], v152 offset:392
	s_waitcnt lgkmcnt(0)
	v_mul_f64 v[13:14], v[13:14], v[152:153]
	scratch_store_b64 off, v[13:14], off offset:392
.LBB124_108:
	s_or_b32 exec_lo, exec_lo, s2
	scratch_load_b64 v[13:14], off, off offset:384
	v_cmp_lt_u32_e64 s0, 48, v0
	s_waitcnt vmcnt(0)
	ds_store_b64 v15, v[13:14]
	s_waitcnt lgkmcnt(0)
	s_waitcnt_vscnt null, 0x0
	s_barrier
	buffer_gl0_inv
	s_and_saveexec_b32 s2, s0
	s_cbranch_execz .LBB124_118
; %bb.109:
	s_and_not1_b32 vcc_lo, exec_lo, s3
	s_cbranch_vccnz .LBB124_111
; %bb.110:
	scratch_load_b64 v[13:14], v16, off
	ds_load_b64 v[152:153], v15
	s_waitcnt vmcnt(0) lgkmcnt(0)
	v_mul_f64 v[13:14], v[13:14], v[152:153]
	s_cbranch_execz .LBB124_112
	s_branch .LBB124_113
.LBB124_111:
                                        ; implicit-def: $vgpr13_vgpr14
.LBB124_112:
	ds_load_b64 v[13:14], v15
.LBB124_113:
	s_and_saveexec_b32 s4, s1
	s_cbranch_execz .LBB124_117
; %bb.114:
	v_mov_b32_e32 v152, 0
	v_subrev_nc_u32_e32 v153, 49, v0
	s_movk_i32 s5, 0x378
	s_mov_b32 s1, 0
	s_delay_alu instid0(VALU_DEP_2)
	v_add_nc_u32_e32 v152, 0x188, v152
.LBB124_115:                            ; =>This Inner Loop Header: Depth=1
	scratch_load_b64 v[154:155], v152, off
	v_dual_mov_b32 v156, s5 :: v_dual_add_nc_u32 v153, -1, v153
	v_add_nc_u32_e32 v152, 8, v152
	s_add_i32 s5, s5, 8
	ds_load_b64 v[156:157], v156
	v_cmp_eq_u32_e32 vcc_lo, 0, v153
	s_or_b32 s1, vcc_lo, s1
	s_waitcnt vmcnt(0) lgkmcnt(0)
	v_fma_f64 v[13:14], v[154:155], v[156:157], v[13:14]
	s_and_not1_b32 exec_lo, exec_lo, s1
	s_cbranch_execnz .LBB124_115
; %bb.116:
	s_or_b32 exec_lo, exec_lo, s1
.LBB124_117:
	s_delay_alu instid0(SALU_CYCLE_1)
	s_or_b32 exec_lo, exec_lo, s4
	v_mov_b32_e32 v152, 0
	ds_load_b64 v[152:153], v152 offset:384
	s_waitcnt lgkmcnt(0)
	v_mul_f64 v[13:14], v[13:14], v[152:153]
	scratch_store_b64 off, v[13:14], off offset:384
.LBB124_118:
	s_or_b32 exec_lo, exec_lo, s2
	scratch_load_b64 v[13:14], off, off offset:376
	v_cmp_lt_u32_e64 s1, 47, v0
	s_waitcnt vmcnt(0)
	ds_store_b64 v15, v[13:14]
	s_waitcnt lgkmcnt(0)
	s_waitcnt_vscnt null, 0x0
	s_barrier
	buffer_gl0_inv
	s_and_saveexec_b32 s2, s1
	s_cbranch_execz .LBB124_128
; %bb.119:
	s_and_not1_b32 vcc_lo, exec_lo, s3
	s_cbranch_vccnz .LBB124_121
; %bb.120:
	scratch_load_b64 v[13:14], v16, off
	ds_load_b64 v[152:153], v15
	s_waitcnt vmcnt(0) lgkmcnt(0)
	v_mul_f64 v[13:14], v[13:14], v[152:153]
	s_cbranch_execz .LBB124_122
	s_branch .LBB124_123
.LBB124_121:
                                        ; implicit-def: $vgpr13_vgpr14
.LBB124_122:
	ds_load_b64 v[13:14], v15
.LBB124_123:
	s_and_saveexec_b32 s4, s0
	s_cbranch_execz .LBB124_127
; %bb.124:
	v_subrev_nc_u32_e32 v152, 48, v0
	s_movk_i32 s5, 0x370
	s_mov_b32 s0, 0
.LBB124_125:                            ; =>This Inner Loop Header: Depth=1
	scratch_load_b64 v[153:154], v151, off
	v_dual_mov_b32 v155, s5 :: v_dual_add_nc_u32 v152, -1, v152
	v_add_nc_u32_e32 v151, 8, v151
	s_add_i32 s5, s5, 8
	ds_load_b64 v[155:156], v155
	v_cmp_eq_u32_e32 vcc_lo, 0, v152
	s_or_b32 s0, vcc_lo, s0
	s_waitcnt vmcnt(0) lgkmcnt(0)
	v_fma_f64 v[13:14], v[153:154], v[155:156], v[13:14]
	s_and_not1_b32 exec_lo, exec_lo, s0
	s_cbranch_execnz .LBB124_125
; %bb.126:
	s_or_b32 exec_lo, exec_lo, s0
.LBB124_127:
	s_delay_alu instid0(SALU_CYCLE_1)
	s_or_b32 exec_lo, exec_lo, s4
	v_mov_b32_e32 v151, 0
	ds_load_b64 v[151:152], v151 offset:376
	s_waitcnt lgkmcnt(0)
	v_mul_f64 v[13:14], v[13:14], v[151:152]
	scratch_store_b64 off, v[13:14], off offset:376
.LBB124_128:
	s_or_b32 exec_lo, exec_lo, s2
	scratch_load_b64 v[13:14], off, off offset:368
	v_cmp_lt_u32_e64 s0, 46, v0
	s_waitcnt vmcnt(0)
	ds_store_b64 v15, v[13:14]
	s_waitcnt lgkmcnt(0)
	s_waitcnt_vscnt null, 0x0
	s_barrier
	buffer_gl0_inv
	s_and_saveexec_b32 s2, s0
	s_cbranch_execz .LBB124_138
; %bb.129:
	s_and_not1_b32 vcc_lo, exec_lo, s3
	s_cbranch_vccnz .LBB124_131
; %bb.130:
	scratch_load_b64 v[13:14], v16, off
	ds_load_b64 v[151:152], v15
	s_waitcnt vmcnt(0) lgkmcnt(0)
	v_mul_f64 v[13:14], v[13:14], v[151:152]
	s_cbranch_execz .LBB124_132
	s_branch .LBB124_133
.LBB124_131:
                                        ; implicit-def: $vgpr13_vgpr14
.LBB124_132:
	ds_load_b64 v[13:14], v15
.LBB124_133:
	s_and_saveexec_b32 s4, s1
	s_cbranch_execz .LBB124_137
; %bb.134:
	v_mov_b32_e32 v151, 0
	v_subrev_nc_u32_e32 v152, 47, v0
	s_movk_i32 s5, 0x368
	s_mov_b32 s1, 0
	s_delay_alu instid0(VALU_DEP_2)
	v_add_nc_u32_e32 v151, 0x178, v151
.LBB124_135:                            ; =>This Inner Loop Header: Depth=1
	scratch_load_b64 v[153:154], v151, off
	v_dual_mov_b32 v155, s5 :: v_dual_add_nc_u32 v152, -1, v152
	v_add_nc_u32_e32 v151, 8, v151
	s_add_i32 s5, s5, 8
	ds_load_b64 v[155:156], v155
	v_cmp_eq_u32_e32 vcc_lo, 0, v152
	s_or_b32 s1, vcc_lo, s1
	s_waitcnt vmcnt(0) lgkmcnt(0)
	v_fma_f64 v[13:14], v[153:154], v[155:156], v[13:14]
	s_and_not1_b32 exec_lo, exec_lo, s1
	s_cbranch_execnz .LBB124_135
; %bb.136:
	s_or_b32 exec_lo, exec_lo, s1
.LBB124_137:
	s_delay_alu instid0(SALU_CYCLE_1)
	s_or_b32 exec_lo, exec_lo, s4
	v_mov_b32_e32 v151, 0
	ds_load_b64 v[151:152], v151 offset:368
	s_waitcnt lgkmcnt(0)
	v_mul_f64 v[13:14], v[13:14], v[151:152]
	scratch_store_b64 off, v[13:14], off offset:368
.LBB124_138:
	s_or_b32 exec_lo, exec_lo, s2
	scratch_load_b64 v[13:14], off, off offset:360
	v_cmp_lt_u32_e64 s1, 45, v0
	s_waitcnt vmcnt(0)
	ds_store_b64 v15, v[13:14]
	s_waitcnt lgkmcnt(0)
	s_waitcnt_vscnt null, 0x0
	s_barrier
	buffer_gl0_inv
	s_and_saveexec_b32 s2, s1
	s_cbranch_execz .LBB124_148
; %bb.139:
	s_and_not1_b32 vcc_lo, exec_lo, s3
	s_cbranch_vccnz .LBB124_141
; %bb.140:
	scratch_load_b64 v[13:14], v16, off
	ds_load_b64 v[151:152], v15
	s_waitcnt vmcnt(0) lgkmcnt(0)
	v_mul_f64 v[13:14], v[13:14], v[151:152]
	s_cbranch_execz .LBB124_142
	s_branch .LBB124_143
.LBB124_141:
                                        ; implicit-def: $vgpr13_vgpr14
.LBB124_142:
	ds_load_b64 v[13:14], v15
.LBB124_143:
	s_and_saveexec_b32 s4, s0
	s_cbranch_execz .LBB124_147
; %bb.144:
	v_subrev_nc_u32_e32 v151, 46, v0
	s_movk_i32 s5, 0x360
	s_mov_b32 s0, 0
.LBB124_145:                            ; =>This Inner Loop Header: Depth=1
	scratch_load_b64 v[152:153], v150, off
	v_dual_mov_b32 v154, s5 :: v_dual_add_nc_u32 v151, -1, v151
	v_add_nc_u32_e32 v150, 8, v150
	s_add_i32 s5, s5, 8
	ds_load_b64 v[154:155], v154
	v_cmp_eq_u32_e32 vcc_lo, 0, v151
	s_or_b32 s0, vcc_lo, s0
	s_waitcnt vmcnt(0) lgkmcnt(0)
	v_fma_f64 v[13:14], v[152:153], v[154:155], v[13:14]
	s_and_not1_b32 exec_lo, exec_lo, s0
	s_cbranch_execnz .LBB124_145
; %bb.146:
	s_or_b32 exec_lo, exec_lo, s0
.LBB124_147:
	s_delay_alu instid0(SALU_CYCLE_1)
	s_or_b32 exec_lo, exec_lo, s4
	v_mov_b32_e32 v150, 0
	ds_load_b64 v[150:151], v150 offset:360
	s_waitcnt lgkmcnt(0)
	v_mul_f64 v[13:14], v[13:14], v[150:151]
	scratch_store_b64 off, v[13:14], off offset:360
.LBB124_148:
	s_or_b32 exec_lo, exec_lo, s2
	scratch_load_b64 v[13:14], off, off offset:352
	v_cmp_lt_u32_e64 s0, 44, v0
	s_waitcnt vmcnt(0)
	ds_store_b64 v15, v[13:14]
	s_waitcnt lgkmcnt(0)
	s_waitcnt_vscnt null, 0x0
	s_barrier
	buffer_gl0_inv
	s_and_saveexec_b32 s2, s0
	s_cbranch_execz .LBB124_158
; %bb.149:
	s_and_not1_b32 vcc_lo, exec_lo, s3
	s_cbranch_vccnz .LBB124_151
; %bb.150:
	scratch_load_b64 v[13:14], v16, off
	ds_load_b64 v[150:151], v15
	s_waitcnt vmcnt(0) lgkmcnt(0)
	v_mul_f64 v[13:14], v[13:14], v[150:151]
	s_cbranch_execz .LBB124_152
	s_branch .LBB124_153
.LBB124_151:
                                        ; implicit-def: $vgpr13_vgpr14
.LBB124_152:
	ds_load_b64 v[13:14], v15
.LBB124_153:
	s_and_saveexec_b32 s4, s1
	s_cbranch_execz .LBB124_157
; %bb.154:
	v_mov_b32_e32 v150, 0
	v_subrev_nc_u32_e32 v151, 45, v0
	s_movk_i32 s5, 0x358
	s_mov_b32 s1, 0
	s_delay_alu instid0(VALU_DEP_2)
	v_add_nc_u32_e32 v150, 0x168, v150
.LBB124_155:                            ; =>This Inner Loop Header: Depth=1
	scratch_load_b64 v[152:153], v150, off
	v_dual_mov_b32 v154, s5 :: v_dual_add_nc_u32 v151, -1, v151
	v_add_nc_u32_e32 v150, 8, v150
	s_add_i32 s5, s5, 8
	ds_load_b64 v[154:155], v154
	v_cmp_eq_u32_e32 vcc_lo, 0, v151
	s_or_b32 s1, vcc_lo, s1
	s_waitcnt vmcnt(0) lgkmcnt(0)
	v_fma_f64 v[13:14], v[152:153], v[154:155], v[13:14]
	s_and_not1_b32 exec_lo, exec_lo, s1
	s_cbranch_execnz .LBB124_155
; %bb.156:
	s_or_b32 exec_lo, exec_lo, s1
.LBB124_157:
	s_delay_alu instid0(SALU_CYCLE_1)
	s_or_b32 exec_lo, exec_lo, s4
	v_mov_b32_e32 v150, 0
	ds_load_b64 v[150:151], v150 offset:352
	s_waitcnt lgkmcnt(0)
	v_mul_f64 v[13:14], v[13:14], v[150:151]
	scratch_store_b64 off, v[13:14], off offset:352
.LBB124_158:
	s_or_b32 exec_lo, exec_lo, s2
	scratch_load_b64 v[13:14], off, off offset:344
	v_cmp_lt_u32_e64 s1, 43, v0
	s_waitcnt vmcnt(0)
	ds_store_b64 v15, v[13:14]
	s_waitcnt lgkmcnt(0)
	s_waitcnt_vscnt null, 0x0
	s_barrier
	buffer_gl0_inv
	s_and_saveexec_b32 s2, s1
	s_cbranch_execz .LBB124_168
; %bb.159:
	s_and_not1_b32 vcc_lo, exec_lo, s3
	s_cbranch_vccnz .LBB124_161
; %bb.160:
	scratch_load_b64 v[13:14], v16, off
	ds_load_b64 v[150:151], v15
	s_waitcnt vmcnt(0) lgkmcnt(0)
	v_mul_f64 v[13:14], v[13:14], v[150:151]
	s_cbranch_execz .LBB124_162
	s_branch .LBB124_163
.LBB124_161:
                                        ; implicit-def: $vgpr13_vgpr14
.LBB124_162:
	ds_load_b64 v[13:14], v15
.LBB124_163:
	s_and_saveexec_b32 s4, s0
	s_cbranch_execz .LBB124_167
; %bb.164:
	v_subrev_nc_u32_e32 v150, 44, v0
	s_movk_i32 s5, 0x350
	s_mov_b32 s0, 0
.LBB124_165:                            ; =>This Inner Loop Header: Depth=1
	scratch_load_b64 v[151:152], v149, off
	v_dual_mov_b32 v153, s5 :: v_dual_add_nc_u32 v150, -1, v150
	v_add_nc_u32_e32 v149, 8, v149
	s_add_i32 s5, s5, 8
	ds_load_b64 v[153:154], v153
	v_cmp_eq_u32_e32 vcc_lo, 0, v150
	s_or_b32 s0, vcc_lo, s0
	s_waitcnt vmcnt(0) lgkmcnt(0)
	v_fma_f64 v[13:14], v[151:152], v[153:154], v[13:14]
	s_and_not1_b32 exec_lo, exec_lo, s0
	s_cbranch_execnz .LBB124_165
; %bb.166:
	s_or_b32 exec_lo, exec_lo, s0
.LBB124_167:
	s_delay_alu instid0(SALU_CYCLE_1)
	s_or_b32 exec_lo, exec_lo, s4
	v_mov_b32_e32 v149, 0
	ds_load_b64 v[149:150], v149 offset:344
	s_waitcnt lgkmcnt(0)
	v_mul_f64 v[13:14], v[13:14], v[149:150]
	scratch_store_b64 off, v[13:14], off offset:344
.LBB124_168:
	s_or_b32 exec_lo, exec_lo, s2
	scratch_load_b64 v[13:14], off, off offset:336
	v_cmp_lt_u32_e64 s0, 42, v0
	s_waitcnt vmcnt(0)
	ds_store_b64 v15, v[13:14]
	s_waitcnt lgkmcnt(0)
	s_waitcnt_vscnt null, 0x0
	s_barrier
	buffer_gl0_inv
	s_and_saveexec_b32 s2, s0
	s_cbranch_execz .LBB124_178
; %bb.169:
	s_and_not1_b32 vcc_lo, exec_lo, s3
	s_cbranch_vccnz .LBB124_171
; %bb.170:
	scratch_load_b64 v[13:14], v16, off
	ds_load_b64 v[149:150], v15
	s_waitcnt vmcnt(0) lgkmcnt(0)
	v_mul_f64 v[13:14], v[13:14], v[149:150]
	s_cbranch_execz .LBB124_172
	s_branch .LBB124_173
.LBB124_171:
                                        ; implicit-def: $vgpr13_vgpr14
.LBB124_172:
	ds_load_b64 v[13:14], v15
.LBB124_173:
	s_and_saveexec_b32 s4, s1
	s_cbranch_execz .LBB124_177
; %bb.174:
	v_mov_b32_e32 v149, 0
	v_subrev_nc_u32_e32 v150, 43, v0
	s_movk_i32 s5, 0x348
	s_mov_b32 s1, 0
	s_delay_alu instid0(VALU_DEP_2)
	v_add_nc_u32_e32 v149, 0x158, v149
.LBB124_175:                            ; =>This Inner Loop Header: Depth=1
	scratch_load_b64 v[151:152], v149, off
	v_dual_mov_b32 v153, s5 :: v_dual_add_nc_u32 v150, -1, v150
	v_add_nc_u32_e32 v149, 8, v149
	s_add_i32 s5, s5, 8
	ds_load_b64 v[153:154], v153
	v_cmp_eq_u32_e32 vcc_lo, 0, v150
	s_or_b32 s1, vcc_lo, s1
	s_waitcnt vmcnt(0) lgkmcnt(0)
	v_fma_f64 v[13:14], v[151:152], v[153:154], v[13:14]
	s_and_not1_b32 exec_lo, exec_lo, s1
	s_cbranch_execnz .LBB124_175
; %bb.176:
	s_or_b32 exec_lo, exec_lo, s1
.LBB124_177:
	s_delay_alu instid0(SALU_CYCLE_1)
	s_or_b32 exec_lo, exec_lo, s4
	v_mov_b32_e32 v149, 0
	ds_load_b64 v[149:150], v149 offset:336
	s_waitcnt lgkmcnt(0)
	v_mul_f64 v[13:14], v[13:14], v[149:150]
	scratch_store_b64 off, v[13:14], off offset:336
.LBB124_178:
	s_or_b32 exec_lo, exec_lo, s2
	scratch_load_b64 v[13:14], off, off offset:328
	v_cmp_lt_u32_e64 s1, 41, v0
	s_waitcnt vmcnt(0)
	ds_store_b64 v15, v[13:14]
	s_waitcnt lgkmcnt(0)
	s_waitcnt_vscnt null, 0x0
	s_barrier
	buffer_gl0_inv
	s_and_saveexec_b32 s2, s1
	s_cbranch_execz .LBB124_188
; %bb.179:
	s_and_not1_b32 vcc_lo, exec_lo, s3
	s_cbranch_vccnz .LBB124_181
; %bb.180:
	scratch_load_b64 v[13:14], v16, off
	ds_load_b64 v[149:150], v15
	s_waitcnt vmcnt(0) lgkmcnt(0)
	v_mul_f64 v[13:14], v[13:14], v[149:150]
	s_cbranch_execz .LBB124_182
	s_branch .LBB124_183
.LBB124_181:
                                        ; implicit-def: $vgpr13_vgpr14
.LBB124_182:
	ds_load_b64 v[13:14], v15
.LBB124_183:
	s_and_saveexec_b32 s4, s0
	s_cbranch_execz .LBB124_187
; %bb.184:
	v_subrev_nc_u32_e32 v149, 42, v0
	s_movk_i32 s5, 0x340
	s_mov_b32 s0, 0
.LBB124_185:                            ; =>This Inner Loop Header: Depth=1
	scratch_load_b64 v[150:151], v148, off
	v_dual_mov_b32 v152, s5 :: v_dual_add_nc_u32 v149, -1, v149
	v_add_nc_u32_e32 v148, 8, v148
	s_add_i32 s5, s5, 8
	ds_load_b64 v[152:153], v152
	v_cmp_eq_u32_e32 vcc_lo, 0, v149
	s_or_b32 s0, vcc_lo, s0
	s_waitcnt vmcnt(0) lgkmcnt(0)
	v_fma_f64 v[13:14], v[150:151], v[152:153], v[13:14]
	s_and_not1_b32 exec_lo, exec_lo, s0
	s_cbranch_execnz .LBB124_185
; %bb.186:
	s_or_b32 exec_lo, exec_lo, s0
.LBB124_187:
	s_delay_alu instid0(SALU_CYCLE_1)
	s_or_b32 exec_lo, exec_lo, s4
	v_mov_b32_e32 v148, 0
	ds_load_b64 v[148:149], v148 offset:328
	s_waitcnt lgkmcnt(0)
	v_mul_f64 v[13:14], v[13:14], v[148:149]
	scratch_store_b64 off, v[13:14], off offset:328
.LBB124_188:
	s_or_b32 exec_lo, exec_lo, s2
	scratch_load_b64 v[13:14], off, off offset:320
	v_cmp_lt_u32_e64 s0, 40, v0
	s_waitcnt vmcnt(0)
	ds_store_b64 v15, v[13:14]
	s_waitcnt lgkmcnt(0)
	s_waitcnt_vscnt null, 0x0
	s_barrier
	buffer_gl0_inv
	s_and_saveexec_b32 s2, s0
	s_cbranch_execz .LBB124_198
; %bb.189:
	s_and_not1_b32 vcc_lo, exec_lo, s3
	s_cbranch_vccnz .LBB124_191
; %bb.190:
	scratch_load_b64 v[13:14], v16, off
	ds_load_b64 v[148:149], v15
	s_waitcnt vmcnt(0) lgkmcnt(0)
	v_mul_f64 v[13:14], v[13:14], v[148:149]
	s_cbranch_execz .LBB124_192
	s_branch .LBB124_193
.LBB124_191:
                                        ; implicit-def: $vgpr13_vgpr14
.LBB124_192:
	ds_load_b64 v[13:14], v15
.LBB124_193:
	s_and_saveexec_b32 s4, s1
	s_cbranch_execz .LBB124_197
; %bb.194:
	v_mov_b32_e32 v148, 0
	v_subrev_nc_u32_e32 v149, 41, v0
	s_movk_i32 s5, 0x338
	s_mov_b32 s1, 0
	s_delay_alu instid0(VALU_DEP_2)
	v_add_nc_u32_e32 v148, 0x148, v148
.LBB124_195:                            ; =>This Inner Loop Header: Depth=1
	scratch_load_b64 v[150:151], v148, off
	v_dual_mov_b32 v152, s5 :: v_dual_add_nc_u32 v149, -1, v149
	v_add_nc_u32_e32 v148, 8, v148
	s_add_i32 s5, s5, 8
	ds_load_b64 v[152:153], v152
	v_cmp_eq_u32_e32 vcc_lo, 0, v149
	s_or_b32 s1, vcc_lo, s1
	s_waitcnt vmcnt(0) lgkmcnt(0)
	v_fma_f64 v[13:14], v[150:151], v[152:153], v[13:14]
	s_and_not1_b32 exec_lo, exec_lo, s1
	s_cbranch_execnz .LBB124_195
; %bb.196:
	s_or_b32 exec_lo, exec_lo, s1
.LBB124_197:
	s_delay_alu instid0(SALU_CYCLE_1)
	s_or_b32 exec_lo, exec_lo, s4
	v_mov_b32_e32 v148, 0
	ds_load_b64 v[148:149], v148 offset:320
	s_waitcnt lgkmcnt(0)
	v_mul_f64 v[13:14], v[13:14], v[148:149]
	scratch_store_b64 off, v[13:14], off offset:320
.LBB124_198:
	s_or_b32 exec_lo, exec_lo, s2
	scratch_load_b64 v[13:14], off, off offset:312
	v_cmp_lt_u32_e64 s1, 39, v0
	s_waitcnt vmcnt(0)
	ds_store_b64 v15, v[13:14]
	s_waitcnt lgkmcnt(0)
	s_waitcnt_vscnt null, 0x0
	s_barrier
	buffer_gl0_inv
	s_and_saveexec_b32 s2, s1
	s_cbranch_execz .LBB124_208
; %bb.199:
	s_and_not1_b32 vcc_lo, exec_lo, s3
	s_cbranch_vccnz .LBB124_201
; %bb.200:
	scratch_load_b64 v[13:14], v16, off
	ds_load_b64 v[148:149], v15
	s_waitcnt vmcnt(0) lgkmcnt(0)
	v_mul_f64 v[13:14], v[13:14], v[148:149]
	s_cbranch_execz .LBB124_202
	s_branch .LBB124_203
.LBB124_201:
                                        ; implicit-def: $vgpr13_vgpr14
.LBB124_202:
	ds_load_b64 v[13:14], v15
.LBB124_203:
	s_and_saveexec_b32 s4, s0
	s_cbranch_execz .LBB124_207
; %bb.204:
	v_subrev_nc_u32_e32 v148, 40, v0
	s_movk_i32 s5, 0x330
	s_mov_b32 s0, 0
.LBB124_205:                            ; =>This Inner Loop Header: Depth=1
	scratch_load_b64 v[149:150], v147, off
	v_dual_mov_b32 v151, s5 :: v_dual_add_nc_u32 v148, -1, v148
	v_add_nc_u32_e32 v147, 8, v147
	s_add_i32 s5, s5, 8
	ds_load_b64 v[151:152], v151
	v_cmp_eq_u32_e32 vcc_lo, 0, v148
	s_or_b32 s0, vcc_lo, s0
	s_waitcnt vmcnt(0) lgkmcnt(0)
	v_fma_f64 v[13:14], v[149:150], v[151:152], v[13:14]
	s_and_not1_b32 exec_lo, exec_lo, s0
	s_cbranch_execnz .LBB124_205
; %bb.206:
	s_or_b32 exec_lo, exec_lo, s0
.LBB124_207:
	s_delay_alu instid0(SALU_CYCLE_1)
	s_or_b32 exec_lo, exec_lo, s4
	v_mov_b32_e32 v147, 0
	ds_load_b64 v[147:148], v147 offset:312
	s_waitcnt lgkmcnt(0)
	v_mul_f64 v[13:14], v[13:14], v[147:148]
	scratch_store_b64 off, v[13:14], off offset:312
.LBB124_208:
	s_or_b32 exec_lo, exec_lo, s2
	scratch_load_b64 v[13:14], off, off offset:304
	v_cmp_lt_u32_e64 s0, 38, v0
	s_waitcnt vmcnt(0)
	ds_store_b64 v15, v[13:14]
	s_waitcnt lgkmcnt(0)
	s_waitcnt_vscnt null, 0x0
	s_barrier
	buffer_gl0_inv
	s_and_saveexec_b32 s2, s0
	s_cbranch_execz .LBB124_218
; %bb.209:
	s_and_not1_b32 vcc_lo, exec_lo, s3
	s_cbranch_vccnz .LBB124_211
; %bb.210:
	scratch_load_b64 v[13:14], v16, off
	ds_load_b64 v[147:148], v15
	s_waitcnt vmcnt(0) lgkmcnt(0)
	v_mul_f64 v[13:14], v[13:14], v[147:148]
	s_cbranch_execz .LBB124_212
	s_branch .LBB124_213
.LBB124_211:
                                        ; implicit-def: $vgpr13_vgpr14
.LBB124_212:
	ds_load_b64 v[13:14], v15
.LBB124_213:
	s_and_saveexec_b32 s4, s1
	s_cbranch_execz .LBB124_217
; %bb.214:
	v_mov_b32_e32 v147, 0
	v_subrev_nc_u32_e32 v148, 39, v0
	s_movk_i32 s5, 0x328
	s_mov_b32 s1, 0
	s_delay_alu instid0(VALU_DEP_2)
	v_add_nc_u32_e32 v147, 0x138, v147
.LBB124_215:                            ; =>This Inner Loop Header: Depth=1
	scratch_load_b64 v[149:150], v147, off
	v_dual_mov_b32 v151, s5 :: v_dual_add_nc_u32 v148, -1, v148
	v_add_nc_u32_e32 v147, 8, v147
	s_add_i32 s5, s5, 8
	ds_load_b64 v[151:152], v151
	v_cmp_eq_u32_e32 vcc_lo, 0, v148
	s_or_b32 s1, vcc_lo, s1
	s_waitcnt vmcnt(0) lgkmcnt(0)
	v_fma_f64 v[13:14], v[149:150], v[151:152], v[13:14]
	s_and_not1_b32 exec_lo, exec_lo, s1
	s_cbranch_execnz .LBB124_215
; %bb.216:
	s_or_b32 exec_lo, exec_lo, s1
.LBB124_217:
	s_delay_alu instid0(SALU_CYCLE_1)
	s_or_b32 exec_lo, exec_lo, s4
	v_mov_b32_e32 v147, 0
	ds_load_b64 v[147:148], v147 offset:304
	s_waitcnt lgkmcnt(0)
	v_mul_f64 v[13:14], v[13:14], v[147:148]
	scratch_store_b64 off, v[13:14], off offset:304
.LBB124_218:
	s_or_b32 exec_lo, exec_lo, s2
	scratch_load_b64 v[13:14], off, off offset:296
	v_cmp_lt_u32_e64 s1, 37, v0
	s_waitcnt vmcnt(0)
	ds_store_b64 v15, v[13:14]
	s_waitcnt lgkmcnt(0)
	s_waitcnt_vscnt null, 0x0
	s_barrier
	buffer_gl0_inv
	s_and_saveexec_b32 s2, s1
	s_cbranch_execz .LBB124_228
; %bb.219:
	s_and_not1_b32 vcc_lo, exec_lo, s3
	s_cbranch_vccnz .LBB124_221
; %bb.220:
	scratch_load_b64 v[13:14], v16, off
	ds_load_b64 v[147:148], v15
	s_waitcnt vmcnt(0) lgkmcnt(0)
	v_mul_f64 v[13:14], v[13:14], v[147:148]
	s_cbranch_execz .LBB124_222
	s_branch .LBB124_223
.LBB124_221:
                                        ; implicit-def: $vgpr13_vgpr14
.LBB124_222:
	ds_load_b64 v[13:14], v15
.LBB124_223:
	s_and_saveexec_b32 s4, s0
	s_cbranch_execz .LBB124_227
; %bb.224:
	v_subrev_nc_u32_e32 v147, 38, v0
	s_movk_i32 s5, 0x320
	s_mov_b32 s0, 0
.LBB124_225:                            ; =>This Inner Loop Header: Depth=1
	scratch_load_b64 v[148:149], v146, off
	v_dual_mov_b32 v150, s5 :: v_dual_add_nc_u32 v147, -1, v147
	v_add_nc_u32_e32 v146, 8, v146
	s_add_i32 s5, s5, 8
	ds_load_b64 v[150:151], v150
	v_cmp_eq_u32_e32 vcc_lo, 0, v147
	s_or_b32 s0, vcc_lo, s0
	s_waitcnt vmcnt(0) lgkmcnt(0)
	v_fma_f64 v[13:14], v[148:149], v[150:151], v[13:14]
	s_and_not1_b32 exec_lo, exec_lo, s0
	s_cbranch_execnz .LBB124_225
; %bb.226:
	s_or_b32 exec_lo, exec_lo, s0
.LBB124_227:
	s_delay_alu instid0(SALU_CYCLE_1)
	s_or_b32 exec_lo, exec_lo, s4
	v_mov_b32_e32 v146, 0
	ds_load_b64 v[146:147], v146 offset:296
	s_waitcnt lgkmcnt(0)
	v_mul_f64 v[13:14], v[13:14], v[146:147]
	scratch_store_b64 off, v[13:14], off offset:296
.LBB124_228:
	s_or_b32 exec_lo, exec_lo, s2
	scratch_load_b64 v[13:14], off, off offset:288
	v_cmp_lt_u32_e64 s0, 36, v0
	s_waitcnt vmcnt(0)
	ds_store_b64 v15, v[13:14]
	s_waitcnt lgkmcnt(0)
	s_waitcnt_vscnt null, 0x0
	s_barrier
	buffer_gl0_inv
	s_and_saveexec_b32 s2, s0
	s_cbranch_execz .LBB124_238
; %bb.229:
	s_and_not1_b32 vcc_lo, exec_lo, s3
	s_cbranch_vccnz .LBB124_231
; %bb.230:
	scratch_load_b64 v[13:14], v16, off
	ds_load_b64 v[146:147], v15
	s_waitcnt vmcnt(0) lgkmcnt(0)
	v_mul_f64 v[13:14], v[13:14], v[146:147]
	s_cbranch_execz .LBB124_232
	s_branch .LBB124_233
.LBB124_231:
                                        ; implicit-def: $vgpr13_vgpr14
.LBB124_232:
	ds_load_b64 v[13:14], v15
.LBB124_233:
	s_and_saveexec_b32 s4, s1
	s_cbranch_execz .LBB124_237
; %bb.234:
	v_mov_b32_e32 v146, 0
	v_subrev_nc_u32_e32 v147, 37, v0
	s_movk_i32 s5, 0x318
	s_mov_b32 s1, 0
	s_delay_alu instid0(VALU_DEP_2)
	v_add_nc_u32_e32 v146, 0x128, v146
.LBB124_235:                            ; =>This Inner Loop Header: Depth=1
	scratch_load_b64 v[148:149], v146, off
	v_dual_mov_b32 v150, s5 :: v_dual_add_nc_u32 v147, -1, v147
	v_add_nc_u32_e32 v146, 8, v146
	s_add_i32 s5, s5, 8
	ds_load_b64 v[150:151], v150
	v_cmp_eq_u32_e32 vcc_lo, 0, v147
	s_or_b32 s1, vcc_lo, s1
	s_waitcnt vmcnt(0) lgkmcnt(0)
	v_fma_f64 v[13:14], v[148:149], v[150:151], v[13:14]
	s_and_not1_b32 exec_lo, exec_lo, s1
	s_cbranch_execnz .LBB124_235
; %bb.236:
	s_or_b32 exec_lo, exec_lo, s1
.LBB124_237:
	s_delay_alu instid0(SALU_CYCLE_1)
	s_or_b32 exec_lo, exec_lo, s4
	v_mov_b32_e32 v146, 0
	ds_load_b64 v[146:147], v146 offset:288
	s_waitcnt lgkmcnt(0)
	v_mul_f64 v[13:14], v[13:14], v[146:147]
	scratch_store_b64 off, v[13:14], off offset:288
.LBB124_238:
	s_or_b32 exec_lo, exec_lo, s2
	scratch_load_b64 v[13:14], off, off offset:280
	v_cmp_lt_u32_e64 s1, 35, v0
	s_waitcnt vmcnt(0)
	ds_store_b64 v15, v[13:14]
	s_waitcnt lgkmcnt(0)
	s_waitcnt_vscnt null, 0x0
	s_barrier
	buffer_gl0_inv
	s_and_saveexec_b32 s2, s1
	s_cbranch_execz .LBB124_248
; %bb.239:
	s_and_not1_b32 vcc_lo, exec_lo, s3
	s_cbranch_vccnz .LBB124_241
; %bb.240:
	scratch_load_b64 v[13:14], v16, off
	ds_load_b64 v[146:147], v15
	s_waitcnt vmcnt(0) lgkmcnt(0)
	v_mul_f64 v[13:14], v[13:14], v[146:147]
	s_cbranch_execz .LBB124_242
	s_branch .LBB124_243
.LBB124_241:
                                        ; implicit-def: $vgpr13_vgpr14
.LBB124_242:
	ds_load_b64 v[13:14], v15
.LBB124_243:
	s_and_saveexec_b32 s4, s0
	s_cbranch_execz .LBB124_247
; %bb.244:
	v_subrev_nc_u32_e32 v146, 36, v0
	s_movk_i32 s5, 0x310
	s_mov_b32 s0, 0
.LBB124_245:                            ; =>This Inner Loop Header: Depth=1
	scratch_load_b64 v[147:148], v44, off
	v_dual_mov_b32 v149, s5 :: v_dual_add_nc_u32 v146, -1, v146
	v_add_nc_u32_e32 v44, 8, v44
	s_add_i32 s5, s5, 8
	ds_load_b64 v[149:150], v149
	v_cmp_eq_u32_e32 vcc_lo, 0, v146
	s_or_b32 s0, vcc_lo, s0
	s_waitcnt vmcnt(0) lgkmcnt(0)
	v_fma_f64 v[13:14], v[147:148], v[149:150], v[13:14]
	s_and_not1_b32 exec_lo, exec_lo, s0
	s_cbranch_execnz .LBB124_245
; %bb.246:
	s_or_b32 exec_lo, exec_lo, s0
.LBB124_247:
	s_delay_alu instid0(SALU_CYCLE_1)
	s_or_b32 exec_lo, exec_lo, s4
	v_mov_b32_e32 v44, 0
	ds_load_b64 v[146:147], v44 offset:280
	s_waitcnt lgkmcnt(0)
	v_mul_f64 v[13:14], v[13:14], v[146:147]
	scratch_store_b64 off, v[13:14], off offset:280
.LBB124_248:
	s_or_b32 exec_lo, exec_lo, s2
	scratch_load_b64 v[13:14], off, off offset:272
	v_cmp_lt_u32_e64 s0, 34, v0
	s_waitcnt vmcnt(0)
	ds_store_b64 v15, v[13:14]
	s_waitcnt lgkmcnt(0)
	s_waitcnt_vscnt null, 0x0
	s_barrier
	buffer_gl0_inv
	s_and_saveexec_b32 s2, s0
	s_cbranch_execz .LBB124_258
; %bb.249:
	s_and_not1_b32 vcc_lo, exec_lo, s3
	s_cbranch_vccnz .LBB124_251
; %bb.250:
	scratch_load_b64 v[13:14], v16, off
	ds_load_b64 v[146:147], v15
	s_waitcnt vmcnt(0) lgkmcnt(0)
	v_mul_f64 v[13:14], v[13:14], v[146:147]
	s_cbranch_execz .LBB124_252
	s_branch .LBB124_253
.LBB124_251:
                                        ; implicit-def: $vgpr13_vgpr14
.LBB124_252:
	ds_load_b64 v[13:14], v15
.LBB124_253:
	s_and_saveexec_b32 s4, s1
	s_cbranch_execz .LBB124_257
; %bb.254:
	v_mov_b32_e32 v44, 0
	v_subrev_nc_u32_e32 v146, 35, v0
	s_movk_i32 s5, 0x308
	s_mov_b32 s1, 0
	s_delay_alu instid0(VALU_DEP_2)
	v_add_nc_u32_e32 v44, 0x118, v44
.LBB124_255:                            ; =>This Inner Loop Header: Depth=1
	scratch_load_b64 v[147:148], v44, off
	v_dual_mov_b32 v149, s5 :: v_dual_add_nc_u32 v146, -1, v146
	v_add_nc_u32_e32 v44, 8, v44
	s_add_i32 s5, s5, 8
	ds_load_b64 v[149:150], v149
	v_cmp_eq_u32_e32 vcc_lo, 0, v146
	s_or_b32 s1, vcc_lo, s1
	s_waitcnt vmcnt(0) lgkmcnt(0)
	v_fma_f64 v[13:14], v[147:148], v[149:150], v[13:14]
	s_and_not1_b32 exec_lo, exec_lo, s1
	s_cbranch_execnz .LBB124_255
; %bb.256:
	s_or_b32 exec_lo, exec_lo, s1
.LBB124_257:
	s_delay_alu instid0(SALU_CYCLE_1)
	s_or_b32 exec_lo, exec_lo, s4
	v_mov_b32_e32 v44, 0
	ds_load_b64 v[146:147], v44 offset:272
	s_waitcnt lgkmcnt(0)
	v_mul_f64 v[13:14], v[13:14], v[146:147]
	scratch_store_b64 off, v[13:14], off offset:272
.LBB124_258:
	s_or_b32 exec_lo, exec_lo, s2
	scratch_load_b64 v[13:14], off, off offset:264
	v_cmp_lt_u32_e64 s1, 33, v0
	s_waitcnt vmcnt(0)
	ds_store_b64 v15, v[13:14]
	s_waitcnt lgkmcnt(0)
	s_waitcnt_vscnt null, 0x0
	s_barrier
	buffer_gl0_inv
	s_and_saveexec_b32 s2, s1
	s_cbranch_execz .LBB124_268
; %bb.259:
	s_and_not1_b32 vcc_lo, exec_lo, s3
	s_cbranch_vccnz .LBB124_261
; %bb.260:
	scratch_load_b64 v[13:14], v16, off
	ds_load_b64 v[146:147], v15
	s_waitcnt vmcnt(0) lgkmcnt(0)
	v_mul_f64 v[13:14], v[13:14], v[146:147]
	s_cbranch_execz .LBB124_262
	s_branch .LBB124_263
.LBB124_261:
                                        ; implicit-def: $vgpr13_vgpr14
.LBB124_262:
	ds_load_b64 v[13:14], v15
.LBB124_263:
	s_and_saveexec_b32 s4, s0
	s_cbranch_execz .LBB124_267
; %bb.264:
	v_subrev_nc_u32_e32 v44, 34, v0
	s_movk_i32 s5, 0x300
	s_mov_b32 s0, 0
.LBB124_265:                            ; =>This Inner Loop Header: Depth=1
	scratch_load_b64 v[146:147], v43, off
	v_dual_mov_b32 v148, s5 :: v_dual_add_nc_u32 v43, 8, v43
	v_add_nc_u32_e32 v44, -1, v44
	s_add_i32 s5, s5, 8
	ds_load_b64 v[148:149], v148
	v_cmp_eq_u32_e32 vcc_lo, 0, v44
	s_or_b32 s0, vcc_lo, s0
	s_waitcnt vmcnt(0) lgkmcnt(0)
	v_fma_f64 v[13:14], v[146:147], v[148:149], v[13:14]
	s_and_not1_b32 exec_lo, exec_lo, s0
	s_cbranch_execnz .LBB124_265
; %bb.266:
	s_or_b32 exec_lo, exec_lo, s0
.LBB124_267:
	s_delay_alu instid0(SALU_CYCLE_1)
	s_or_b32 exec_lo, exec_lo, s4
	v_mov_b32_e32 v43, 0
	ds_load_b64 v[43:44], v43 offset:264
	s_waitcnt lgkmcnt(0)
	v_mul_f64 v[13:14], v[13:14], v[43:44]
	scratch_store_b64 off, v[13:14], off offset:264
.LBB124_268:
	s_or_b32 exec_lo, exec_lo, s2
	scratch_load_b64 v[13:14], off, off offset:256
	v_cmp_lt_u32_e64 s0, 32, v0
	s_waitcnt vmcnt(0)
	ds_store_b64 v15, v[13:14]
	s_waitcnt lgkmcnt(0)
	s_waitcnt_vscnt null, 0x0
	s_barrier
	buffer_gl0_inv
	s_and_saveexec_b32 s2, s0
	s_cbranch_execz .LBB124_278
; %bb.269:
	s_and_not1_b32 vcc_lo, exec_lo, s3
	s_cbranch_vccnz .LBB124_271
; %bb.270:
	scratch_load_b64 v[13:14], v16, off
	ds_load_b64 v[43:44], v15
	s_waitcnt vmcnt(0) lgkmcnt(0)
	v_mul_f64 v[13:14], v[13:14], v[43:44]
	s_cbranch_execz .LBB124_272
	s_branch .LBB124_273
.LBB124_271:
                                        ; implicit-def: $vgpr13_vgpr14
.LBB124_272:
	ds_load_b64 v[13:14], v15
.LBB124_273:
	s_and_saveexec_b32 s4, s1
	s_cbranch_execz .LBB124_277
; %bb.274:
	v_mov_b32_e32 v43, 0
	v_subrev_nc_u32_e32 v44, 33, v0
	s_movk_i32 s5, 0x2f8
	s_mov_b32 s1, 0
	s_delay_alu instid0(VALU_DEP_2)
	v_add_nc_u32_e32 v43, 0x108, v43
.LBB124_275:                            ; =>This Inner Loop Header: Depth=1
	scratch_load_b64 v[146:147], v43, off
	v_dual_mov_b32 v148, s5 :: v_dual_add_nc_u32 v43, 8, v43
	v_add_nc_u32_e32 v44, -1, v44
	s_add_i32 s5, s5, 8
	ds_load_b64 v[148:149], v148
	v_cmp_eq_u32_e32 vcc_lo, 0, v44
	s_or_b32 s1, vcc_lo, s1
	s_waitcnt vmcnt(0) lgkmcnt(0)
	v_fma_f64 v[13:14], v[146:147], v[148:149], v[13:14]
	s_and_not1_b32 exec_lo, exec_lo, s1
	s_cbranch_execnz .LBB124_275
; %bb.276:
	s_or_b32 exec_lo, exec_lo, s1
.LBB124_277:
	s_delay_alu instid0(SALU_CYCLE_1)
	s_or_b32 exec_lo, exec_lo, s4
	v_mov_b32_e32 v43, 0
	ds_load_b64 v[43:44], v43 offset:256
	s_waitcnt lgkmcnt(0)
	v_mul_f64 v[13:14], v[13:14], v[43:44]
	scratch_store_b64 off, v[13:14], off offset:256
.LBB124_278:
	s_or_b32 exec_lo, exec_lo, s2
	scratch_load_b64 v[13:14], off, off offset:248
	v_cmp_lt_u32_e64 s1, 31, v0
	s_waitcnt vmcnt(0)
	ds_store_b64 v15, v[13:14]
	s_waitcnt lgkmcnt(0)
	s_waitcnt_vscnt null, 0x0
	s_barrier
	buffer_gl0_inv
	s_and_saveexec_b32 s2, s1
	s_cbranch_execz .LBB124_288
; %bb.279:
	s_and_not1_b32 vcc_lo, exec_lo, s3
	s_cbranch_vccnz .LBB124_281
; %bb.280:
	scratch_load_b64 v[13:14], v16, off
	ds_load_b64 v[43:44], v15
	s_waitcnt vmcnt(0) lgkmcnt(0)
	v_mul_f64 v[13:14], v[13:14], v[43:44]
	s_cbranch_execz .LBB124_282
	s_branch .LBB124_283
.LBB124_281:
                                        ; implicit-def: $vgpr13_vgpr14
.LBB124_282:
	ds_load_b64 v[13:14], v15
.LBB124_283:
	s_and_saveexec_b32 s4, s0
	s_cbranch_execz .LBB124_287
; %bb.284:
	v_subrev_nc_u32_e32 v43, 32, v0
	s_movk_i32 s5, 0x2f0
	s_mov_b32 s0, 0
.LBB124_285:                            ; =>This Inner Loop Header: Depth=1
	scratch_load_b64 v[146:147], v42, off
	v_dual_mov_b32 v44, s5 :: v_dual_add_nc_u32 v43, -1, v43
	v_add_nc_u32_e32 v42, 8, v42
	s_add_i32 s5, s5, 8
	ds_load_b64 v[148:149], v44
	v_cmp_eq_u32_e32 vcc_lo, 0, v43
	s_or_b32 s0, vcc_lo, s0
	s_waitcnt vmcnt(0) lgkmcnt(0)
	v_fma_f64 v[13:14], v[146:147], v[148:149], v[13:14]
	s_and_not1_b32 exec_lo, exec_lo, s0
	s_cbranch_execnz .LBB124_285
; %bb.286:
	s_or_b32 exec_lo, exec_lo, s0
.LBB124_287:
	s_delay_alu instid0(SALU_CYCLE_1)
	s_or_b32 exec_lo, exec_lo, s4
	v_mov_b32_e32 v42, 0
	ds_load_b64 v[42:43], v42 offset:248
	s_waitcnt lgkmcnt(0)
	v_mul_f64 v[13:14], v[13:14], v[42:43]
	scratch_store_b64 off, v[13:14], off offset:248
.LBB124_288:
	s_or_b32 exec_lo, exec_lo, s2
	scratch_load_b64 v[13:14], off, off offset:240
	v_cmp_lt_u32_e64 s0, 30, v0
	s_waitcnt vmcnt(0)
	ds_store_b64 v15, v[13:14]
	s_waitcnt lgkmcnt(0)
	s_waitcnt_vscnt null, 0x0
	s_barrier
	buffer_gl0_inv
	s_and_saveexec_b32 s2, s0
	s_cbranch_execz .LBB124_298
; %bb.289:
	s_and_not1_b32 vcc_lo, exec_lo, s3
	s_cbranch_vccnz .LBB124_291
; %bb.290:
	scratch_load_b64 v[13:14], v16, off
	ds_load_b64 v[42:43], v15
	s_waitcnt vmcnt(0) lgkmcnt(0)
	v_mul_f64 v[13:14], v[13:14], v[42:43]
	s_cbranch_execz .LBB124_292
	s_branch .LBB124_293
.LBB124_291:
                                        ; implicit-def: $vgpr13_vgpr14
.LBB124_292:
	ds_load_b64 v[13:14], v15
.LBB124_293:
	s_and_saveexec_b32 s4, s1
	s_cbranch_execz .LBB124_297
; %bb.294:
	v_mov_b32_e32 v42, 0
	v_subrev_nc_u32_e32 v43, 31, v0
	s_movk_i32 s5, 0x2e8
	s_mov_b32 s1, 0
	s_delay_alu instid0(VALU_DEP_2)
	v_add_nc_u32_e32 v42, 0xf8, v42
.LBB124_295:                            ; =>This Inner Loop Header: Depth=1
	scratch_load_b64 v[146:147], v42, off
	v_dual_mov_b32 v44, s5 :: v_dual_add_nc_u32 v43, -1, v43
	v_add_nc_u32_e32 v42, 8, v42
	s_add_i32 s5, s5, 8
	ds_load_b64 v[148:149], v44
	v_cmp_eq_u32_e32 vcc_lo, 0, v43
	s_or_b32 s1, vcc_lo, s1
	s_waitcnt vmcnt(0) lgkmcnt(0)
	v_fma_f64 v[13:14], v[146:147], v[148:149], v[13:14]
	s_and_not1_b32 exec_lo, exec_lo, s1
	s_cbranch_execnz .LBB124_295
; %bb.296:
	s_or_b32 exec_lo, exec_lo, s1
.LBB124_297:
	s_delay_alu instid0(SALU_CYCLE_1)
	s_or_b32 exec_lo, exec_lo, s4
	v_mov_b32_e32 v42, 0
	ds_load_b64 v[42:43], v42 offset:240
	s_waitcnt lgkmcnt(0)
	v_mul_f64 v[13:14], v[13:14], v[42:43]
	scratch_store_b64 off, v[13:14], off offset:240
.LBB124_298:
	s_or_b32 exec_lo, exec_lo, s2
	scratch_load_b64 v[13:14], off, off offset:232
	v_cmp_lt_u32_e64 s1, 29, v0
	s_waitcnt vmcnt(0)
	ds_store_b64 v15, v[13:14]
	s_waitcnt lgkmcnt(0)
	s_waitcnt_vscnt null, 0x0
	s_barrier
	buffer_gl0_inv
	s_and_saveexec_b32 s2, s1
	s_cbranch_execz .LBB124_308
; %bb.299:
	s_and_not1_b32 vcc_lo, exec_lo, s3
	s_cbranch_vccnz .LBB124_301
; %bb.300:
	scratch_load_b64 v[13:14], v16, off
	ds_load_b64 v[42:43], v15
	s_waitcnt vmcnt(0) lgkmcnt(0)
	v_mul_f64 v[13:14], v[13:14], v[42:43]
	s_cbranch_execz .LBB124_302
	s_branch .LBB124_303
.LBB124_301:
                                        ; implicit-def: $vgpr13_vgpr14
.LBB124_302:
	ds_load_b64 v[13:14], v15
.LBB124_303:
	s_and_saveexec_b32 s4, s0
	s_cbranch_execz .LBB124_307
; %bb.304:
	v_subrev_nc_u32_e32 v42, 30, v0
	s_movk_i32 s5, 0x2e0
	s_mov_b32 s0, 0
.LBB124_305:                            ; =>This Inner Loop Header: Depth=1
	scratch_load_b64 v[43:44], v41, off
	v_dual_mov_b32 v146, s5 :: v_dual_add_nc_u32 v41, 8, v41
	v_add_nc_u32_e32 v42, -1, v42
	s_add_i32 s5, s5, 8
	ds_load_b64 v[146:147], v146
	v_cmp_eq_u32_e32 vcc_lo, 0, v42
	s_or_b32 s0, vcc_lo, s0
	s_waitcnt vmcnt(0) lgkmcnt(0)
	v_fma_f64 v[13:14], v[43:44], v[146:147], v[13:14]
	s_and_not1_b32 exec_lo, exec_lo, s0
	s_cbranch_execnz .LBB124_305
; %bb.306:
	s_or_b32 exec_lo, exec_lo, s0
.LBB124_307:
	s_delay_alu instid0(SALU_CYCLE_1)
	s_or_b32 exec_lo, exec_lo, s4
	v_mov_b32_e32 v41, 0
	ds_load_b64 v[41:42], v41 offset:232
	s_waitcnt lgkmcnt(0)
	v_mul_f64 v[13:14], v[13:14], v[41:42]
	scratch_store_b64 off, v[13:14], off offset:232
.LBB124_308:
	s_or_b32 exec_lo, exec_lo, s2
	scratch_load_b64 v[13:14], off, off offset:224
	v_cmp_lt_u32_e64 s0, 28, v0
	s_waitcnt vmcnt(0)
	ds_store_b64 v15, v[13:14]
	s_waitcnt lgkmcnt(0)
	s_waitcnt_vscnt null, 0x0
	s_barrier
	buffer_gl0_inv
	s_and_saveexec_b32 s2, s0
	s_cbranch_execz .LBB124_318
; %bb.309:
	s_and_not1_b32 vcc_lo, exec_lo, s3
	s_cbranch_vccnz .LBB124_311
; %bb.310:
	scratch_load_b64 v[13:14], v16, off
	ds_load_b64 v[41:42], v15
	s_waitcnt vmcnt(0) lgkmcnt(0)
	v_mul_f64 v[13:14], v[13:14], v[41:42]
	s_cbranch_execz .LBB124_312
	s_branch .LBB124_313
.LBB124_311:
                                        ; implicit-def: $vgpr13_vgpr14
.LBB124_312:
	ds_load_b64 v[13:14], v15
.LBB124_313:
	s_and_saveexec_b32 s4, s1
	s_cbranch_execz .LBB124_317
; %bb.314:
	v_mov_b32_e32 v41, 0
	v_subrev_nc_u32_e32 v42, 29, v0
	s_movk_i32 s5, 0x2d8
	s_mov_b32 s1, 0
	s_delay_alu instid0(VALU_DEP_2)
	v_add_nc_u32_e32 v41, 0xe8, v41
.LBB124_315:                            ; =>This Inner Loop Header: Depth=1
	scratch_load_b64 v[43:44], v41, off
	v_dual_mov_b32 v146, s5 :: v_dual_add_nc_u32 v41, 8, v41
	v_add_nc_u32_e32 v42, -1, v42
	s_add_i32 s5, s5, 8
	ds_load_b64 v[146:147], v146
	v_cmp_eq_u32_e32 vcc_lo, 0, v42
	s_or_b32 s1, vcc_lo, s1
	s_waitcnt vmcnt(0) lgkmcnt(0)
	v_fma_f64 v[13:14], v[43:44], v[146:147], v[13:14]
	s_and_not1_b32 exec_lo, exec_lo, s1
	s_cbranch_execnz .LBB124_315
; %bb.316:
	s_or_b32 exec_lo, exec_lo, s1
.LBB124_317:
	s_delay_alu instid0(SALU_CYCLE_1)
	s_or_b32 exec_lo, exec_lo, s4
	v_mov_b32_e32 v41, 0
	ds_load_b64 v[41:42], v41 offset:224
	s_waitcnt lgkmcnt(0)
	v_mul_f64 v[13:14], v[13:14], v[41:42]
	scratch_store_b64 off, v[13:14], off offset:224
.LBB124_318:
	s_or_b32 exec_lo, exec_lo, s2
	scratch_load_b64 v[13:14], off, off offset:216
	v_cmp_lt_u32_e64 s1, 27, v0
	s_waitcnt vmcnt(0)
	ds_store_b64 v15, v[13:14]
	s_waitcnt lgkmcnt(0)
	s_waitcnt_vscnt null, 0x0
	s_barrier
	buffer_gl0_inv
	s_and_saveexec_b32 s2, s1
	s_cbranch_execz .LBB124_328
; %bb.319:
	s_and_not1_b32 vcc_lo, exec_lo, s3
	s_cbranch_vccnz .LBB124_321
; %bb.320:
	scratch_load_b64 v[13:14], v16, off
	ds_load_b64 v[41:42], v15
	s_waitcnt vmcnt(0) lgkmcnt(0)
	v_mul_f64 v[13:14], v[13:14], v[41:42]
	s_cbranch_execz .LBB124_322
	s_branch .LBB124_323
.LBB124_321:
                                        ; implicit-def: $vgpr13_vgpr14
.LBB124_322:
	ds_load_b64 v[13:14], v15
.LBB124_323:
	s_and_saveexec_b32 s4, s0
	s_cbranch_execz .LBB124_327
; %bb.324:
	v_subrev_nc_u32_e32 v41, 28, v0
	s_movk_i32 s5, 0x2d0
	s_mov_b32 s0, 0
.LBB124_325:                            ; =>This Inner Loop Header: Depth=1
	scratch_load_b64 v[42:43], v40, off
	v_dual_mov_b32 v44, s5 :: v_dual_add_nc_u32 v41, -1, v41
	v_add_nc_u32_e32 v40, 8, v40
	s_add_i32 s5, s5, 8
	ds_load_b64 v[146:147], v44
	v_cmp_eq_u32_e32 vcc_lo, 0, v41
	s_or_b32 s0, vcc_lo, s0
	s_waitcnt vmcnt(0) lgkmcnt(0)
	v_fma_f64 v[13:14], v[42:43], v[146:147], v[13:14]
	s_and_not1_b32 exec_lo, exec_lo, s0
	s_cbranch_execnz .LBB124_325
; %bb.326:
	s_or_b32 exec_lo, exec_lo, s0
.LBB124_327:
	s_delay_alu instid0(SALU_CYCLE_1)
	s_or_b32 exec_lo, exec_lo, s4
	v_mov_b32_e32 v40, 0
	ds_load_b64 v[40:41], v40 offset:216
	s_waitcnt lgkmcnt(0)
	v_mul_f64 v[13:14], v[13:14], v[40:41]
	scratch_store_b64 off, v[13:14], off offset:216
.LBB124_328:
	s_or_b32 exec_lo, exec_lo, s2
	scratch_load_b64 v[13:14], off, off offset:208
	v_cmp_lt_u32_e64 s0, 26, v0
	s_waitcnt vmcnt(0)
	ds_store_b64 v15, v[13:14]
	s_waitcnt lgkmcnt(0)
	s_waitcnt_vscnt null, 0x0
	s_barrier
	buffer_gl0_inv
	s_and_saveexec_b32 s2, s0
	s_cbranch_execz .LBB124_338
; %bb.329:
	s_and_not1_b32 vcc_lo, exec_lo, s3
	s_cbranch_vccnz .LBB124_331
; %bb.330:
	scratch_load_b64 v[13:14], v16, off
	ds_load_b64 v[40:41], v15
	s_waitcnt vmcnt(0) lgkmcnt(0)
	v_mul_f64 v[13:14], v[13:14], v[40:41]
	s_cbranch_execz .LBB124_332
	s_branch .LBB124_333
.LBB124_331:
                                        ; implicit-def: $vgpr13_vgpr14
.LBB124_332:
	ds_load_b64 v[13:14], v15
.LBB124_333:
	s_and_saveexec_b32 s4, s1
	s_cbranch_execz .LBB124_337
; %bb.334:
	v_mov_b32_e32 v40, 0
	v_subrev_nc_u32_e32 v41, 27, v0
	s_movk_i32 s5, 0x2c8
	s_mov_b32 s1, 0
	s_delay_alu instid0(VALU_DEP_2)
	v_add_nc_u32_e32 v40, 0xd8, v40
.LBB124_335:                            ; =>This Inner Loop Header: Depth=1
	scratch_load_b64 v[42:43], v40, off
	v_dual_mov_b32 v44, s5 :: v_dual_add_nc_u32 v41, -1, v41
	v_add_nc_u32_e32 v40, 8, v40
	s_add_i32 s5, s5, 8
	ds_load_b64 v[146:147], v44
	v_cmp_eq_u32_e32 vcc_lo, 0, v41
	s_or_b32 s1, vcc_lo, s1
	s_waitcnt vmcnt(0) lgkmcnt(0)
	v_fma_f64 v[13:14], v[42:43], v[146:147], v[13:14]
	s_and_not1_b32 exec_lo, exec_lo, s1
	s_cbranch_execnz .LBB124_335
; %bb.336:
	s_or_b32 exec_lo, exec_lo, s1
.LBB124_337:
	s_delay_alu instid0(SALU_CYCLE_1)
	s_or_b32 exec_lo, exec_lo, s4
	v_mov_b32_e32 v40, 0
	ds_load_b64 v[40:41], v40 offset:208
	s_waitcnt lgkmcnt(0)
	v_mul_f64 v[13:14], v[13:14], v[40:41]
	scratch_store_b64 off, v[13:14], off offset:208
.LBB124_338:
	s_or_b32 exec_lo, exec_lo, s2
	scratch_load_b64 v[13:14], off, off offset:200
	v_cmp_lt_u32_e64 s1, 25, v0
	s_waitcnt vmcnt(0)
	ds_store_b64 v15, v[13:14]
	s_waitcnt lgkmcnt(0)
	s_waitcnt_vscnt null, 0x0
	s_barrier
	buffer_gl0_inv
	s_and_saveexec_b32 s2, s1
	s_cbranch_execz .LBB124_348
; %bb.339:
	s_and_not1_b32 vcc_lo, exec_lo, s3
	s_cbranch_vccnz .LBB124_341
; %bb.340:
	scratch_load_b64 v[13:14], v16, off
	ds_load_b64 v[40:41], v15
	s_waitcnt vmcnt(0) lgkmcnt(0)
	v_mul_f64 v[13:14], v[13:14], v[40:41]
	s_cbranch_execz .LBB124_342
	s_branch .LBB124_343
.LBB124_341:
                                        ; implicit-def: $vgpr13_vgpr14
.LBB124_342:
	ds_load_b64 v[13:14], v15
.LBB124_343:
	s_and_saveexec_b32 s4, s0
	s_cbranch_execz .LBB124_347
; %bb.344:
	v_subrev_nc_u32_e32 v40, 26, v0
	s_movk_i32 s5, 0x2c0
	s_mov_b32 s0, 0
.LBB124_345:                            ; =>This Inner Loop Header: Depth=1
	scratch_load_b64 v[41:42], v39, off
	v_dual_mov_b32 v43, s5 :: v_dual_add_nc_u32 v40, -1, v40
	v_add_nc_u32_e32 v39, 8, v39
	s_add_i32 s5, s5, 8
	ds_load_b64 v[43:44], v43
	v_cmp_eq_u32_e32 vcc_lo, 0, v40
	s_or_b32 s0, vcc_lo, s0
	s_waitcnt vmcnt(0) lgkmcnt(0)
	v_fma_f64 v[13:14], v[41:42], v[43:44], v[13:14]
	s_and_not1_b32 exec_lo, exec_lo, s0
	s_cbranch_execnz .LBB124_345
; %bb.346:
	s_or_b32 exec_lo, exec_lo, s0
.LBB124_347:
	s_delay_alu instid0(SALU_CYCLE_1)
	s_or_b32 exec_lo, exec_lo, s4
	v_mov_b32_e32 v39, 0
	ds_load_b64 v[39:40], v39 offset:200
	s_waitcnt lgkmcnt(0)
	v_mul_f64 v[13:14], v[13:14], v[39:40]
	scratch_store_b64 off, v[13:14], off offset:200
.LBB124_348:
	s_or_b32 exec_lo, exec_lo, s2
	scratch_load_b64 v[13:14], off, off offset:192
	v_cmp_lt_u32_e64 s0, 24, v0
	s_waitcnt vmcnt(0)
	ds_store_b64 v15, v[13:14]
	s_waitcnt lgkmcnt(0)
	s_waitcnt_vscnt null, 0x0
	s_barrier
	buffer_gl0_inv
	s_and_saveexec_b32 s2, s0
	s_cbranch_execz .LBB124_358
; %bb.349:
	s_and_not1_b32 vcc_lo, exec_lo, s3
	s_cbranch_vccnz .LBB124_351
; %bb.350:
	scratch_load_b64 v[13:14], v16, off
	ds_load_b64 v[39:40], v15
	s_waitcnt vmcnt(0) lgkmcnt(0)
	v_mul_f64 v[13:14], v[13:14], v[39:40]
	s_cbranch_execz .LBB124_352
	s_branch .LBB124_353
.LBB124_351:
                                        ; implicit-def: $vgpr13_vgpr14
.LBB124_352:
	ds_load_b64 v[13:14], v15
.LBB124_353:
	s_and_saveexec_b32 s4, s1
	s_cbranch_execz .LBB124_357
; %bb.354:
	v_mov_b32_e32 v39, 0
	v_subrev_nc_u32_e32 v40, 25, v0
	s_movk_i32 s5, 0x2b8
	s_mov_b32 s1, 0
	s_delay_alu instid0(VALU_DEP_2)
	v_add_nc_u32_e32 v39, 0xc8, v39
.LBB124_355:                            ; =>This Inner Loop Header: Depth=1
	scratch_load_b64 v[41:42], v39, off
	v_dual_mov_b32 v43, s5 :: v_dual_add_nc_u32 v40, -1, v40
	v_add_nc_u32_e32 v39, 8, v39
	s_add_i32 s5, s5, 8
	ds_load_b64 v[43:44], v43
	v_cmp_eq_u32_e32 vcc_lo, 0, v40
	s_or_b32 s1, vcc_lo, s1
	s_waitcnt vmcnt(0) lgkmcnt(0)
	v_fma_f64 v[13:14], v[41:42], v[43:44], v[13:14]
	s_and_not1_b32 exec_lo, exec_lo, s1
	s_cbranch_execnz .LBB124_355
; %bb.356:
	s_or_b32 exec_lo, exec_lo, s1
.LBB124_357:
	s_delay_alu instid0(SALU_CYCLE_1)
	s_or_b32 exec_lo, exec_lo, s4
	v_mov_b32_e32 v39, 0
	ds_load_b64 v[39:40], v39 offset:192
	s_waitcnt lgkmcnt(0)
	v_mul_f64 v[13:14], v[13:14], v[39:40]
	scratch_store_b64 off, v[13:14], off offset:192
.LBB124_358:
	s_or_b32 exec_lo, exec_lo, s2
	scratch_load_b64 v[13:14], off, off offset:184
	v_cmp_lt_u32_e64 s1, 23, v0
	s_waitcnt vmcnt(0)
	ds_store_b64 v15, v[13:14]
	s_waitcnt lgkmcnt(0)
	s_waitcnt_vscnt null, 0x0
	s_barrier
	buffer_gl0_inv
	s_and_saveexec_b32 s2, s1
	s_cbranch_execz .LBB124_368
; %bb.359:
	s_and_not1_b32 vcc_lo, exec_lo, s3
	s_cbranch_vccnz .LBB124_361
; %bb.360:
	scratch_load_b64 v[13:14], v16, off
	ds_load_b64 v[39:40], v15
	s_waitcnt vmcnt(0) lgkmcnt(0)
	v_mul_f64 v[13:14], v[13:14], v[39:40]
	s_cbranch_execz .LBB124_362
	s_branch .LBB124_363
.LBB124_361:
                                        ; implicit-def: $vgpr13_vgpr14
.LBB124_362:
	ds_load_b64 v[13:14], v15
.LBB124_363:
	s_and_saveexec_b32 s4, s0
	s_cbranch_execz .LBB124_367
; %bb.364:
	v_subrev_nc_u32_e32 v39, 24, v0
	s_movk_i32 s5, 0x2b0
	s_mov_b32 s0, 0
.LBB124_365:                            ; =>This Inner Loop Header: Depth=1
	scratch_load_b64 v[40:41], v38, off
	v_dual_mov_b32 v42, s5 :: v_dual_add_nc_u32 v39, -1, v39
	v_add_nc_u32_e32 v38, 8, v38
	s_add_i32 s5, s5, 8
	ds_load_b64 v[42:43], v42
	v_cmp_eq_u32_e32 vcc_lo, 0, v39
	s_or_b32 s0, vcc_lo, s0
	s_waitcnt vmcnt(0) lgkmcnt(0)
	v_fma_f64 v[13:14], v[40:41], v[42:43], v[13:14]
	s_and_not1_b32 exec_lo, exec_lo, s0
	s_cbranch_execnz .LBB124_365
; %bb.366:
	s_or_b32 exec_lo, exec_lo, s0
.LBB124_367:
	s_delay_alu instid0(SALU_CYCLE_1)
	s_or_b32 exec_lo, exec_lo, s4
	v_mov_b32_e32 v38, 0
	ds_load_b64 v[38:39], v38 offset:184
	s_waitcnt lgkmcnt(0)
	v_mul_f64 v[13:14], v[13:14], v[38:39]
	scratch_store_b64 off, v[13:14], off offset:184
.LBB124_368:
	s_or_b32 exec_lo, exec_lo, s2
	scratch_load_b64 v[13:14], off, off offset:176
	v_cmp_lt_u32_e64 s0, 22, v0
	s_waitcnt vmcnt(0)
	ds_store_b64 v15, v[13:14]
	s_waitcnt lgkmcnt(0)
	s_waitcnt_vscnt null, 0x0
	s_barrier
	buffer_gl0_inv
	s_and_saveexec_b32 s2, s0
	s_cbranch_execz .LBB124_378
; %bb.369:
	s_and_not1_b32 vcc_lo, exec_lo, s3
	s_cbranch_vccnz .LBB124_371
; %bb.370:
	scratch_load_b64 v[13:14], v16, off
	ds_load_b64 v[38:39], v15
	s_waitcnt vmcnt(0) lgkmcnt(0)
	v_mul_f64 v[13:14], v[13:14], v[38:39]
	s_cbranch_execz .LBB124_372
	s_branch .LBB124_373
.LBB124_371:
                                        ; implicit-def: $vgpr13_vgpr14
.LBB124_372:
	ds_load_b64 v[13:14], v15
.LBB124_373:
	s_and_saveexec_b32 s4, s1
	s_cbranch_execz .LBB124_377
; %bb.374:
	v_mov_b32_e32 v38, 0
	v_subrev_nc_u32_e32 v39, 23, v0
	s_movk_i32 s5, 0x2a8
	s_mov_b32 s1, 0
	s_delay_alu instid0(VALU_DEP_2)
	v_add_nc_u32_e32 v38, 0xb8, v38
.LBB124_375:                            ; =>This Inner Loop Header: Depth=1
	scratch_load_b64 v[40:41], v38, off
	v_dual_mov_b32 v42, s5 :: v_dual_add_nc_u32 v39, -1, v39
	v_add_nc_u32_e32 v38, 8, v38
	s_add_i32 s5, s5, 8
	ds_load_b64 v[42:43], v42
	v_cmp_eq_u32_e32 vcc_lo, 0, v39
	s_or_b32 s1, vcc_lo, s1
	s_waitcnt vmcnt(0) lgkmcnt(0)
	v_fma_f64 v[13:14], v[40:41], v[42:43], v[13:14]
	s_and_not1_b32 exec_lo, exec_lo, s1
	s_cbranch_execnz .LBB124_375
; %bb.376:
	s_or_b32 exec_lo, exec_lo, s1
.LBB124_377:
	s_delay_alu instid0(SALU_CYCLE_1)
	s_or_b32 exec_lo, exec_lo, s4
	v_mov_b32_e32 v38, 0
	ds_load_b64 v[38:39], v38 offset:176
	s_waitcnt lgkmcnt(0)
	v_mul_f64 v[13:14], v[13:14], v[38:39]
	scratch_store_b64 off, v[13:14], off offset:176
.LBB124_378:
	s_or_b32 exec_lo, exec_lo, s2
	scratch_load_b64 v[13:14], off, off offset:168
	v_cmp_lt_u32_e64 s1, 21, v0
	s_waitcnt vmcnt(0)
	ds_store_b64 v15, v[13:14]
	s_waitcnt lgkmcnt(0)
	s_waitcnt_vscnt null, 0x0
	s_barrier
	buffer_gl0_inv
	s_and_saveexec_b32 s2, s1
	s_cbranch_execz .LBB124_388
; %bb.379:
	s_and_not1_b32 vcc_lo, exec_lo, s3
	s_cbranch_vccnz .LBB124_381
; %bb.380:
	scratch_load_b64 v[13:14], v16, off
	ds_load_b64 v[38:39], v15
	s_waitcnt vmcnt(0) lgkmcnt(0)
	v_mul_f64 v[13:14], v[13:14], v[38:39]
	s_cbranch_execz .LBB124_382
	s_branch .LBB124_383
.LBB124_381:
                                        ; implicit-def: $vgpr13_vgpr14
.LBB124_382:
	ds_load_b64 v[13:14], v15
.LBB124_383:
	s_and_saveexec_b32 s4, s0
	s_cbranch_execz .LBB124_387
; %bb.384:
	v_subrev_nc_u32_e32 v38, 22, v0
	s_movk_i32 s5, 0x2a0
	s_mov_b32 s0, 0
.LBB124_385:                            ; =>This Inner Loop Header: Depth=1
	scratch_load_b64 v[39:40], v37, off
	v_dual_mov_b32 v41, s5 :: v_dual_add_nc_u32 v38, -1, v38
	v_add_nc_u32_e32 v37, 8, v37
	s_add_i32 s5, s5, 8
	ds_load_b64 v[41:42], v41
	v_cmp_eq_u32_e32 vcc_lo, 0, v38
	s_or_b32 s0, vcc_lo, s0
	s_waitcnt vmcnt(0) lgkmcnt(0)
	v_fma_f64 v[13:14], v[39:40], v[41:42], v[13:14]
	s_and_not1_b32 exec_lo, exec_lo, s0
	s_cbranch_execnz .LBB124_385
; %bb.386:
	s_or_b32 exec_lo, exec_lo, s0
.LBB124_387:
	s_delay_alu instid0(SALU_CYCLE_1)
	s_or_b32 exec_lo, exec_lo, s4
	v_mov_b32_e32 v37, 0
	ds_load_b64 v[37:38], v37 offset:168
	s_waitcnt lgkmcnt(0)
	v_mul_f64 v[13:14], v[13:14], v[37:38]
	scratch_store_b64 off, v[13:14], off offset:168
.LBB124_388:
	s_or_b32 exec_lo, exec_lo, s2
	scratch_load_b64 v[13:14], off, off offset:160
	v_cmp_lt_u32_e64 s0, 20, v0
	s_waitcnt vmcnt(0)
	ds_store_b64 v15, v[13:14]
	s_waitcnt lgkmcnt(0)
	s_waitcnt_vscnt null, 0x0
	s_barrier
	buffer_gl0_inv
	s_and_saveexec_b32 s2, s0
	s_cbranch_execz .LBB124_398
; %bb.389:
	s_and_not1_b32 vcc_lo, exec_lo, s3
	s_cbranch_vccnz .LBB124_391
; %bb.390:
	scratch_load_b64 v[13:14], v16, off
	ds_load_b64 v[37:38], v15
	s_waitcnt vmcnt(0) lgkmcnt(0)
	v_mul_f64 v[13:14], v[13:14], v[37:38]
	s_cbranch_execz .LBB124_392
	s_branch .LBB124_393
.LBB124_391:
                                        ; implicit-def: $vgpr13_vgpr14
.LBB124_392:
	ds_load_b64 v[13:14], v15
.LBB124_393:
	s_and_saveexec_b32 s4, s1
	s_cbranch_execz .LBB124_397
; %bb.394:
	v_mov_b32_e32 v37, 0
	v_subrev_nc_u32_e32 v38, 21, v0
	s_movk_i32 s5, 0x298
	s_mov_b32 s1, 0
	s_delay_alu instid0(VALU_DEP_2)
	v_add_nc_u32_e32 v37, 0xa8, v37
.LBB124_395:                            ; =>This Inner Loop Header: Depth=1
	scratch_load_b64 v[39:40], v37, off
	v_dual_mov_b32 v41, s5 :: v_dual_add_nc_u32 v38, -1, v38
	v_add_nc_u32_e32 v37, 8, v37
	s_add_i32 s5, s5, 8
	ds_load_b64 v[41:42], v41
	v_cmp_eq_u32_e32 vcc_lo, 0, v38
	s_or_b32 s1, vcc_lo, s1
	s_waitcnt vmcnt(0) lgkmcnt(0)
	v_fma_f64 v[13:14], v[39:40], v[41:42], v[13:14]
	s_and_not1_b32 exec_lo, exec_lo, s1
	s_cbranch_execnz .LBB124_395
; %bb.396:
	s_or_b32 exec_lo, exec_lo, s1
.LBB124_397:
	s_delay_alu instid0(SALU_CYCLE_1)
	s_or_b32 exec_lo, exec_lo, s4
	v_mov_b32_e32 v37, 0
	ds_load_b64 v[37:38], v37 offset:160
	s_waitcnt lgkmcnt(0)
	v_mul_f64 v[13:14], v[13:14], v[37:38]
	scratch_store_b64 off, v[13:14], off offset:160
.LBB124_398:
	s_or_b32 exec_lo, exec_lo, s2
	scratch_load_b64 v[13:14], off, off offset:152
	v_cmp_lt_u32_e64 s1, 19, v0
	s_waitcnt vmcnt(0)
	ds_store_b64 v15, v[13:14]
	s_waitcnt lgkmcnt(0)
	s_waitcnt_vscnt null, 0x0
	s_barrier
	buffer_gl0_inv
	s_and_saveexec_b32 s2, s1
	s_cbranch_execz .LBB124_408
; %bb.399:
	s_and_not1_b32 vcc_lo, exec_lo, s3
	s_cbranch_vccnz .LBB124_401
; %bb.400:
	scratch_load_b64 v[13:14], v16, off
	ds_load_b64 v[37:38], v15
	s_waitcnt vmcnt(0) lgkmcnt(0)
	v_mul_f64 v[13:14], v[13:14], v[37:38]
	s_cbranch_execz .LBB124_402
	s_branch .LBB124_403
.LBB124_401:
                                        ; implicit-def: $vgpr13_vgpr14
.LBB124_402:
	ds_load_b64 v[13:14], v15
.LBB124_403:
	s_and_saveexec_b32 s4, s0
	s_cbranch_execz .LBB124_407
; %bb.404:
	v_subrev_nc_u32_e32 v37, 20, v0
	s_movk_i32 s5, 0x290
	s_mov_b32 s0, 0
.LBB124_405:                            ; =>This Inner Loop Header: Depth=1
	scratch_load_b64 v[38:39], v36, off
	v_dual_mov_b32 v40, s5 :: v_dual_add_nc_u32 v37, -1, v37
	v_add_nc_u32_e32 v36, 8, v36
	s_add_i32 s5, s5, 8
	ds_load_b64 v[40:41], v40
	v_cmp_eq_u32_e32 vcc_lo, 0, v37
	s_or_b32 s0, vcc_lo, s0
	s_waitcnt vmcnt(0) lgkmcnt(0)
	v_fma_f64 v[13:14], v[38:39], v[40:41], v[13:14]
	s_and_not1_b32 exec_lo, exec_lo, s0
	s_cbranch_execnz .LBB124_405
; %bb.406:
	s_or_b32 exec_lo, exec_lo, s0
.LBB124_407:
	s_delay_alu instid0(SALU_CYCLE_1)
	s_or_b32 exec_lo, exec_lo, s4
	v_mov_b32_e32 v36, 0
	ds_load_b64 v[36:37], v36 offset:152
	s_waitcnt lgkmcnt(0)
	v_mul_f64 v[13:14], v[13:14], v[36:37]
	scratch_store_b64 off, v[13:14], off offset:152
.LBB124_408:
	s_or_b32 exec_lo, exec_lo, s2
	scratch_load_b64 v[13:14], off, off offset:144
	v_cmp_lt_u32_e64 s0, 18, v0
	s_waitcnt vmcnt(0)
	ds_store_b64 v15, v[13:14]
	s_waitcnt lgkmcnt(0)
	s_waitcnt_vscnt null, 0x0
	s_barrier
	buffer_gl0_inv
	s_and_saveexec_b32 s2, s0
	s_cbranch_execz .LBB124_418
; %bb.409:
	s_and_not1_b32 vcc_lo, exec_lo, s3
	s_cbranch_vccnz .LBB124_411
; %bb.410:
	scratch_load_b64 v[13:14], v16, off
	ds_load_b64 v[36:37], v15
	s_waitcnt vmcnt(0) lgkmcnt(0)
	v_mul_f64 v[13:14], v[13:14], v[36:37]
	s_cbranch_execz .LBB124_412
	s_branch .LBB124_413
.LBB124_411:
                                        ; implicit-def: $vgpr13_vgpr14
.LBB124_412:
	ds_load_b64 v[13:14], v15
.LBB124_413:
	s_and_saveexec_b32 s4, s1
	s_cbranch_execz .LBB124_417
; %bb.414:
	v_mov_b32_e32 v36, 0
	v_subrev_nc_u32_e32 v37, 19, v0
	s_movk_i32 s5, 0x288
	s_mov_b32 s1, 0
	s_delay_alu instid0(VALU_DEP_2)
	v_add_nc_u32_e32 v36, 0x98, v36
.LBB124_415:                            ; =>This Inner Loop Header: Depth=1
	scratch_load_b64 v[38:39], v36, off
	v_dual_mov_b32 v40, s5 :: v_dual_add_nc_u32 v37, -1, v37
	v_add_nc_u32_e32 v36, 8, v36
	s_add_i32 s5, s5, 8
	ds_load_b64 v[40:41], v40
	v_cmp_eq_u32_e32 vcc_lo, 0, v37
	s_or_b32 s1, vcc_lo, s1
	s_waitcnt vmcnt(0) lgkmcnt(0)
	v_fma_f64 v[13:14], v[38:39], v[40:41], v[13:14]
	s_and_not1_b32 exec_lo, exec_lo, s1
	s_cbranch_execnz .LBB124_415
; %bb.416:
	s_or_b32 exec_lo, exec_lo, s1
.LBB124_417:
	s_delay_alu instid0(SALU_CYCLE_1)
	s_or_b32 exec_lo, exec_lo, s4
	v_mov_b32_e32 v36, 0
	ds_load_b64 v[36:37], v36 offset:144
	s_waitcnt lgkmcnt(0)
	v_mul_f64 v[13:14], v[13:14], v[36:37]
	scratch_store_b64 off, v[13:14], off offset:144
.LBB124_418:
	s_or_b32 exec_lo, exec_lo, s2
	scratch_load_b64 v[13:14], off, off offset:136
	v_cmp_lt_u32_e64 s1, 17, v0
	s_waitcnt vmcnt(0)
	ds_store_b64 v15, v[13:14]
	s_waitcnt lgkmcnt(0)
	s_waitcnt_vscnt null, 0x0
	s_barrier
	buffer_gl0_inv
	s_and_saveexec_b32 s2, s1
	s_cbranch_execz .LBB124_428
; %bb.419:
	s_and_not1_b32 vcc_lo, exec_lo, s3
	s_cbranch_vccnz .LBB124_421
; %bb.420:
	scratch_load_b64 v[13:14], v16, off
	ds_load_b64 v[36:37], v15
	s_waitcnt vmcnt(0) lgkmcnt(0)
	v_mul_f64 v[13:14], v[13:14], v[36:37]
	s_cbranch_execz .LBB124_422
	s_branch .LBB124_423
.LBB124_421:
                                        ; implicit-def: $vgpr13_vgpr14
.LBB124_422:
	ds_load_b64 v[13:14], v15
.LBB124_423:
	s_and_saveexec_b32 s4, s0
	s_cbranch_execz .LBB124_427
; %bb.424:
	v_subrev_nc_u32_e32 v36, 18, v0
	s_movk_i32 s5, 0x280
	s_mov_b32 s0, 0
.LBB124_425:                            ; =>This Inner Loop Header: Depth=1
	scratch_load_b64 v[37:38], v35, off
	v_dual_mov_b32 v39, s5 :: v_dual_add_nc_u32 v36, -1, v36
	v_add_nc_u32_e32 v35, 8, v35
	s_add_i32 s5, s5, 8
	ds_load_b64 v[39:40], v39
	v_cmp_eq_u32_e32 vcc_lo, 0, v36
	s_or_b32 s0, vcc_lo, s0
	s_waitcnt vmcnt(0) lgkmcnt(0)
	v_fma_f64 v[13:14], v[37:38], v[39:40], v[13:14]
	s_and_not1_b32 exec_lo, exec_lo, s0
	s_cbranch_execnz .LBB124_425
; %bb.426:
	s_or_b32 exec_lo, exec_lo, s0
.LBB124_427:
	s_delay_alu instid0(SALU_CYCLE_1)
	s_or_b32 exec_lo, exec_lo, s4
	v_mov_b32_e32 v35, 0
	ds_load_b64 v[35:36], v35 offset:136
	s_waitcnt lgkmcnt(0)
	v_mul_f64 v[13:14], v[13:14], v[35:36]
	scratch_store_b64 off, v[13:14], off offset:136
.LBB124_428:
	s_or_b32 exec_lo, exec_lo, s2
	scratch_load_b64 v[13:14], off, off offset:128
	v_cmp_lt_u32_e64 s0, 16, v0
	s_waitcnt vmcnt(0)
	ds_store_b64 v15, v[13:14]
	s_waitcnt lgkmcnt(0)
	s_waitcnt_vscnt null, 0x0
	s_barrier
	buffer_gl0_inv
	s_and_saveexec_b32 s2, s0
	s_cbranch_execz .LBB124_438
; %bb.429:
	s_and_not1_b32 vcc_lo, exec_lo, s3
	s_cbranch_vccnz .LBB124_431
; %bb.430:
	scratch_load_b64 v[13:14], v16, off
	ds_load_b64 v[35:36], v15
	s_waitcnt vmcnt(0) lgkmcnt(0)
	v_mul_f64 v[13:14], v[13:14], v[35:36]
	s_cbranch_execz .LBB124_432
	s_branch .LBB124_433
.LBB124_431:
                                        ; implicit-def: $vgpr13_vgpr14
.LBB124_432:
	ds_load_b64 v[13:14], v15
.LBB124_433:
	s_and_saveexec_b32 s4, s1
	s_cbranch_execz .LBB124_437
; %bb.434:
	v_mov_b32_e32 v35, 0
	v_subrev_nc_u32_e32 v36, 17, v0
	s_movk_i32 s5, 0x278
	s_mov_b32 s1, 0
	s_delay_alu instid0(VALU_DEP_2)
	v_add_nc_u32_e32 v35, 0x88, v35
.LBB124_435:                            ; =>This Inner Loop Header: Depth=1
	scratch_load_b64 v[37:38], v35, off
	v_dual_mov_b32 v39, s5 :: v_dual_add_nc_u32 v36, -1, v36
	v_add_nc_u32_e32 v35, 8, v35
	s_add_i32 s5, s5, 8
	ds_load_b64 v[39:40], v39
	v_cmp_eq_u32_e32 vcc_lo, 0, v36
	s_or_b32 s1, vcc_lo, s1
	s_waitcnt vmcnt(0) lgkmcnt(0)
	v_fma_f64 v[13:14], v[37:38], v[39:40], v[13:14]
	s_and_not1_b32 exec_lo, exec_lo, s1
	s_cbranch_execnz .LBB124_435
; %bb.436:
	s_or_b32 exec_lo, exec_lo, s1
.LBB124_437:
	s_delay_alu instid0(SALU_CYCLE_1)
	s_or_b32 exec_lo, exec_lo, s4
	v_mov_b32_e32 v35, 0
	ds_load_b64 v[35:36], v35 offset:128
	s_waitcnt lgkmcnt(0)
	v_mul_f64 v[13:14], v[13:14], v[35:36]
	scratch_store_b64 off, v[13:14], off offset:128
.LBB124_438:
	s_or_b32 exec_lo, exec_lo, s2
	scratch_load_b64 v[13:14], off, off offset:120
	v_cmp_lt_u32_e64 s1, 15, v0
	s_waitcnt vmcnt(0)
	ds_store_b64 v15, v[13:14]
	s_waitcnt lgkmcnt(0)
	s_waitcnt_vscnt null, 0x0
	s_barrier
	buffer_gl0_inv
	s_and_saveexec_b32 s2, s1
	s_cbranch_execz .LBB124_448
; %bb.439:
	s_and_not1_b32 vcc_lo, exec_lo, s3
	s_cbranch_vccnz .LBB124_441
; %bb.440:
	scratch_load_b64 v[13:14], v16, off
	ds_load_b64 v[35:36], v15
	s_waitcnt vmcnt(0) lgkmcnt(0)
	v_mul_f64 v[13:14], v[13:14], v[35:36]
	s_cbranch_execz .LBB124_442
	s_branch .LBB124_443
.LBB124_441:
                                        ; implicit-def: $vgpr13_vgpr14
.LBB124_442:
	ds_load_b64 v[13:14], v15
.LBB124_443:
	s_and_saveexec_b32 s4, s0
	s_cbranch_execz .LBB124_447
; %bb.444:
	v_add_nc_u32_e32 v35, -16, v0
	s_movk_i32 s5, 0x270
	s_mov_b32 s0, 0
.LBB124_445:                            ; =>This Inner Loop Header: Depth=1
	scratch_load_b64 v[36:37], v34, off
	v_dual_mov_b32 v38, s5 :: v_dual_add_nc_u32 v35, -1, v35
	v_add_nc_u32_e32 v34, 8, v34
	s_add_i32 s5, s5, 8
	ds_load_b64 v[38:39], v38
	v_cmp_eq_u32_e32 vcc_lo, 0, v35
	s_or_b32 s0, vcc_lo, s0
	s_waitcnt vmcnt(0) lgkmcnt(0)
	v_fma_f64 v[13:14], v[36:37], v[38:39], v[13:14]
	s_and_not1_b32 exec_lo, exec_lo, s0
	s_cbranch_execnz .LBB124_445
; %bb.446:
	s_or_b32 exec_lo, exec_lo, s0
.LBB124_447:
	s_delay_alu instid0(SALU_CYCLE_1)
	s_or_b32 exec_lo, exec_lo, s4
	v_mov_b32_e32 v34, 0
	ds_load_b64 v[34:35], v34 offset:120
	s_waitcnt lgkmcnt(0)
	v_mul_f64 v[13:14], v[13:14], v[34:35]
	scratch_store_b64 off, v[13:14], off offset:120
.LBB124_448:
	s_or_b32 exec_lo, exec_lo, s2
	scratch_load_b64 v[13:14], off, off offset:112
	v_cmp_lt_u32_e64 s0, 14, v0
	s_waitcnt vmcnt(0)
	ds_store_b64 v15, v[13:14]
	s_waitcnt lgkmcnt(0)
	s_waitcnt_vscnt null, 0x0
	s_barrier
	buffer_gl0_inv
	s_and_saveexec_b32 s2, s0
	s_cbranch_execz .LBB124_458
; %bb.449:
	s_and_not1_b32 vcc_lo, exec_lo, s3
	s_cbranch_vccnz .LBB124_451
; %bb.450:
	scratch_load_b64 v[13:14], v16, off
	ds_load_b64 v[34:35], v15
	s_waitcnt vmcnt(0) lgkmcnt(0)
	v_mul_f64 v[13:14], v[13:14], v[34:35]
	s_cbranch_execz .LBB124_452
	s_branch .LBB124_453
.LBB124_451:
                                        ; implicit-def: $vgpr13_vgpr14
.LBB124_452:
	ds_load_b64 v[13:14], v15
.LBB124_453:
	s_and_saveexec_b32 s4, s1
	s_cbranch_execz .LBB124_457
; %bb.454:
	v_dual_mov_b32 v34, 0 :: v_dual_add_nc_u32 v35, -15, v0
	s_movk_i32 s5, 0x268
	s_mov_b32 s1, 0
	s_delay_alu instid0(VALU_DEP_1)
	v_add_nc_u32_e32 v34, 0x78, v34
.LBB124_455:                            ; =>This Inner Loop Header: Depth=1
	scratch_load_b64 v[36:37], v34, off
	v_dual_mov_b32 v38, s5 :: v_dual_add_nc_u32 v35, -1, v35
	v_add_nc_u32_e32 v34, 8, v34
	s_add_i32 s5, s5, 8
	ds_load_b64 v[38:39], v38
	v_cmp_eq_u32_e32 vcc_lo, 0, v35
	s_or_b32 s1, vcc_lo, s1
	s_waitcnt vmcnt(0) lgkmcnt(0)
	v_fma_f64 v[13:14], v[36:37], v[38:39], v[13:14]
	s_and_not1_b32 exec_lo, exec_lo, s1
	s_cbranch_execnz .LBB124_455
; %bb.456:
	s_or_b32 exec_lo, exec_lo, s1
.LBB124_457:
	s_delay_alu instid0(SALU_CYCLE_1)
	s_or_b32 exec_lo, exec_lo, s4
	v_mov_b32_e32 v34, 0
	ds_load_b64 v[34:35], v34 offset:112
	s_waitcnt lgkmcnt(0)
	v_mul_f64 v[13:14], v[13:14], v[34:35]
	scratch_store_b64 off, v[13:14], off offset:112
.LBB124_458:
	s_or_b32 exec_lo, exec_lo, s2
	scratch_load_b64 v[13:14], off, off offset:104
	v_cmp_lt_u32_e64 s1, 13, v0
	s_waitcnt vmcnt(0)
	ds_store_b64 v15, v[13:14]
	s_waitcnt lgkmcnt(0)
	s_waitcnt_vscnt null, 0x0
	s_barrier
	buffer_gl0_inv
	s_and_saveexec_b32 s2, s1
	s_cbranch_execz .LBB124_468
; %bb.459:
	s_and_not1_b32 vcc_lo, exec_lo, s3
	s_cbranch_vccnz .LBB124_461
; %bb.460:
	scratch_load_b64 v[13:14], v16, off
	ds_load_b64 v[34:35], v15
	s_waitcnt vmcnt(0) lgkmcnt(0)
	v_mul_f64 v[13:14], v[13:14], v[34:35]
	s_cbranch_execz .LBB124_462
	s_branch .LBB124_463
.LBB124_461:
                                        ; implicit-def: $vgpr13_vgpr14
.LBB124_462:
	ds_load_b64 v[13:14], v15
.LBB124_463:
	s_and_saveexec_b32 s4, s0
	s_cbranch_execz .LBB124_467
; %bb.464:
	v_add_nc_u32_e32 v34, -14, v0
	s_movk_i32 s5, 0x260
	s_mov_b32 s0, 0
.LBB124_465:                            ; =>This Inner Loop Header: Depth=1
	scratch_load_b64 v[35:36], v33, off
	v_dual_mov_b32 v37, s5 :: v_dual_add_nc_u32 v34, -1, v34
	v_add_nc_u32_e32 v33, 8, v33
	s_add_i32 s5, s5, 8
	ds_load_b64 v[37:38], v37
	v_cmp_eq_u32_e32 vcc_lo, 0, v34
	s_or_b32 s0, vcc_lo, s0
	s_waitcnt vmcnt(0) lgkmcnt(0)
	v_fma_f64 v[13:14], v[35:36], v[37:38], v[13:14]
	s_and_not1_b32 exec_lo, exec_lo, s0
	s_cbranch_execnz .LBB124_465
; %bb.466:
	s_or_b32 exec_lo, exec_lo, s0
.LBB124_467:
	s_delay_alu instid0(SALU_CYCLE_1)
	s_or_b32 exec_lo, exec_lo, s4
	v_mov_b32_e32 v33, 0
	ds_load_b64 v[33:34], v33 offset:104
	s_waitcnt lgkmcnt(0)
	v_mul_f64 v[13:14], v[13:14], v[33:34]
	scratch_store_b64 off, v[13:14], off offset:104
.LBB124_468:
	s_or_b32 exec_lo, exec_lo, s2
	scratch_load_b64 v[13:14], off, off offset:96
	v_cmp_lt_u32_e64 s0, 12, v0
	s_waitcnt vmcnt(0)
	ds_store_b64 v15, v[13:14]
	s_waitcnt lgkmcnt(0)
	s_waitcnt_vscnt null, 0x0
	s_barrier
	buffer_gl0_inv
	s_and_saveexec_b32 s2, s0
	s_cbranch_execz .LBB124_478
; %bb.469:
	s_and_not1_b32 vcc_lo, exec_lo, s3
	s_cbranch_vccnz .LBB124_471
; %bb.470:
	scratch_load_b64 v[13:14], v16, off
	ds_load_b64 v[33:34], v15
	s_waitcnt vmcnt(0) lgkmcnt(0)
	v_mul_f64 v[13:14], v[13:14], v[33:34]
	s_cbranch_execz .LBB124_472
	s_branch .LBB124_473
.LBB124_471:
                                        ; implicit-def: $vgpr13_vgpr14
.LBB124_472:
	ds_load_b64 v[13:14], v15
.LBB124_473:
	s_and_saveexec_b32 s4, s1
	s_cbranch_execz .LBB124_477
; %bb.474:
	v_dual_mov_b32 v33, 0 :: v_dual_add_nc_u32 v34, -13, v0
	s_movk_i32 s5, 0x258
	s_mov_b32 s1, 0
	s_delay_alu instid0(VALU_DEP_1)
	v_add_nc_u32_e32 v33, 0x68, v33
.LBB124_475:                            ; =>This Inner Loop Header: Depth=1
	scratch_load_b64 v[35:36], v33, off
	v_dual_mov_b32 v37, s5 :: v_dual_add_nc_u32 v34, -1, v34
	v_add_nc_u32_e32 v33, 8, v33
	s_add_i32 s5, s5, 8
	ds_load_b64 v[37:38], v37
	v_cmp_eq_u32_e32 vcc_lo, 0, v34
	s_or_b32 s1, vcc_lo, s1
	s_waitcnt vmcnt(0) lgkmcnt(0)
	v_fma_f64 v[13:14], v[35:36], v[37:38], v[13:14]
	s_and_not1_b32 exec_lo, exec_lo, s1
	s_cbranch_execnz .LBB124_475
; %bb.476:
	s_or_b32 exec_lo, exec_lo, s1
.LBB124_477:
	s_delay_alu instid0(SALU_CYCLE_1)
	s_or_b32 exec_lo, exec_lo, s4
	v_mov_b32_e32 v33, 0
	ds_load_b64 v[33:34], v33 offset:96
	s_waitcnt lgkmcnt(0)
	v_mul_f64 v[13:14], v[13:14], v[33:34]
	scratch_store_b64 off, v[13:14], off offset:96
.LBB124_478:
	s_or_b32 exec_lo, exec_lo, s2
	scratch_load_b64 v[13:14], off, off offset:88
	v_cmp_lt_u32_e64 s1, 11, v0
	s_waitcnt vmcnt(0)
	ds_store_b64 v15, v[13:14]
	s_waitcnt lgkmcnt(0)
	s_waitcnt_vscnt null, 0x0
	s_barrier
	buffer_gl0_inv
	s_and_saveexec_b32 s2, s1
	s_cbranch_execz .LBB124_488
; %bb.479:
	s_and_not1_b32 vcc_lo, exec_lo, s3
	s_cbranch_vccnz .LBB124_481
; %bb.480:
	scratch_load_b64 v[13:14], v16, off
	ds_load_b64 v[33:34], v15
	s_waitcnt vmcnt(0) lgkmcnt(0)
	v_mul_f64 v[13:14], v[13:14], v[33:34]
	s_cbranch_execz .LBB124_482
	s_branch .LBB124_483
.LBB124_481:
                                        ; implicit-def: $vgpr13_vgpr14
.LBB124_482:
	ds_load_b64 v[13:14], v15
.LBB124_483:
	s_and_saveexec_b32 s4, s0
	s_cbranch_execz .LBB124_487
; %bb.484:
	v_add_nc_u32_e32 v33, -12, v0
	s_movk_i32 s5, 0x250
	s_mov_b32 s0, 0
.LBB124_485:                            ; =>This Inner Loop Header: Depth=1
	scratch_load_b64 v[34:35], v32, off
	v_dual_mov_b32 v36, s5 :: v_dual_add_nc_u32 v33, -1, v33
	v_add_nc_u32_e32 v32, 8, v32
	s_add_i32 s5, s5, 8
	ds_load_b64 v[36:37], v36
	v_cmp_eq_u32_e32 vcc_lo, 0, v33
	s_or_b32 s0, vcc_lo, s0
	s_waitcnt vmcnt(0) lgkmcnt(0)
	v_fma_f64 v[13:14], v[34:35], v[36:37], v[13:14]
	s_and_not1_b32 exec_lo, exec_lo, s0
	s_cbranch_execnz .LBB124_485
; %bb.486:
	s_or_b32 exec_lo, exec_lo, s0
.LBB124_487:
	s_delay_alu instid0(SALU_CYCLE_1)
	s_or_b32 exec_lo, exec_lo, s4
	v_mov_b32_e32 v32, 0
	ds_load_b64 v[32:33], v32 offset:88
	s_waitcnt lgkmcnt(0)
	v_mul_f64 v[13:14], v[13:14], v[32:33]
	scratch_store_b64 off, v[13:14], off offset:88
.LBB124_488:
	s_or_b32 exec_lo, exec_lo, s2
	scratch_load_b64 v[13:14], off, off offset:80
	v_cmp_lt_u32_e64 s0, 10, v0
	s_waitcnt vmcnt(0)
	ds_store_b64 v15, v[13:14]
	s_waitcnt lgkmcnt(0)
	s_waitcnt_vscnt null, 0x0
	s_barrier
	buffer_gl0_inv
	s_and_saveexec_b32 s2, s0
	s_cbranch_execz .LBB124_498
; %bb.489:
	s_and_not1_b32 vcc_lo, exec_lo, s3
	s_cbranch_vccnz .LBB124_491
; %bb.490:
	scratch_load_b64 v[13:14], v16, off
	ds_load_b64 v[32:33], v15
	s_waitcnt vmcnt(0) lgkmcnt(0)
	v_mul_f64 v[13:14], v[13:14], v[32:33]
	s_cbranch_execz .LBB124_492
	s_branch .LBB124_493
.LBB124_491:
                                        ; implicit-def: $vgpr13_vgpr14
.LBB124_492:
	ds_load_b64 v[13:14], v15
.LBB124_493:
	s_and_saveexec_b32 s4, s1
	s_cbranch_execz .LBB124_497
; %bb.494:
	v_dual_mov_b32 v32, 0 :: v_dual_add_nc_u32 v33, -11, v0
	s_movk_i32 s5, 0x248
	s_mov_b32 s1, 0
	s_delay_alu instid0(VALU_DEP_1)
	v_add_nc_u32_e32 v32, 0x58, v32
.LBB124_495:                            ; =>This Inner Loop Header: Depth=1
	scratch_load_b64 v[34:35], v32, off
	v_dual_mov_b32 v36, s5 :: v_dual_add_nc_u32 v33, -1, v33
	v_add_nc_u32_e32 v32, 8, v32
	s_add_i32 s5, s5, 8
	ds_load_b64 v[36:37], v36
	v_cmp_eq_u32_e32 vcc_lo, 0, v33
	s_or_b32 s1, vcc_lo, s1
	s_waitcnt vmcnt(0) lgkmcnt(0)
	v_fma_f64 v[13:14], v[34:35], v[36:37], v[13:14]
	s_and_not1_b32 exec_lo, exec_lo, s1
	s_cbranch_execnz .LBB124_495
; %bb.496:
	s_or_b32 exec_lo, exec_lo, s1
.LBB124_497:
	s_delay_alu instid0(SALU_CYCLE_1)
	s_or_b32 exec_lo, exec_lo, s4
	v_mov_b32_e32 v32, 0
	ds_load_b64 v[32:33], v32 offset:80
	s_waitcnt lgkmcnt(0)
	v_mul_f64 v[13:14], v[13:14], v[32:33]
	scratch_store_b64 off, v[13:14], off offset:80
.LBB124_498:
	s_or_b32 exec_lo, exec_lo, s2
	scratch_load_b64 v[13:14], off, off offset:72
	v_cmp_lt_u32_e64 s1, 9, v0
	s_waitcnt vmcnt(0)
	ds_store_b64 v15, v[13:14]
	s_waitcnt lgkmcnt(0)
	s_waitcnt_vscnt null, 0x0
	s_barrier
	buffer_gl0_inv
	s_and_saveexec_b32 s2, s1
	s_cbranch_execz .LBB124_508
; %bb.499:
	s_and_not1_b32 vcc_lo, exec_lo, s3
	s_cbranch_vccnz .LBB124_501
; %bb.500:
	scratch_load_b64 v[13:14], v16, off
	ds_load_b64 v[32:33], v15
	s_waitcnt vmcnt(0) lgkmcnt(0)
	v_mul_f64 v[13:14], v[13:14], v[32:33]
	s_cbranch_execz .LBB124_502
	s_branch .LBB124_503
.LBB124_501:
                                        ; implicit-def: $vgpr13_vgpr14
.LBB124_502:
	ds_load_b64 v[13:14], v15
.LBB124_503:
	s_and_saveexec_b32 s4, s0
	s_cbranch_execz .LBB124_507
; %bb.504:
	v_add_nc_u32_e32 v32, -10, v0
	s_movk_i32 s5, 0x240
	s_mov_b32 s0, 0
.LBB124_505:                            ; =>This Inner Loop Header: Depth=1
	scratch_load_b64 v[33:34], v31, off
	v_dual_mov_b32 v35, s5 :: v_dual_add_nc_u32 v32, -1, v32
	v_add_nc_u32_e32 v31, 8, v31
	s_add_i32 s5, s5, 8
	ds_load_b64 v[35:36], v35
	v_cmp_eq_u32_e32 vcc_lo, 0, v32
	s_or_b32 s0, vcc_lo, s0
	s_waitcnt vmcnt(0) lgkmcnt(0)
	v_fma_f64 v[13:14], v[33:34], v[35:36], v[13:14]
	s_and_not1_b32 exec_lo, exec_lo, s0
	s_cbranch_execnz .LBB124_505
; %bb.506:
	s_or_b32 exec_lo, exec_lo, s0
.LBB124_507:
	s_delay_alu instid0(SALU_CYCLE_1)
	s_or_b32 exec_lo, exec_lo, s4
	v_mov_b32_e32 v31, 0
	ds_load_b64 v[31:32], v31 offset:72
	s_waitcnt lgkmcnt(0)
	v_mul_f64 v[13:14], v[13:14], v[31:32]
	scratch_store_b64 off, v[13:14], off offset:72
.LBB124_508:
	s_or_b32 exec_lo, exec_lo, s2
	scratch_load_b64 v[13:14], off, off offset:64
	v_cmp_lt_u32_e64 s0, 8, v0
	s_waitcnt vmcnt(0)
	ds_store_b64 v15, v[13:14]
	s_waitcnt lgkmcnt(0)
	s_waitcnt_vscnt null, 0x0
	s_barrier
	buffer_gl0_inv
	s_and_saveexec_b32 s2, s0
	s_cbranch_execz .LBB124_518
; %bb.509:
	s_and_not1_b32 vcc_lo, exec_lo, s3
	s_cbranch_vccnz .LBB124_511
; %bb.510:
	scratch_load_b64 v[13:14], v16, off
	ds_load_b64 v[31:32], v15
	s_waitcnt vmcnt(0) lgkmcnt(0)
	v_mul_f64 v[13:14], v[13:14], v[31:32]
	s_cbranch_execz .LBB124_512
	s_branch .LBB124_513
.LBB124_511:
                                        ; implicit-def: $vgpr13_vgpr14
.LBB124_512:
	ds_load_b64 v[13:14], v15
.LBB124_513:
	s_and_saveexec_b32 s4, s1
	s_cbranch_execz .LBB124_517
; %bb.514:
	v_dual_mov_b32 v31, 0 :: v_dual_add_nc_u32 v32, -9, v0
	s_movk_i32 s5, 0x238
	s_mov_b32 s1, 0
	s_delay_alu instid0(VALU_DEP_1)
	v_add_nc_u32_e32 v31, 0x48, v31
.LBB124_515:                            ; =>This Inner Loop Header: Depth=1
	scratch_load_b64 v[33:34], v31, off
	v_dual_mov_b32 v35, s5 :: v_dual_add_nc_u32 v32, -1, v32
	v_add_nc_u32_e32 v31, 8, v31
	s_add_i32 s5, s5, 8
	ds_load_b64 v[35:36], v35
	v_cmp_eq_u32_e32 vcc_lo, 0, v32
	s_or_b32 s1, vcc_lo, s1
	s_waitcnt vmcnt(0) lgkmcnt(0)
	v_fma_f64 v[13:14], v[33:34], v[35:36], v[13:14]
	s_and_not1_b32 exec_lo, exec_lo, s1
	s_cbranch_execnz .LBB124_515
; %bb.516:
	s_or_b32 exec_lo, exec_lo, s1
.LBB124_517:
	s_delay_alu instid0(SALU_CYCLE_1)
	s_or_b32 exec_lo, exec_lo, s4
	v_mov_b32_e32 v31, 0
	ds_load_b64 v[31:32], v31 offset:64
	s_waitcnt lgkmcnt(0)
	v_mul_f64 v[13:14], v[13:14], v[31:32]
	scratch_store_b64 off, v[13:14], off offset:64
.LBB124_518:
	s_or_b32 exec_lo, exec_lo, s2
	scratch_load_b64 v[13:14], off, off offset:56
	v_cmp_lt_u32_e64 s1, 7, v0
	s_waitcnt vmcnt(0)
	ds_store_b64 v15, v[13:14]
	s_waitcnt lgkmcnt(0)
	s_waitcnt_vscnt null, 0x0
	s_barrier
	buffer_gl0_inv
	s_and_saveexec_b32 s2, s1
	s_cbranch_execz .LBB124_528
; %bb.519:
	s_and_not1_b32 vcc_lo, exec_lo, s3
	s_cbranch_vccnz .LBB124_521
; %bb.520:
	scratch_load_b64 v[13:14], v16, off
	ds_load_b64 v[31:32], v15
	s_waitcnt vmcnt(0) lgkmcnt(0)
	v_mul_f64 v[13:14], v[13:14], v[31:32]
	s_cbranch_execz .LBB124_522
	s_branch .LBB124_523
.LBB124_521:
                                        ; implicit-def: $vgpr13_vgpr14
.LBB124_522:
	ds_load_b64 v[13:14], v15
.LBB124_523:
	s_and_saveexec_b32 s4, s0
	s_cbranch_execz .LBB124_527
; %bb.524:
	v_add_nc_u32_e32 v31, -8, v0
	s_movk_i32 s5, 0x230
	s_mov_b32 s0, 0
.LBB124_525:                            ; =>This Inner Loop Header: Depth=1
	scratch_load_b64 v[32:33], v20, off
	v_dual_mov_b32 v34, s5 :: v_dual_add_nc_u32 v31, -1, v31
	v_add_nc_u32_e32 v20, 8, v20
	s_add_i32 s5, s5, 8
	ds_load_b64 v[34:35], v34
	v_cmp_eq_u32_e32 vcc_lo, 0, v31
	s_or_b32 s0, vcc_lo, s0
	s_waitcnt vmcnt(0) lgkmcnt(0)
	v_fma_f64 v[13:14], v[32:33], v[34:35], v[13:14]
	s_and_not1_b32 exec_lo, exec_lo, s0
	s_cbranch_execnz .LBB124_525
; %bb.526:
	s_or_b32 exec_lo, exec_lo, s0
.LBB124_527:
	s_delay_alu instid0(SALU_CYCLE_1)
	s_or_b32 exec_lo, exec_lo, s4
	v_mov_b32_e32 v20, 0
	ds_load_b64 v[31:32], v20 offset:56
	s_waitcnt lgkmcnt(0)
	v_mul_f64 v[13:14], v[13:14], v[31:32]
	scratch_store_b64 off, v[13:14], off offset:56
.LBB124_528:
	s_or_b32 exec_lo, exec_lo, s2
	scratch_load_b64 v[13:14], off, off offset:48
	v_cmp_lt_u32_e64 s0, 6, v0
	s_waitcnt vmcnt(0)
	ds_store_b64 v15, v[13:14]
	s_waitcnt lgkmcnt(0)
	s_waitcnt_vscnt null, 0x0
	s_barrier
	buffer_gl0_inv
	s_and_saveexec_b32 s2, s0
	s_cbranch_execz .LBB124_538
; %bb.529:
	s_and_not1_b32 vcc_lo, exec_lo, s3
	s_cbranch_vccnz .LBB124_531
; %bb.530:
	scratch_load_b64 v[13:14], v16, off
	ds_load_b64 v[31:32], v15
	s_waitcnt vmcnt(0) lgkmcnt(0)
	v_mul_f64 v[13:14], v[13:14], v[31:32]
	s_cbranch_execz .LBB124_532
	s_branch .LBB124_533
.LBB124_531:
                                        ; implicit-def: $vgpr13_vgpr14
.LBB124_532:
	ds_load_b64 v[13:14], v15
.LBB124_533:
	s_and_saveexec_b32 s4, s1
	s_cbranch_execz .LBB124_537
; %bb.534:
	v_add_nc_u32_e64 v20, 0, 56
	v_add_nc_u32_e32 v31, -7, v0
	s_movk_i32 s5, 0x228
	s_mov_b32 s1, 0
.LBB124_535:                            ; =>This Inner Loop Header: Depth=1
	scratch_load_b64 v[32:33], v20, off
	v_dual_mov_b32 v34, s5 :: v_dual_add_nc_u32 v31, -1, v31
	v_add_nc_u32_e32 v20, 8, v20
	s_add_i32 s5, s5, 8
	ds_load_b64 v[34:35], v34
	v_cmp_eq_u32_e32 vcc_lo, 0, v31
	s_or_b32 s1, vcc_lo, s1
	s_waitcnt vmcnt(0) lgkmcnt(0)
	v_fma_f64 v[13:14], v[32:33], v[34:35], v[13:14]
	s_and_not1_b32 exec_lo, exec_lo, s1
	s_cbranch_execnz .LBB124_535
; %bb.536:
	s_or_b32 exec_lo, exec_lo, s1
.LBB124_537:
	s_delay_alu instid0(SALU_CYCLE_1)
	s_or_b32 exec_lo, exec_lo, s4
	v_mov_b32_e32 v20, 0
	ds_load_b64 v[31:32], v20 offset:48
	s_waitcnt lgkmcnt(0)
	v_mul_f64 v[13:14], v[13:14], v[31:32]
	scratch_store_b64 off, v[13:14], off offset:48
.LBB124_538:
	s_or_b32 exec_lo, exec_lo, s2
	scratch_load_b64 v[13:14], off, off offset:40
	v_cmp_lt_u32_e64 s1, 5, v0
	s_waitcnt vmcnt(0)
	ds_store_b64 v15, v[13:14]
	s_waitcnt lgkmcnt(0)
	s_waitcnt_vscnt null, 0x0
	s_barrier
	buffer_gl0_inv
	s_and_saveexec_b32 s2, s1
	s_cbranch_execz .LBB124_548
; %bb.539:
	s_and_not1_b32 vcc_lo, exec_lo, s3
	s_cbranch_vccnz .LBB124_541
; %bb.540:
	scratch_load_b64 v[13:14], v16, off
	ds_load_b64 v[31:32], v15
	s_waitcnt vmcnt(0) lgkmcnt(0)
	v_mul_f64 v[13:14], v[13:14], v[31:32]
	s_cbranch_execz .LBB124_542
	s_branch .LBB124_543
.LBB124_541:
                                        ; implicit-def: $vgpr13_vgpr14
.LBB124_542:
	ds_load_b64 v[13:14], v15
.LBB124_543:
	s_and_saveexec_b32 s4, s0
	s_cbranch_execz .LBB124_547
; %bb.544:
	v_add_nc_u32_e32 v20, -6, v0
	s_movk_i32 s5, 0x220
	s_mov_b32 s0, 0
.LBB124_545:                            ; =>This Inner Loop Header: Depth=1
	scratch_load_b64 v[31:32], v19, off
	v_dual_mov_b32 v33, s5 :: v_dual_add_nc_u32 v20, -1, v20
	v_add_nc_u32_e32 v19, 8, v19
	s_add_i32 s5, s5, 8
	ds_load_b64 v[33:34], v33
	v_cmp_eq_u32_e32 vcc_lo, 0, v20
	s_or_b32 s0, vcc_lo, s0
	s_waitcnt vmcnt(0) lgkmcnt(0)
	v_fma_f64 v[13:14], v[31:32], v[33:34], v[13:14]
	s_and_not1_b32 exec_lo, exec_lo, s0
	s_cbranch_execnz .LBB124_545
; %bb.546:
	s_or_b32 exec_lo, exec_lo, s0
.LBB124_547:
	s_delay_alu instid0(SALU_CYCLE_1)
	s_or_b32 exec_lo, exec_lo, s4
	v_mov_b32_e32 v19, 0
	ds_load_b64 v[19:20], v19 offset:40
	s_waitcnt lgkmcnt(0)
	v_mul_f64 v[13:14], v[13:14], v[19:20]
	scratch_store_b64 off, v[13:14], off offset:40
.LBB124_548:
	s_or_b32 exec_lo, exec_lo, s2
	scratch_load_b64 v[13:14], off, off offset:32
	v_cmp_lt_u32_e64 s0, 4, v0
	s_waitcnt vmcnt(0)
	ds_store_b64 v15, v[13:14]
	s_waitcnt lgkmcnt(0)
	s_waitcnt_vscnt null, 0x0
	s_barrier
	buffer_gl0_inv
	s_and_saveexec_b32 s2, s0
	s_cbranch_execz .LBB124_558
; %bb.549:
	s_and_not1_b32 vcc_lo, exec_lo, s3
	s_cbranch_vccnz .LBB124_551
; %bb.550:
	scratch_load_b64 v[13:14], v16, off
	ds_load_b64 v[19:20], v15
	s_waitcnt vmcnt(0) lgkmcnt(0)
	v_mul_f64 v[13:14], v[13:14], v[19:20]
	s_cbranch_execz .LBB124_552
	s_branch .LBB124_553
.LBB124_551:
                                        ; implicit-def: $vgpr13_vgpr14
.LBB124_552:
	ds_load_b64 v[13:14], v15
.LBB124_553:
	s_and_saveexec_b32 s4, s1
	s_cbranch_execz .LBB124_557
; %bb.554:
	v_add_nc_u32_e64 v19, 0, 40
	v_add_nc_u32_e32 v20, -5, v0
	s_movk_i32 s5, 0x218
	s_mov_b32 s1, 0
.LBB124_555:                            ; =>This Inner Loop Header: Depth=1
	scratch_load_b64 v[31:32], v19, off
	v_dual_mov_b32 v33, s5 :: v_dual_add_nc_u32 v20, -1, v20
	v_add_nc_u32_e32 v19, 8, v19
	s_add_i32 s5, s5, 8
	ds_load_b64 v[33:34], v33
	v_cmp_eq_u32_e32 vcc_lo, 0, v20
	s_or_b32 s1, vcc_lo, s1
	s_waitcnt vmcnt(0) lgkmcnt(0)
	v_fma_f64 v[13:14], v[31:32], v[33:34], v[13:14]
	s_and_not1_b32 exec_lo, exec_lo, s1
	s_cbranch_execnz .LBB124_555
; %bb.556:
	s_or_b32 exec_lo, exec_lo, s1
.LBB124_557:
	s_delay_alu instid0(SALU_CYCLE_1)
	s_or_b32 exec_lo, exec_lo, s4
	v_mov_b32_e32 v19, 0
	ds_load_b64 v[19:20], v19 offset:32
	s_waitcnt lgkmcnt(0)
	v_mul_f64 v[13:14], v[13:14], v[19:20]
	scratch_store_b64 off, v[13:14], off offset:32
.LBB124_558:
	s_or_b32 exec_lo, exec_lo, s2
	scratch_load_b64 v[13:14], off, off offset:24
	v_cmp_lt_u32_e64 s1, 3, v0
	s_waitcnt vmcnt(0)
	ds_store_b64 v15, v[13:14]
	s_waitcnt lgkmcnt(0)
	s_waitcnt_vscnt null, 0x0
	s_barrier
	buffer_gl0_inv
	s_and_saveexec_b32 s2, s1
	s_cbranch_execz .LBB124_568
; %bb.559:
	s_and_not1_b32 vcc_lo, exec_lo, s3
	s_cbranch_vccnz .LBB124_561
; %bb.560:
	scratch_load_b64 v[13:14], v16, off
	ds_load_b64 v[19:20], v15
	s_waitcnt vmcnt(0) lgkmcnt(0)
	v_mul_f64 v[13:14], v[13:14], v[19:20]
	s_cbranch_execz .LBB124_562
	s_branch .LBB124_563
.LBB124_561:
                                        ; implicit-def: $vgpr13_vgpr14
.LBB124_562:
	ds_load_b64 v[13:14], v15
.LBB124_563:
	s_and_saveexec_b32 s4, s0
	s_cbranch_execz .LBB124_567
; %bb.564:
	v_add_nc_u32_e32 v19, -4, v0
	s_movk_i32 s5, 0x210
	s_mov_b32 s0, 0
.LBB124_565:                            ; =>This Inner Loop Header: Depth=1
	scratch_load_b64 v[31:32], v18, off
	v_dual_mov_b32 v20, s5 :: v_dual_add_nc_u32 v19, -1, v19
	v_add_nc_u32_e32 v18, 8, v18
	s_add_i32 s5, s5, 8
	ds_load_b64 v[33:34], v20
	v_cmp_eq_u32_e32 vcc_lo, 0, v19
	s_or_b32 s0, vcc_lo, s0
	s_waitcnt vmcnt(0) lgkmcnt(0)
	v_fma_f64 v[13:14], v[31:32], v[33:34], v[13:14]
	s_and_not1_b32 exec_lo, exec_lo, s0
	s_cbranch_execnz .LBB124_565
; %bb.566:
	s_or_b32 exec_lo, exec_lo, s0
.LBB124_567:
	s_delay_alu instid0(SALU_CYCLE_1)
	s_or_b32 exec_lo, exec_lo, s4
	v_mov_b32_e32 v18, 0
	ds_load_b64 v[18:19], v18 offset:24
	s_waitcnt lgkmcnt(0)
	v_mul_f64 v[13:14], v[13:14], v[18:19]
	scratch_store_b64 off, v[13:14], off offset:24
.LBB124_568:
	s_or_b32 exec_lo, exec_lo, s2
	scratch_load_b64 v[13:14], off, off offset:16
	v_cmp_lt_u32_e64 s0, 2, v0
	s_waitcnt vmcnt(0)
	ds_store_b64 v15, v[13:14]
	s_waitcnt lgkmcnt(0)
	s_waitcnt_vscnt null, 0x0
	s_barrier
	buffer_gl0_inv
	s_and_saveexec_b32 s2, s0
	s_cbranch_execz .LBB124_578
; %bb.569:
	s_and_not1_b32 vcc_lo, exec_lo, s3
	s_cbranch_vccnz .LBB124_571
; %bb.570:
	scratch_load_b64 v[13:14], v16, off
	ds_load_b64 v[18:19], v15
	s_waitcnt vmcnt(0) lgkmcnt(0)
	v_mul_f64 v[13:14], v[13:14], v[18:19]
	s_cbranch_execz .LBB124_572
	s_branch .LBB124_573
.LBB124_571:
                                        ; implicit-def: $vgpr13_vgpr14
.LBB124_572:
	ds_load_b64 v[13:14], v15
.LBB124_573:
	s_and_saveexec_b32 s4, s1
	s_cbranch_execz .LBB124_577
; %bb.574:
	v_add_nc_u32_e64 v18, 0, 24
	v_add_nc_u32_e32 v19, -3, v0
	s_movk_i32 s5, 0x208
	s_mov_b32 s1, 0
.LBB124_575:                            ; =>This Inner Loop Header: Depth=1
	scratch_load_b64 v[31:32], v18, off
	v_dual_mov_b32 v20, s5 :: v_dual_add_nc_u32 v19, -1, v19
	v_add_nc_u32_e32 v18, 8, v18
	s_add_i32 s5, s5, 8
	ds_load_b64 v[33:34], v20
	v_cmp_eq_u32_e32 vcc_lo, 0, v19
	s_or_b32 s1, vcc_lo, s1
	s_waitcnt vmcnt(0) lgkmcnt(0)
	v_fma_f64 v[13:14], v[31:32], v[33:34], v[13:14]
	s_and_not1_b32 exec_lo, exec_lo, s1
	s_cbranch_execnz .LBB124_575
; %bb.576:
	s_or_b32 exec_lo, exec_lo, s1
.LBB124_577:
	s_delay_alu instid0(SALU_CYCLE_1)
	s_or_b32 exec_lo, exec_lo, s4
	v_mov_b32_e32 v18, 0
	ds_load_b64 v[18:19], v18 offset:16
	s_waitcnt lgkmcnt(0)
	v_mul_f64 v[13:14], v[13:14], v[18:19]
	scratch_store_b64 off, v[13:14], off offset:16
.LBB124_578:
	s_or_b32 exec_lo, exec_lo, s2
	scratch_load_b64 v[13:14], off, off offset:8
	v_cmp_lt_u32_e64 s1, 1, v0
	s_waitcnt vmcnt(0)
	ds_store_b64 v15, v[13:14]
	s_waitcnt lgkmcnt(0)
	s_waitcnt_vscnt null, 0x0
	s_barrier
	buffer_gl0_inv
	s_and_saveexec_b32 s2, s1
	s_cbranch_execz .LBB124_588
; %bb.579:
	s_and_not1_b32 vcc_lo, exec_lo, s3
	s_cbranch_vccnz .LBB124_581
; %bb.580:
	scratch_load_b64 v[13:14], v16, off
	ds_load_b64 v[18:19], v15
	s_waitcnt vmcnt(0) lgkmcnt(0)
	v_mul_f64 v[13:14], v[13:14], v[18:19]
	s_cbranch_execz .LBB124_582
	s_branch .LBB124_583
.LBB124_581:
                                        ; implicit-def: $vgpr13_vgpr14
.LBB124_582:
	ds_load_b64 v[13:14], v15
.LBB124_583:
	s_and_saveexec_b32 s4, s0
	s_cbranch_execz .LBB124_587
; %bb.584:
	v_add_nc_u32_e32 v18, -2, v0
	s_movk_i32 s5, 0x200
	s_mov_b32 s0, 0
.LBB124_585:                            ; =>This Inner Loop Header: Depth=1
	scratch_load_b64 v[19:20], v17, off
	v_dual_mov_b32 v31, s5 :: v_dual_add_nc_u32 v18, -1, v18
	v_add_nc_u32_e32 v17, 8, v17
	s_add_i32 s5, s5, 8
	ds_load_b64 v[31:32], v31
	v_cmp_eq_u32_e32 vcc_lo, 0, v18
	s_or_b32 s0, vcc_lo, s0
	s_waitcnt vmcnt(0) lgkmcnt(0)
	v_fma_f64 v[13:14], v[19:20], v[31:32], v[13:14]
	s_and_not1_b32 exec_lo, exec_lo, s0
	s_cbranch_execnz .LBB124_585
; %bb.586:
	s_or_b32 exec_lo, exec_lo, s0
.LBB124_587:
	s_delay_alu instid0(SALU_CYCLE_1)
	s_or_b32 exec_lo, exec_lo, s4
	v_mov_b32_e32 v17, 0
	ds_load_b64 v[17:18], v17 offset:8
	s_waitcnt lgkmcnt(0)
	v_mul_f64 v[13:14], v[13:14], v[17:18]
	scratch_store_b64 off, v[13:14], off offset:8
.LBB124_588:
	s_or_b32 exec_lo, exec_lo, s2
	scratch_load_b64 v[13:14], off, off
	s_mov_b32 s0, 0
	s_mov_b32 s2, exec_lo
	s_waitcnt vmcnt(0)
	ds_store_b64 v15, v[13:14]
	s_waitcnt lgkmcnt(0)
	s_waitcnt_vscnt null, 0x0
	s_barrier
	buffer_gl0_inv
	v_cmpx_ne_u32_e32 0, v0
	s_cbranch_execz .LBB124_598
; %bb.589:
	s_and_not1_b32 vcc_lo, exec_lo, s3
	s_cbranch_vccnz .LBB124_591
; %bb.590:
	scratch_load_b64 v[13:14], v16, off
	ds_load_b64 v[17:18], v15
	s_waitcnt vmcnt(0) lgkmcnt(0)
	v_mul_f64 v[13:14], v[13:14], v[17:18]
	s_cbranch_execz .LBB124_592
	s_branch .LBB124_593
.LBB124_591:
                                        ; implicit-def: $vgpr13_vgpr14
.LBB124_592:
	ds_load_b64 v[13:14], v15
.LBB124_593:
	s_and_saveexec_b32 s4, s1
	s_cbranch_execz .LBB124_597
; %bb.594:
	v_or_b32_e64 v17, 0, 8
	v_add_nc_u32_e32 v18, -1, v0
	s_movk_i32 s5, 0x1f8
	s_mov_b32 s1, 0
.LBB124_595:                            ; =>This Inner Loop Header: Depth=1
	scratch_load_b64 v[19:20], v17, off
	v_dual_mov_b32 v31, s5 :: v_dual_add_nc_u32 v18, -1, v18
	v_add_nc_u32_e32 v17, 8, v17
	s_add_i32 s5, s5, 8
	ds_load_b64 v[31:32], v31
	v_cmp_eq_u32_e32 vcc_lo, 0, v18
	s_or_b32 s1, vcc_lo, s1
	s_waitcnt vmcnt(0) lgkmcnt(0)
	v_fma_f64 v[13:14], v[19:20], v[31:32], v[13:14]
	s_and_not1_b32 exec_lo, exec_lo, s1
	s_cbranch_execnz .LBB124_595
; %bb.596:
	s_or_b32 exec_lo, exec_lo, s1
.LBB124_597:
	s_delay_alu instid0(SALU_CYCLE_1)
	s_or_b32 exec_lo, exec_lo, s4
	v_mov_b32_e32 v17, 0
	ds_load_b64 v[17:18], v17
	s_waitcnt lgkmcnt(0)
	v_mul_f64 v[13:14], v[13:14], v[17:18]
	scratch_store_b64 off, v[13:14], off
.LBB124_598:
	s_or_b32 exec_lo, exec_lo, s2
.LBB124_599:
	s_delay_alu instid0(SALU_CYCLE_1)
	s_and_b32 vcc_lo, exec_lo, s0
	s_cbranch_vccz .LBB124_1195
; %bb.600:
	scratch_load_b64 v[13:14], off, off offset:8
	v_cmp_eq_u32_e64 s0, 0, v0
	s_waitcnt vmcnt(0)
	ds_store_b64 v15, v[13:14]
	s_waitcnt lgkmcnt(0)
	s_waitcnt_vscnt null, 0x0
	s_barrier
	buffer_gl0_inv
	s_and_saveexec_b32 s1, s0
	s_cbranch_execz .LBB124_606
; %bb.601:
	s_and_b32 vcc_lo, exec_lo, s3
	s_cbranch_vccz .LBB124_603
; %bb.602:
	scratch_load_b64 v[13:14], v16, off
	ds_load_b64 v[17:18], v15
	s_waitcnt vmcnt(0) lgkmcnt(0)
	v_mul_f64 v[13:14], v[13:14], v[17:18]
	s_cbranch_execz .LBB124_604
	s_branch .LBB124_605
.LBB124_603:
                                        ; implicit-def: $vgpr13_vgpr14
.LBB124_604:
	ds_load_b64 v[13:14], v15
.LBB124_605:
	v_mov_b32_e32 v17, 0
	ds_load_b64 v[17:18], v17 offset:8
	s_waitcnt lgkmcnt(0)
	v_mul_f64 v[13:14], v[13:14], v[17:18]
	scratch_store_b64 off, v[13:14], off offset:8
.LBB124_606:
	s_or_b32 exec_lo, exec_lo, s1
	scratch_load_b64 v[13:14], off, off offset:16
	v_cndmask_b32_e64 v17, 0, 1, s3
	s_mov_b32 s1, exec_lo
	s_waitcnt vmcnt(0)
	ds_store_b64 v15, v[13:14]
	s_waitcnt lgkmcnt(0)
	s_waitcnt_vscnt null, 0x0
	s_barrier
	buffer_gl0_inv
	v_cmpx_gt_u32_e32 2, v0
	s_cbranch_execz .LBB124_614
; %bb.607:
	s_and_not1_b32 vcc_lo, exec_lo, s3
	s_cbranch_vccnz .LBB124_609
; %bb.608:
	scratch_load_b64 v[13:14], v16, off
	ds_load_b64 v[18:19], v15
	s_waitcnt vmcnt(0) lgkmcnt(0)
	v_mul_f64 v[13:14], v[13:14], v[18:19]
	s_cbranch_execz .LBB124_610
	s_branch .LBB124_611
.LBB124_609:
                                        ; implicit-def: $vgpr13_vgpr14
.LBB124_610:
	ds_load_b64 v[13:14], v15
.LBB124_611:
	s_and_saveexec_b32 s2, s0
	s_cbranch_execz .LBB124_613
; %bb.612:
	scratch_load_b64 v[18:19], v16, off offset:8
	ds_load_b64 v[31:32], v15 offset:8
	s_waitcnt vmcnt(0) lgkmcnt(0)
	v_fma_f64 v[13:14], v[18:19], v[31:32], v[13:14]
.LBB124_613:
	s_or_b32 exec_lo, exec_lo, s2
	v_mov_b32_e32 v18, 0
	ds_load_b64 v[18:19], v18 offset:16
	s_waitcnt lgkmcnt(0)
	v_mul_f64 v[13:14], v[13:14], v[18:19]
	scratch_store_b64 off, v[13:14], off offset:16
.LBB124_614:
	s_or_b32 exec_lo, exec_lo, s1
	scratch_load_b64 v[13:14], off, off offset:24
	s_mov_b32 s1, exec_lo
	s_waitcnt vmcnt(0)
	ds_store_b64 v15, v[13:14]
	s_waitcnt lgkmcnt(0)
	s_waitcnt_vscnt null, 0x0
	s_barrier
	buffer_gl0_inv
	v_cmpx_gt_u32_e32 3, v0
	s_cbranch_execz .LBB124_624
; %bb.615:
	v_cmp_ne_u32_e32 vcc_lo, 1, v17
	s_cbranch_vccnz .LBB124_617
; %bb.616:
	scratch_load_b64 v[13:14], v16, off
	ds_load_b64 v[18:19], v15
	s_waitcnt vmcnt(0) lgkmcnt(0)
	v_mul_f64 v[13:14], v[13:14], v[18:19]
	s_cbranch_execz .LBB124_618
	s_branch .LBB124_619
.LBB124_617:
                                        ; implicit-def: $vgpr13_vgpr14
.LBB124_618:
	ds_load_b64 v[13:14], v15
.LBB124_619:
	s_mov_b32 s2, exec_lo
	v_cmpx_ne_u32_e32 2, v0
	s_cbranch_execz .LBB124_623
; %bb.620:
	scratch_load_b64 v[18:19], v16, off offset:8
	ds_load_b64 v[31:32], v15 offset:8
	s_waitcnt vmcnt(0) lgkmcnt(0)
	v_fma_f64 v[13:14], v[18:19], v[31:32], v[13:14]
	s_and_saveexec_b32 s3, s0
	s_cbranch_execz .LBB124_622
; %bb.621:
	scratch_load_b64 v[18:19], off, off offset:16
	v_mov_b32_e32 v20, 0
	ds_load_b64 v[31:32], v20 offset:512
	s_waitcnt vmcnt(0) lgkmcnt(0)
	v_fma_f64 v[13:14], v[18:19], v[31:32], v[13:14]
.LBB124_622:
	s_or_b32 exec_lo, exec_lo, s3
.LBB124_623:
	s_delay_alu instid0(SALU_CYCLE_1)
	s_or_b32 exec_lo, exec_lo, s2
	v_mov_b32_e32 v18, 0
	ds_load_b64 v[18:19], v18 offset:24
	s_waitcnt lgkmcnt(0)
	v_mul_f64 v[13:14], v[13:14], v[18:19]
	scratch_store_b64 off, v[13:14], off offset:24
.LBB124_624:
	s_or_b32 exec_lo, exec_lo, s1
	scratch_load_b64 v[13:14], off, off offset:32
	s_mov_b32 s0, exec_lo
	s_waitcnt vmcnt(0)
	ds_store_b64 v15, v[13:14]
	s_waitcnt lgkmcnt(0)
	s_waitcnt_vscnt null, 0x0
	s_barrier
	buffer_gl0_inv
	v_cmpx_gt_u32_e32 4, v0
	s_cbranch_execz .LBB124_634
; %bb.625:
	v_cmp_ne_u32_e32 vcc_lo, 1, v17
	s_cbranch_vccnz .LBB124_627
; %bb.626:
	scratch_load_b64 v[13:14], v16, off
	ds_load_b64 v[18:19], v15
	s_waitcnt vmcnt(0) lgkmcnt(0)
	v_mul_f64 v[13:14], v[13:14], v[18:19]
	s_cbranch_execz .LBB124_628
	s_branch .LBB124_629
.LBB124_627:
                                        ; implicit-def: $vgpr13_vgpr14
.LBB124_628:
	ds_load_b64 v[13:14], v15
.LBB124_629:
	s_mov_b32 s1, exec_lo
	v_cmpx_ne_u32_e32 3, v0
	s_cbranch_execz .LBB124_633
; %bb.630:
	v_add_nc_u32_e32 v18, 0x1f8, v145
	v_add3_u32 v19, 0, v145, 8
	v_mov_b32_e32 v20, v0
	s_mov_b32 s2, 0
.LBB124_631:                            ; =>This Inner Loop Header: Depth=1
	scratch_load_b64 v[31:32], v19, off
	ds_load_b64 v[33:34], v18
	v_add_nc_u32_e32 v20, 1, v20
	v_add_nc_u32_e32 v18, 8, v18
	v_add_nc_u32_e32 v19, 8, v19
	s_delay_alu instid0(VALU_DEP_3)
	v_cmp_lt_u32_e32 vcc_lo, 2, v20
	s_or_b32 s2, vcc_lo, s2
	s_waitcnt vmcnt(0) lgkmcnt(0)
	v_fma_f64 v[13:14], v[31:32], v[33:34], v[13:14]
	s_and_not1_b32 exec_lo, exec_lo, s2
	s_cbranch_execnz .LBB124_631
; %bb.632:
	s_or_b32 exec_lo, exec_lo, s2
.LBB124_633:
	s_delay_alu instid0(SALU_CYCLE_1)
	s_or_b32 exec_lo, exec_lo, s1
	v_mov_b32_e32 v18, 0
	ds_load_b64 v[18:19], v18 offset:32
	s_waitcnt lgkmcnt(0)
	v_mul_f64 v[13:14], v[13:14], v[18:19]
	scratch_store_b64 off, v[13:14], off offset:32
.LBB124_634:
	s_or_b32 exec_lo, exec_lo, s0
	scratch_load_b64 v[13:14], off, off offset:40
	s_mov_b32 s0, exec_lo
	s_waitcnt vmcnt(0)
	ds_store_b64 v15, v[13:14]
	s_waitcnt lgkmcnt(0)
	s_waitcnt_vscnt null, 0x0
	s_barrier
	buffer_gl0_inv
	v_cmpx_gt_u32_e32 5, v0
	s_cbranch_execz .LBB124_644
; %bb.635:
	v_cmp_ne_u32_e32 vcc_lo, 1, v17
	s_cbranch_vccnz .LBB124_637
; %bb.636:
	scratch_load_b64 v[13:14], v16, off
	ds_load_b64 v[18:19], v15
	s_waitcnt vmcnt(0) lgkmcnt(0)
	v_mul_f64 v[13:14], v[13:14], v[18:19]
	s_cbranch_execz .LBB124_638
	s_branch .LBB124_639
.LBB124_637:
                                        ; implicit-def: $vgpr13_vgpr14
.LBB124_638:
	ds_load_b64 v[13:14], v15
.LBB124_639:
	s_mov_b32 s1, exec_lo
	v_cmpx_ne_u32_e32 4, v0
	s_cbranch_execz .LBB124_643
; %bb.640:
	v_add_nc_u32_e32 v18, 0x1f8, v145
	v_add3_u32 v19, 0, v145, 8
	v_mov_b32_e32 v20, v0
	s_mov_b32 s2, 0
.LBB124_641:                            ; =>This Inner Loop Header: Depth=1
	scratch_load_b64 v[31:32], v19, off
	ds_load_b64 v[33:34], v18
	v_add_nc_u32_e32 v20, 1, v20
	v_add_nc_u32_e32 v18, 8, v18
	v_add_nc_u32_e32 v19, 8, v19
	s_delay_alu instid0(VALU_DEP_3)
	v_cmp_lt_u32_e32 vcc_lo, 3, v20
	s_or_b32 s2, vcc_lo, s2
	s_waitcnt vmcnt(0) lgkmcnt(0)
	v_fma_f64 v[13:14], v[31:32], v[33:34], v[13:14]
	s_and_not1_b32 exec_lo, exec_lo, s2
	s_cbranch_execnz .LBB124_641
; %bb.642:
	s_or_b32 exec_lo, exec_lo, s2
.LBB124_643:
	s_delay_alu instid0(SALU_CYCLE_1)
	s_or_b32 exec_lo, exec_lo, s1
	v_mov_b32_e32 v18, 0
	ds_load_b64 v[18:19], v18 offset:40
	s_waitcnt lgkmcnt(0)
	v_mul_f64 v[13:14], v[13:14], v[18:19]
	scratch_store_b64 off, v[13:14], off offset:40
.LBB124_644:
	;; [unrolled: 58-line block ×37, first 2 shown]
	s_or_b32 exec_lo, exec_lo, s0
	scratch_load_b64 v[13:14], off, off offset:328
	s_mov_b32 s0, exec_lo
	s_waitcnt vmcnt(0)
	ds_store_b64 v15, v[13:14]
	s_waitcnt lgkmcnt(0)
	s_waitcnt_vscnt null, 0x0
	s_barrier
	buffer_gl0_inv
	v_cmpx_gt_u32_e32 41, v0
	s_cbranch_execz .LBB124_1004
; %bb.995:
	v_cmp_ne_u32_e32 vcc_lo, 1, v17
	s_cbranch_vccnz .LBB124_997
; %bb.996:
	scratch_load_b64 v[13:14], v16, off
	ds_load_b64 v[18:19], v15
	s_waitcnt vmcnt(0) lgkmcnt(0)
	v_mul_f64 v[13:14], v[13:14], v[18:19]
	s_cbranch_execz .LBB124_998
	s_branch .LBB124_999
.LBB124_997:
                                        ; implicit-def: $vgpr13_vgpr14
.LBB124_998:
	ds_load_b64 v[13:14], v15
.LBB124_999:
	s_mov_b32 s1, exec_lo
	v_cmpx_ne_u32_e32 40, v0
	s_cbranch_execz .LBB124_1003
; %bb.1000:
	v_add_nc_u32_e32 v18, 0x1f8, v145
	v_add3_u32 v19, 0, v145, 8
	v_mov_b32_e32 v20, v0
	s_mov_b32 s2, 0
.LBB124_1001:                           ; =>This Inner Loop Header: Depth=1
	scratch_load_b64 v[31:32], v19, off
	ds_load_b64 v[33:34], v18
	v_add_nc_u32_e32 v20, 1, v20
	v_add_nc_u32_e32 v18, 8, v18
	v_add_nc_u32_e32 v19, 8, v19
	s_delay_alu instid0(VALU_DEP_3)
	v_cmp_lt_u32_e32 vcc_lo, 39, v20
	s_or_b32 s2, vcc_lo, s2
	s_waitcnt vmcnt(0) lgkmcnt(0)
	v_fma_f64 v[13:14], v[31:32], v[33:34], v[13:14]
	s_and_not1_b32 exec_lo, exec_lo, s2
	s_cbranch_execnz .LBB124_1001
; %bb.1002:
	s_or_b32 exec_lo, exec_lo, s2
.LBB124_1003:
	s_delay_alu instid0(SALU_CYCLE_1)
	s_or_b32 exec_lo, exec_lo, s1
	v_mov_b32_e32 v18, 0
	ds_load_b64 v[18:19], v18 offset:328
	s_waitcnt lgkmcnt(0)
	v_mul_f64 v[13:14], v[13:14], v[18:19]
	scratch_store_b64 off, v[13:14], off offset:328
.LBB124_1004:
	s_or_b32 exec_lo, exec_lo, s0
	scratch_load_b64 v[13:14], off, off offset:336
	s_mov_b32 s0, exec_lo
	s_waitcnt vmcnt(0)
	ds_store_b64 v15, v[13:14]
	s_waitcnt lgkmcnt(0)
	s_waitcnt_vscnt null, 0x0
	s_barrier
	buffer_gl0_inv
	v_cmpx_gt_u32_e32 42, v0
	s_cbranch_execz .LBB124_1014
; %bb.1005:
	v_cmp_ne_u32_e32 vcc_lo, 1, v17
	s_cbranch_vccnz .LBB124_1007
; %bb.1006:
	scratch_load_b64 v[13:14], v16, off
	ds_load_b64 v[18:19], v15
	s_waitcnt vmcnt(0) lgkmcnt(0)
	v_mul_f64 v[13:14], v[13:14], v[18:19]
	s_cbranch_execz .LBB124_1008
	s_branch .LBB124_1009
.LBB124_1007:
                                        ; implicit-def: $vgpr13_vgpr14
.LBB124_1008:
	ds_load_b64 v[13:14], v15
.LBB124_1009:
	s_mov_b32 s1, exec_lo
	v_cmpx_ne_u32_e32 41, v0
	s_cbranch_execz .LBB124_1013
; %bb.1010:
	v_add_nc_u32_e32 v18, 0x1f8, v145
	v_add3_u32 v19, 0, v145, 8
	v_mov_b32_e32 v20, v0
	s_mov_b32 s2, 0
.LBB124_1011:                           ; =>This Inner Loop Header: Depth=1
	scratch_load_b64 v[31:32], v19, off
	ds_load_b64 v[33:34], v18
	v_add_nc_u32_e32 v20, 1, v20
	v_add_nc_u32_e32 v18, 8, v18
	v_add_nc_u32_e32 v19, 8, v19
	s_delay_alu instid0(VALU_DEP_3)
	v_cmp_lt_u32_e32 vcc_lo, 40, v20
	s_or_b32 s2, vcc_lo, s2
	s_waitcnt vmcnt(0) lgkmcnt(0)
	v_fma_f64 v[13:14], v[31:32], v[33:34], v[13:14]
	s_and_not1_b32 exec_lo, exec_lo, s2
	s_cbranch_execnz .LBB124_1011
; %bb.1012:
	s_or_b32 exec_lo, exec_lo, s2
.LBB124_1013:
	s_delay_alu instid0(SALU_CYCLE_1)
	s_or_b32 exec_lo, exec_lo, s1
	v_mov_b32_e32 v18, 0
	ds_load_b64 v[18:19], v18 offset:336
	s_waitcnt lgkmcnt(0)
	v_mul_f64 v[13:14], v[13:14], v[18:19]
	scratch_store_b64 off, v[13:14], off offset:336
.LBB124_1014:
	;; [unrolled: 58-line block ×18, first 2 shown]
	s_or_b32 exec_lo, exec_lo, s0
	scratch_load_b64 v[13:14], off, off offset:472
	v_cmp_gt_u32_e64 s0, 59, v0
	s_waitcnt vmcnt(0)
	ds_store_b64 v15, v[13:14]
	s_waitcnt lgkmcnt(0)
	s_waitcnt_vscnt null, 0x0
	s_barrier
	buffer_gl0_inv
	s_and_saveexec_b32 s1, s0
	s_cbranch_execz .LBB124_1184
; %bb.1175:
	v_cmp_ne_u32_e32 vcc_lo, 1, v17
	s_cbranch_vccnz .LBB124_1177
; %bb.1176:
	scratch_load_b64 v[13:14], v16, off
	ds_load_b64 v[18:19], v15
	s_waitcnt vmcnt(0) lgkmcnt(0)
	v_mul_f64 v[13:14], v[13:14], v[18:19]
	s_cbranch_execz .LBB124_1178
	s_branch .LBB124_1179
.LBB124_1177:
                                        ; implicit-def: $vgpr13_vgpr14
.LBB124_1178:
	ds_load_b64 v[13:14], v15
.LBB124_1179:
	s_mov_b32 s2, exec_lo
	v_cmpx_ne_u32_e32 58, v0
	s_cbranch_execz .LBB124_1183
; %bb.1180:
	v_add_nc_u32_e32 v18, 0x1f8, v145
	v_add3_u32 v19, 0, v145, 8
	v_mov_b32_e32 v20, v0
	s_mov_b32 s3, 0
.LBB124_1181:                           ; =>This Inner Loop Header: Depth=1
	scratch_load_b64 v[31:32], v19, off
	ds_load_b64 v[33:34], v18
	v_add_nc_u32_e32 v20, 1, v20
	v_add_nc_u32_e32 v18, 8, v18
	;; [unrolled: 1-line block ×3, first 2 shown]
	s_delay_alu instid0(VALU_DEP_3)
	v_cmp_lt_u32_e32 vcc_lo, 57, v20
	s_or_b32 s3, vcc_lo, s3
	s_waitcnt vmcnt(0) lgkmcnt(0)
	v_fma_f64 v[13:14], v[31:32], v[33:34], v[13:14]
	s_and_not1_b32 exec_lo, exec_lo, s3
	s_cbranch_execnz .LBB124_1181
; %bb.1182:
	s_or_b32 exec_lo, exec_lo, s3
.LBB124_1183:
	s_delay_alu instid0(SALU_CYCLE_1)
	s_or_b32 exec_lo, exec_lo, s2
	v_mov_b32_e32 v18, 0
	ds_load_b64 v[18:19], v18 offset:472
	s_waitcnt lgkmcnt(0)
	v_mul_f64 v[13:14], v[13:14], v[18:19]
	scratch_store_b64 off, v[13:14], off offset:472
.LBB124_1184:
	s_or_b32 exec_lo, exec_lo, s1
	scratch_load_b64 v[13:14], off, off offset:480
	s_mov_b32 s1, exec_lo
	s_waitcnt vmcnt(0)
	ds_store_b64 v15, v[13:14]
	s_waitcnt lgkmcnt(0)
	s_waitcnt_vscnt null, 0x0
	s_barrier
	buffer_gl0_inv
	v_cmpx_ne_u32_e32 60, v0
	s_cbranch_execz .LBB124_1194
; %bb.1185:
	v_cmp_ne_u32_e32 vcc_lo, 1, v17
	s_cbranch_vccnz .LBB124_1187
; %bb.1186:
	scratch_load_b64 v[13:14], v16, off
	ds_load_b64 v[16:17], v15
	s_waitcnt vmcnt(0) lgkmcnt(0)
	v_mul_f64 v[13:14], v[13:14], v[16:17]
	s_cbranch_execz .LBB124_1188
	s_branch .LBB124_1189
.LBB124_1187:
                                        ; implicit-def: $vgpr13_vgpr14
.LBB124_1188:
	ds_load_b64 v[13:14], v15
.LBB124_1189:
	s_and_saveexec_b32 s2, s0
	s_cbranch_execz .LBB124_1193
; %bb.1190:
	v_add_nc_u32_e32 v15, 0x1f8, v145
	v_add3_u32 v16, 0, v145, 8
	s_mov_b32 s0, 0
.LBB124_1191:                           ; =>This Inner Loop Header: Depth=1
	scratch_load_b64 v[17:18], v16, off
	ds_load_b64 v[19:20], v15
	v_add_nc_u32_e32 v0, 1, v0
	v_add_nc_u32_e32 v15, 8, v15
	;; [unrolled: 1-line block ×3, first 2 shown]
	s_delay_alu instid0(VALU_DEP_3)
	v_cmp_lt_u32_e32 vcc_lo, 58, v0
	s_or_b32 s0, vcc_lo, s0
	s_waitcnt vmcnt(0) lgkmcnt(0)
	v_fma_f64 v[13:14], v[17:18], v[19:20], v[13:14]
	s_and_not1_b32 exec_lo, exec_lo, s0
	s_cbranch_execnz .LBB124_1191
; %bb.1192:
	s_or_b32 exec_lo, exec_lo, s0
.LBB124_1193:
	s_delay_alu instid0(SALU_CYCLE_1)
	s_or_b32 exec_lo, exec_lo, s2
	v_mov_b32_e32 v0, 0
	ds_load_b64 v[15:16], v0 offset:480
	s_waitcnt lgkmcnt(0)
	v_mul_f64 v[13:14], v[13:14], v[15:16]
	scratch_store_b64 off, v[13:14], off offset:480
.LBB124_1194:
	s_or_b32 exec_lo, exec_lo, s1
.LBB124_1195:
	s_clause 0xb
	scratch_load_b128 v[13:16], off, off
	scratch_load_b128 v[17:20], off, off offset:16
	scratch_load_b128 v[31:34], off, off offset:32
	;; [unrolled: 1-line block ×11, first 2 shown]
	s_waitcnt vmcnt(11)
	s_clause 0x1
	global_store_b64 v[63:64], v[13:14], off
	global_store_b64 v[59:60], v[15:16], off
	s_waitcnt vmcnt(10)
	s_clause 0x1
	global_store_b64 v[53:54], v[17:18], off
	global_store_b64 v[47:48], v[19:20], off
	scratch_load_b128 v[17:20], off, off offset:208
	s_waitcnt vmcnt(10)
	s_clause 0x1
	global_store_b64 v[45:46], v[31:32], off
	global_store_b64 v[49:50], v[33:34], off
	s_waitcnt vmcnt(9)
	s_clause 0x1
	global_store_b64 v[51:52], v[35:36], off
	global_store_b64 v[55:56], v[37:38], off
	;; [unrolled: 4-line block ×8, first 2 shown]
	s_clause 0x11
	scratch_load_b128 v[13:16], off, off offset:176
	scratch_load_b128 v[43:46], off, off offset:224
	;; [unrolled: 1-line block ×17, first 2 shown]
	scratch_load_b64 v[75:76], off, off offset:480
	s_waitcnt vmcnt(20)
	s_clause 0x1
	global_store_b64 v[77:78], v[165:166], off
	global_store_b64 v[79:80], v[167:168], off
	s_waitcnt vmcnt(17)
	s_clause 0x5
	global_store_b64 v[83:84], v[13:14], off
	global_store_b64 v[85:86], v[15:16], off
	;; [unrolled: 1-line block ×6, first 2 shown]
	s_waitcnt vmcnt(16)
	s_clause 0x1
	global_store_b64 v[101:102], v[43:44], off
	global_store_b64 v[103:104], v[45:46], off
	s_waitcnt vmcnt(15)
	s_clause 0x1
	global_store_b64 v[105:106], v[31:32], off
	global_store_b64 v[107:108], v[33:34], off
	s_waitcnt vmcnt(14)
	s_clause 0x1
	global_store_b64 v[109:110], v[47:48], off
	global_store_b64 v[111:112], v[49:50], off
	s_waitcnt vmcnt(13)
	s_clause 0x1
	global_store_b64 v[113:114], v[35:36], off
	global_store_b64 v[115:116], v[37:38], off
	s_waitcnt vmcnt(12)
	s_clause 0x1
	global_store_b64 v[117:118], v[51:52], off
	global_store_b64 v[119:120], v[53:54], off
	s_waitcnt vmcnt(11)
	s_clause 0x1
	global_store_b64 v[121:122], v[39:40], off
	global_store_b64 v[123:124], v[41:42], off
	s_waitcnt vmcnt(10)
	s_clause 0x1
	global_store_b64 v[125:126], v[55:56], off
	global_store_b64 v[127:128], v[57:58], off
	s_waitcnt vmcnt(9)
	s_clause 0x1
	global_store_b64 v[129:130], v[59:60], off
	global_store_b64 v[131:132], v[61:62], off
	s_waitcnt vmcnt(8)
	s_clause 0x1
	global_store_b64 v[133:134], v[63:64], off
	global_store_b64 v[135:136], v[65:66], off
	s_waitcnt vmcnt(7)
	s_clause 0x1
	global_store_b64 v[137:138], v[67:68], off
	global_store_b64 v[139:140], v[69:70], off
	s_waitcnt vmcnt(6)
	s_clause 0x1
	global_store_b64 v[141:142], v[71:72], off
	global_store_b64 v[143:144], v[73:74], off
	s_waitcnt vmcnt(5)
	s_clause 0x1
	global_store_b64 v[1:2], v[145:146], off
	global_store_b64 v[3:4], v[147:148], off
	s_waitcnt vmcnt(4)
	s_clause 0x1
	global_store_b64 v[5:6], v[149:150], off
	global_store_b64 v[7:8], v[151:152], off
	s_waitcnt vmcnt(3)
	s_clause 0x1
	global_store_b64 v[9:10], v[153:154], off
	global_store_b64 v[11:12], v[155:156], off
	s_waitcnt vmcnt(2)
	s_clause 0x1
	global_store_b64 v[21:22], v[87:88], off
	global_store_b64 v[23:24], v[89:90], off
	s_waitcnt vmcnt(1)
	s_clause 0x1
	global_store_b64 v[25:26], v[157:158], off
	global_store_b64 v[27:28], v[159:160], off
	s_waitcnt vmcnt(0)
	global_store_b64 v[29:30], v[75:76], off
.LBB124_1196:
	s_endpgm
	.section	.rodata,"a",@progbits
	.p2align	6, 0x0
	.amdhsa_kernel _ZN9rocsolver6v33100L18trti2_kernel_smallILi61EdPKPdEEv13rocblas_fill_17rocblas_diagonal_T1_iil
		.amdhsa_group_segment_fixed_size 984
		.amdhsa_private_segment_fixed_size 496
		.amdhsa_kernarg_size 32
		.amdhsa_user_sgpr_count 15
		.amdhsa_user_sgpr_dispatch_ptr 0
		.amdhsa_user_sgpr_queue_ptr 0
		.amdhsa_user_sgpr_kernarg_segment_ptr 1
		.amdhsa_user_sgpr_dispatch_id 0
		.amdhsa_user_sgpr_private_segment_size 0
		.amdhsa_wavefront_size32 1
		.amdhsa_uses_dynamic_stack 0
		.amdhsa_enable_private_segment 1
		.amdhsa_system_sgpr_workgroup_id_x 1
		.amdhsa_system_sgpr_workgroup_id_y 0
		.amdhsa_system_sgpr_workgroup_id_z 0
		.amdhsa_system_sgpr_workgroup_info 0
		.amdhsa_system_vgpr_workitem_id 0
		.amdhsa_next_free_vgpr 173
		.amdhsa_next_free_sgpr 28
		.amdhsa_reserve_vcc 1
		.amdhsa_float_round_mode_32 0
		.amdhsa_float_round_mode_16_64 0
		.amdhsa_float_denorm_mode_32 3
		.amdhsa_float_denorm_mode_16_64 3
		.amdhsa_dx10_clamp 1
		.amdhsa_ieee_mode 1
		.amdhsa_fp16_overflow 0
		.amdhsa_workgroup_processor_mode 1
		.amdhsa_memory_ordered 1
		.amdhsa_forward_progress 0
		.amdhsa_shared_vgpr_count 0
		.amdhsa_exception_fp_ieee_invalid_op 0
		.amdhsa_exception_fp_denorm_src 0
		.amdhsa_exception_fp_ieee_div_zero 0
		.amdhsa_exception_fp_ieee_overflow 0
		.amdhsa_exception_fp_ieee_underflow 0
		.amdhsa_exception_fp_ieee_inexact 0
		.amdhsa_exception_int_div_zero 0
	.end_amdhsa_kernel
	.section	.text._ZN9rocsolver6v33100L18trti2_kernel_smallILi61EdPKPdEEv13rocblas_fill_17rocblas_diagonal_T1_iil,"axG",@progbits,_ZN9rocsolver6v33100L18trti2_kernel_smallILi61EdPKPdEEv13rocblas_fill_17rocblas_diagonal_T1_iil,comdat
.Lfunc_end124:
	.size	_ZN9rocsolver6v33100L18trti2_kernel_smallILi61EdPKPdEEv13rocblas_fill_17rocblas_diagonal_T1_iil, .Lfunc_end124-_ZN9rocsolver6v33100L18trti2_kernel_smallILi61EdPKPdEEv13rocblas_fill_17rocblas_diagonal_T1_iil
                                        ; -- End function
	.section	.AMDGPU.csdata,"",@progbits
; Kernel info:
; codeLenInByte = 33480
; NumSgprs: 30
; NumVgprs: 173
; ScratchSize: 496
; MemoryBound: 0
; FloatMode: 240
; IeeeMode: 1
; LDSByteSize: 984 bytes/workgroup (compile time only)
; SGPRBlocks: 3
; VGPRBlocks: 21
; NumSGPRsForWavesPerEU: 30
; NumVGPRsForWavesPerEU: 173
; Occupancy: 8
; WaveLimiterHint : 1
; COMPUTE_PGM_RSRC2:SCRATCH_EN: 1
; COMPUTE_PGM_RSRC2:USER_SGPR: 15
; COMPUTE_PGM_RSRC2:TRAP_HANDLER: 0
; COMPUTE_PGM_RSRC2:TGID_X_EN: 1
; COMPUTE_PGM_RSRC2:TGID_Y_EN: 0
; COMPUTE_PGM_RSRC2:TGID_Z_EN: 0
; COMPUTE_PGM_RSRC2:TIDIG_COMP_CNT: 0
	.section	.text._ZN9rocsolver6v33100L18trti2_kernel_smallILi62EdPKPdEEv13rocblas_fill_17rocblas_diagonal_T1_iil,"axG",@progbits,_ZN9rocsolver6v33100L18trti2_kernel_smallILi62EdPKPdEEv13rocblas_fill_17rocblas_diagonal_T1_iil,comdat
	.globl	_ZN9rocsolver6v33100L18trti2_kernel_smallILi62EdPKPdEEv13rocblas_fill_17rocblas_diagonal_T1_iil ; -- Begin function _ZN9rocsolver6v33100L18trti2_kernel_smallILi62EdPKPdEEv13rocblas_fill_17rocblas_diagonal_T1_iil
	.p2align	8
	.type	_ZN9rocsolver6v33100L18trti2_kernel_smallILi62EdPKPdEEv13rocblas_fill_17rocblas_diagonal_T1_iil,@function
_ZN9rocsolver6v33100L18trti2_kernel_smallILi62EdPKPdEEv13rocblas_fill_17rocblas_diagonal_T1_iil: ; @_ZN9rocsolver6v33100L18trti2_kernel_smallILi62EdPKPdEEv13rocblas_fill_17rocblas_diagonal_T1_iil
; %bb.0:
	s_mov_b32 s2, exec_lo
	v_cmpx_gt_u32_e32 62, v0
	s_cbranch_execz .LBB125_1216
; %bb.1:
	s_clause 0x1
	s_load_b64 s[4:5], s[0:1], 0x10
	s_load_b128 s[0:3], s[0:1], 0x0
	s_mov_b32 s6, s15
	s_ashr_i32 s7, s15, 31
	v_lshlrev_b32_e32 v127, 3, v0
	s_lshl_b64 s[8:9], s[6:7], 3
	s_waitcnt lgkmcnt(0)
	s_ashr_i32 s7, s4, 31
	s_add_u32 s2, s2, s8
	s_addc_u32 s3, s3, s9
	v_add3_u32 v1, s5, s5, v0
	s_load_b64 s[2:3], s[2:3], 0x0
	s_mov_b32 s6, s4
	s_mov_b32 s8, s5
	s_lshl_b64 s[6:7], s[6:7], 3
	v_add_nc_u32_e32 v3, s5, v1
	v_ashrrev_i32_e32 v2, 31, v1
	s_delay_alu instid0(VALU_DEP_2) | instskip(SKIP_1) | instid1(VALU_DEP_3)
	v_add_nc_u32_e32 v5, s5, v3
	v_ashrrev_i32_e32 v4, 31, v3
	v_lshlrev_b64 v[1:2], 3, v[1:2]
	s_delay_alu instid0(VALU_DEP_3) | instskip(NEXT) | instid1(VALU_DEP_3)
	v_add_nc_u32_e32 v7, s5, v5
	v_lshlrev_b64 v[3:4], 3, v[3:4]
	v_ashrrev_i32_e32 v6, 31, v5
	s_delay_alu instid0(VALU_DEP_3)
	v_add_nc_u32_e32 v9, s5, v7
	s_waitcnt lgkmcnt(0)
	s_add_u32 s2, s2, s6
	s_addc_u32 s3, s3, s7
	v_add_co_u32 v23, s4, s2, v127
	s_ashr_i32 s9, s5, 31
	v_add_co_ci_u32_e64 v24, null, s3, 0, s4
	s_lshl_b64 s[6:7], s[8:9], 3
	v_ashrrev_i32_e32 v8, 31, v7
	v_add_nc_u32_e32 v13, s5, v9
	v_add_co_u32 v29, vcc_lo, v23, s6
	v_add_co_ci_u32_e32 v30, vcc_lo, s7, v24, vcc_lo
	s_delay_alu instid0(VALU_DEP_4)
	v_lshlrev_b64 v[7:8], 3, v[7:8]
	v_add_co_u32 v31, vcc_lo, s2, v1
	v_add_nc_u32_e32 v1, s5, v13
	v_add_co_ci_u32_e32 v32, vcc_lo, s3, v2, vcc_lo
	v_lshlrev_b64 v[5:6], 3, v[5:6]
	v_add_co_u32 v37, vcc_lo, s2, v3
	v_ashrrev_i32_e32 v10, 31, v9
	v_add_co_ci_u32_e32 v38, vcc_lo, s3, v4, vcc_lo
	v_add_nc_u32_e32 v3, s5, v1
	v_add_co_u32 v11, vcc_lo, s2, v7
	v_add_co_ci_u32_e32 v12, vcc_lo, s3, v8, vcc_lo
	s_clause 0x1
	global_load_b64 v[45:46], v127, s[2:3]
	global_load_b64 v[47:48], v[29:30], off
	v_add_co_u32 v15, vcc_lo, s2, v5
	v_lshlrev_b64 v[4:5], 3, v[9:10]
	v_ashrrev_i32_e32 v14, 31, v13
	v_add_nc_u32_e32 v7, s5, v3
	v_ashrrev_i32_e32 v2, 31, v1
	v_add_co_ci_u32_e32 v16, vcc_lo, s3, v6, vcc_lo
	s_delay_alu instid0(VALU_DEP_4)
	v_lshlrev_b64 v[17:18], 3, v[13:14]
	v_add_co_u32 v13, vcc_lo, s2, v4
	v_ashrrev_i32_e32 v4, 31, v3
	v_add_nc_u32_e32 v9, s5, v7
	v_lshlrev_b64 v[1:2], 3, v[1:2]
	v_ashrrev_i32_e32 v8, 31, v7
	v_add_co_ci_u32_e32 v14, vcc_lo, s3, v5, vcc_lo
	v_add_co_u32 v19, vcc_lo, s2, v17
	v_lshlrev_b64 v[5:6], 3, v[3:4]
	s_clause 0x3
	global_load_b64 v[57:58], v[11:12], off
	global_load_b64 v[59:60], v[31:32], off
	;; [unrolled: 1-line block ×4, first 2 shown]
	v_ashrrev_i32_e32 v10, 31, v9
	v_add_co_ci_u32_e32 v20, vcc_lo, s3, v18, vcc_lo
	v_add_co_u32 v3, vcc_lo, s2, v1
	v_lshlrev_b64 v[7:8], 3, v[7:8]
	v_add_co_ci_u32_e32 v4, vcc_lo, s3, v2, vcc_lo
	v_add_nc_u32_e32 v21, s5, v9
	v_add_co_u32 v5, vcc_lo, s2, v5
	v_lshlrev_b64 v[9:10], 3, v[9:10]
	v_add_co_ci_u32_e32 v6, vcc_lo, s3, v6, vcc_lo
	v_add_co_u32 v7, vcc_lo, s2, v7
	v_add_co_ci_u32_e32 v8, vcc_lo, s3, v8, vcc_lo
	s_delay_alu instid0(VALU_DEP_4)
	v_add_co_u32 v9, vcc_lo, s2, v9
	v_add_co_ci_u32_e32 v10, vcc_lo, s3, v10, vcc_lo
	s_clause 0x5
	global_load_b64 v[63:64], v[13:14], off
	global_load_b64 v[65:66], v[19:20], off
	;; [unrolled: 1-line block ×6, first 2 shown]
	v_add_nc_u32_e32 v25, s5, v21
	v_ashrrev_i32_e32 v22, 31, v21
	s_cmpk_lg_i32 s1, 0x84
	s_delay_alu instid0(VALU_DEP_2) | instskip(NEXT) | instid1(VALU_DEP_2)
	v_add_nc_u32_e32 v17, s5, v25
	v_lshlrev_b64 v[21:22], 3, v[21:22]
	v_ashrrev_i32_e32 v26, 31, v25
	s_delay_alu instid0(VALU_DEP_3) | instskip(SKIP_1) | instid1(VALU_DEP_4)
	v_add_nc_u32_e32 v1, s5, v17
	v_ashrrev_i32_e32 v18, 31, v17
	v_add_co_u32 v43, vcc_lo, s2, v21
	v_add_co_ci_u32_e32 v44, vcc_lo, s3, v22, vcc_lo
	s_delay_alu instid0(VALU_DEP_4)
	v_add_nc_u32_e32 v27, s5, v1
	v_lshlrev_b64 v[21:22], 3, v[25:26]
	v_ashrrev_i32_e32 v2, 31, v1
	v_lshlrev_b64 v[17:18], 3, v[17:18]
	global_load_b64 v[75:76], v[43:44], off
	v_add_nc_u32_e32 v35, s5, v27
	v_ashrrev_i32_e32 v28, 31, v27
	v_add_co_u32 v53, vcc_lo, s2, v21
	v_lshlrev_b64 v[1:2], 3, v[1:2]
	s_delay_alu instid0(VALU_DEP_4) | instskip(SKIP_2) | instid1(VALU_DEP_3)
	v_add_nc_u32_e32 v39, s5, v35
	v_add_co_ci_u32_e32 v54, vcc_lo, s3, v22, vcc_lo
	v_add_co_u32 v33, vcc_lo, s2, v17
	v_add_nc_u32_e32 v41, s5, v39
	global_load_b64 v[77:78], v[53:54], off
	v_add_co_ci_u32_e32 v34, vcc_lo, s3, v18, vcc_lo
	v_lshlrev_b64 v[17:18], 3, v[27:28]
	v_add_nc_u32_e32 v49, s5, v41
	v_ashrrev_i32_e32 v36, 31, v35
	v_add_co_u32 v51, vcc_lo, s2, v1
	v_add_co_ci_u32_e32 v52, vcc_lo, s3, v2, vcc_lo
	s_delay_alu instid0(VALU_DEP_4) | instskip(SKIP_3) | instid1(VALU_DEP_4)
	v_add_nc_u32_e32 v87, s5, v49
	v_ashrrev_i32_e32 v40, 31, v39
	v_lshlrev_b64 v[27:28], 3, v[35:36]
	v_add_co_u32 v25, vcc_lo, s2, v17
	v_add_nc_u32_e32 v95, s5, v87
	v_ashrrev_i32_e32 v42, 31, v41
	v_add_co_ci_u32_e32 v26, vcc_lo, s3, v18, vcc_lo
	v_lshlrev_b64 v[17:18], 3, v[39:40]
	s_delay_alu instid0(VALU_DEP_4) | instskip(SKIP_3) | instid1(VALU_DEP_4)
	v_add_nc_u32_e32 v97, s5, v95
	v_ashrrev_i32_e32 v50, 31, v49
	v_ashrrev_i32_e32 v88, 31, v87
	;; [unrolled: 1-line block ×3, first 2 shown]
	v_add_nc_u32_e32 v99, s5, v97
	v_ashrrev_i32_e32 v98, 31, v97
	s_delay_alu instid0(VALU_DEP_3) | instskip(NEXT) | instid1(VALU_DEP_3)
	v_lshlrev_b64 v[35:36], 3, v[95:96]
	v_add_nc_u32_e32 v101, s5, v99
	v_ashrrev_i32_e32 v100, 31, v99
	s_delay_alu instid0(VALU_DEP_2) | instskip(SKIP_1) | instid1(VALU_DEP_2)
	v_add_nc_u32_e32 v103, s5, v101
	v_ashrrev_i32_e32 v102, 31, v101
	v_add_nc_u32_e32 v105, s5, v103
	v_ashrrev_i32_e32 v104, 31, v103
	s_delay_alu instid0(VALU_DEP_2) | instskip(SKIP_1) | instid1(VALU_DEP_2)
	v_add_nc_u32_e32 v107, s5, v105
	v_ashrrev_i32_e32 v106, 31, v105
	;; [unrolled: 5-line block ×18, first 2 shown]
	v_add_nc_u32_e32 v21, s5, v176
	v_ashrrev_i32_e32 v177, 31, v176
	s_delay_alu instid0(VALU_DEP_2) | instskip(NEXT) | instid1(VALU_DEP_1)
	v_ashrrev_i32_e32 v22, 31, v21
	v_lshlrev_b64 v[1:2], 3, v[21:22]
	v_lshlrev_b64 v[21:22], 3, v[41:42]
	s_delay_alu instid0(VALU_DEP_2) | instskip(NEXT) | instid1(VALU_DEP_3)
	v_add_co_u32 v1, vcc_lo, s2, v1
	v_add_co_ci_u32_e32 v2, vcc_lo, s3, v2, vcc_lo
	v_add_co_u32 v39, vcc_lo, s2, v27
	v_add_co_ci_u32_e32 v40, vcc_lo, s3, v28, vcc_lo
	;; [unrolled: 2-line block ×3, first 2 shown]
	v_lshlrev_b64 v[17:18], 3, v[49:50]
	v_add_co_u32 v41, vcc_lo, s2, v21
	s_waitcnt vmcnt(12)
	scratch_store_b128 off, v[45:48], off
	v_add_co_ci_u32_e32 v42, vcc_lo, s3, v22, vcc_lo
	v_lshlrev_b64 v[21:22], 3, v[87:88]
	s_clause 0x4
	global_load_b64 v[130:131], v[1:2], off
	global_load_b64 v[79:80], v[33:34], off
	;; [unrolled: 1-line block ×5, first 2 shown]
	v_add_co_u32 v17, vcc_lo, s2, v17
	v_add_co_ci_u32_e32 v18, vcc_lo, s3, v18, vcc_lo
	v_add_co_u32 v21, vcc_lo, s2, v21
	v_lshlrev_b64 v[45:46], 3, v[97:98]
	v_add_co_ci_u32_e32 v22, vcc_lo, s3, v22, vcc_lo
	v_add_co_u32 v35, vcc_lo, s2, v35
	v_lshlrev_b64 v[47:48], 3, v[99:100]
	v_add_co_ci_u32_e32 v36, vcc_lo, s3, v36, vcc_lo
	s_waitcnt vmcnt(14)
	scratch_store_b128 off, v[59:62], off offset:16
	s_waitcnt vmcnt(13)
	scratch_store_b128 off, v[55:58], off offset:32
	v_add_co_u32 v45, vcc_lo, s2, v45
	v_lshlrev_b64 v[49:50], 3, v[101:102]
	s_clause 0x3
	global_load_b64 v[87:88], v[27:28], off
	global_load_b64 v[89:90], v[41:42], off
	;; [unrolled: 1-line block ×4, first 2 shown]
	v_add_co_ci_u32_e32 v46, vcc_lo, s3, v46, vcc_lo
	v_add_co_u32 v47, vcc_lo, s2, v47
	v_lshlrev_b64 v[55:56], 3, v[103:104]
	v_add_co_ci_u32_e32 v48, vcc_lo, s3, v48, vcc_lo
	v_add_co_u32 v49, vcc_lo, s2, v49
	v_lshlrev_b64 v[57:58], 3, v[105:106]
	v_add_co_ci_u32_e32 v50, vcc_lo, s3, v50, vcc_lo
	v_add_co_u32 v55, vcc_lo, s2, v55
	v_add_co_ci_u32_e32 v56, vcc_lo, s3, v56, vcc_lo
	s_delay_alu instid0(VALU_DEP_4)
	v_add_co_u32 v57, vcc_lo, s2, v57
	v_add_co_ci_u32_e32 v58, vcc_lo, s3, v58, vcc_lo
	s_waitcnt vmcnt(15)
	scratch_store_b128 off, v[63:66], off offset:48
	s_waitcnt vmcnt(13)
	scratch_store_b128 off, v[67:70], off offset:64
	s_clause 0x3
	global_load_b64 v[95:96], v[35:36], off
	global_load_b64 v[97:98], v[45:46], off
	;; [unrolled: 1-line block ×4, first 2 shown]
	s_waitcnt vmcnt(15)
	scratch_store_b128 off, v[71:74], off offset:80
	s_clause 0x1
	global_load_b64 v[103:104], v[55:56], off
	global_load_b64 v[105:106], v[57:58], off
	v_lshlrev_b64 v[59:60], 3, v[107:108]
	v_lshlrev_b64 v[61:62], 3, v[109:110]
	;; [unrolled: 1-line block ×6, first 2 shown]
	v_add_co_u32 v59, vcc_lo, s2, v59
	v_add_co_ci_u32_e32 v60, vcc_lo, s3, v60, vcc_lo
	v_add_co_u32 v61, vcc_lo, s2, v61
	v_add_co_ci_u32_e32 v62, vcc_lo, s3, v62, vcc_lo
	v_add_co_u32 v63, vcc_lo, s2, v63
	v_add_co_ci_u32_e32 v64, vcc_lo, s3, v64, vcc_lo
	v_add_co_u32 v65, vcc_lo, s2, v65
	v_add_co_ci_u32_e32 v66, vcc_lo, s3, v66, vcc_lo
	v_add_co_u32 v67, vcc_lo, s2, v67
	v_lshlrev_b64 v[71:72], 3, v[119:120]
	v_add_co_ci_u32_e32 v68, vcc_lo, s3, v68, vcc_lo
	v_add_co_u32 v69, vcc_lo, s2, v69
	v_lshlrev_b64 v[73:74], 3, v[121:122]
	s_clause 0x1
	global_load_b64 v[107:108], v[59:60], off
	global_load_b64 v[109:110], v[61:62], off
	v_add_co_ci_u32_e32 v70, vcc_lo, s3, v70, vcc_lo
	s_waitcnt vmcnt(17)
	scratch_store_b128 off, v[75:78], off offset:96
	v_add_co_u32 v71, vcc_lo, s2, v71
	v_lshlrev_b64 v[75:76], 3, v[123:124]
	v_add_co_ci_u32_e32 v72, vcc_lo, s3, v72, vcc_lo
	v_add_co_u32 v73, vcc_lo, s2, v73
	v_lshlrev_b64 v[77:78], 3, v[125:126]
	v_add_co_ci_u32_e32 v74, vcc_lo, s3, v74, vcc_lo
	v_add_co_u32 v75, vcc_lo, s2, v75
	v_add_co_ci_u32_e32 v76, vcc_lo, s3, v76, vcc_lo
	s_delay_alu instid0(VALU_DEP_4)
	v_add_co_u32 v77, vcc_lo, s2, v77
	v_add_co_ci_u32_e32 v78, vcc_lo, s3, v78, vcc_lo
	s_waitcnt vmcnt(14)
	scratch_store_b128 off, v[79:82], off offset:112
	s_waitcnt vmcnt(12)
	scratch_store_b128 off, v[83:86], off offset:128
	s_clause 0x3
	global_load_b64 v[111:112], v[63:64], off
	global_load_b64 v[113:114], v[65:66], off
	;; [unrolled: 1-line block ×4, first 2 shown]
	v_lshlrev_b64 v[79:80], 3, v[128:129]
	v_lshlrev_b64 v[81:82], 3, v[132:133]
	v_lshlrev_b64 v[83:84], 3, v[134:135]
	s_waitcnt vmcnt(14)
	scratch_store_b128 off, v[87:90], off offset:144
	s_waitcnt vmcnt(12)
	scratch_store_b128 off, v[91:94], off offset:160
	v_add_co_u32 v79, vcc_lo, s2, v79
	v_add_co_ci_u32_e32 v80, vcc_lo, s3, v80, vcc_lo
	v_add_co_u32 v81, vcc_lo, s2, v81
	v_lshlrev_b64 v[85:86], 3, v[136:137]
	s_clause 0x3
	global_load_b64 v[119:120], v[71:72], off
	global_load_b64 v[121:122], v[73:74], off
	;; [unrolled: 1-line block ×4, first 2 shown]
	v_add_co_ci_u32_e32 v82, vcc_lo, s3, v82, vcc_lo
	v_add_co_u32 v83, vcc_lo, s2, v83
	v_lshlrev_b64 v[87:88], 3, v[140:141]
	v_add_co_ci_u32_e32 v84, vcc_lo, s3, v84, vcc_lo
	v_add_co_u32 v85, vcc_lo, s2, v85
	v_lshlrev_b64 v[89:90], 3, v[142:143]
	v_add_co_ci_u32_e32 v86, vcc_lo, s3, v86, vcc_lo
	v_add_co_u32 v87, vcc_lo, s2, v87
	v_add_co_ci_u32_e32 v88, vcc_lo, s3, v88, vcc_lo
	s_delay_alu instid0(VALU_DEP_4)
	v_add_co_u32 v89, vcc_lo, s2, v89
	v_add_co_ci_u32_e32 v90, vcc_lo, s3, v90, vcc_lo
	s_waitcnt vmcnt(14)
	scratch_store_b128 off, v[95:98], off offset:176
	s_waitcnt vmcnt(12)
	scratch_store_b128 off, v[99:102], off offset:192
	s_clause 0x3
	global_load_b64 v[132:133], v[79:80], off
	global_load_b64 v[134:135], v[81:82], off
	;; [unrolled: 1-line block ×4, first 2 shown]
	s_waitcnt vmcnt(14)
	scratch_store_b128 off, v[103:106], off offset:208
	s_clause 0x1
	global_load_b64 v[140:141], v[87:88], off
	global_load_b64 v[142:143], v[89:90], off
	v_lshlrev_b64 v[91:92], 3, v[144:145]
	v_lshlrev_b64 v[93:94], 3, v[146:147]
	;; [unrolled: 1-line block ×6, first 2 shown]
	v_add_co_u32 v91, vcc_lo, s2, v91
	v_add_co_ci_u32_e32 v92, vcc_lo, s3, v92, vcc_lo
	v_add_co_u32 v93, vcc_lo, s2, v93
	v_add_co_ci_u32_e32 v94, vcc_lo, s3, v94, vcc_lo
	;; [unrolled: 2-line block ×4, first 2 shown]
	v_add_co_u32 v99, vcc_lo, s2, v99
	v_lshlrev_b64 v[103:104], 3, v[156:157]
	v_add_co_ci_u32_e32 v100, vcc_lo, s3, v100, vcc_lo
	v_add_co_u32 v101, vcc_lo, s2, v101
	v_lshlrev_b64 v[105:106], 3, v[158:159]
	v_add_co_ci_u32_e32 v102, vcc_lo, s3, v102, vcc_lo
	s_waitcnt vmcnt(14)
	scratch_store_b128 off, v[107:110], off offset:224
	v_add_co_u32 v103, vcc_lo, s2, v103
	v_lshlrev_b64 v[107:108], 3, v[160:161]
	v_add_co_ci_u32_e32 v104, vcc_lo, s3, v104, vcc_lo
	v_add_co_u32 v105, vcc_lo, s2, v105
	v_lshlrev_b64 v[109:110], 3, v[162:163]
	v_add_co_ci_u32_e32 v106, vcc_lo, s3, v106, vcc_lo
	global_load_b64 v[144:145], v[91:92], off
	v_add_co_u32 v107, vcc_lo, s2, v107
	v_add_co_ci_u32_e32 v108, vcc_lo, s3, v108, vcc_lo
	v_add_co_u32 v109, vcc_lo, s2, v109
	v_add_co_ci_u32_e32 v110, vcc_lo, s3, v110, vcc_lo
	s_waitcnt vmcnt(13)
	scratch_store_b128 off, v[111:114], off offset:240
	s_waitcnt vmcnt(11)
	scratch_store_b128 off, v[115:118], off offset:256
	v_lshlrev_b64 v[111:112], 3, v[164:165]
	v_lshlrev_b64 v[113:114], 3, v[166:167]
	;; [unrolled: 1-line block ×4, first 2 shown]
	s_clause 0x3
	global_load_b64 v[146:147], v[93:94], off
	global_load_b64 v[148:149], v[95:96], off
	;; [unrolled: 1-line block ×4, first 2 shown]
	s_waitcnt vmcnt(13)
	scratch_store_b128 off, v[119:122], off offset:272
	s_waitcnt vmcnt(11)
	scratch_store_b128 off, v[123:126], off offset:288
	v_add_co_u32 v111, vcc_lo, s2, v111
	v_add_co_ci_u32_e32 v112, vcc_lo, s3, v112, vcc_lo
	v_add_co_u32 v113, vcc_lo, s2, v113
	v_add_co_ci_u32_e32 v114, vcc_lo, s3, v114, vcc_lo
	v_add_co_u32 v115, vcc_lo, s2, v115
	v_lshlrev_b64 v[119:120], 3, v[172:173]
	v_add_co_ci_u32_e32 v116, vcc_lo, s3, v116, vcc_lo
	v_add_co_u32 v117, vcc_lo, s2, v117
	v_add_co_ci_u32_e32 v118, vcc_lo, s3, v118, vcc_lo
	v_lshlrev_b64 v[123:124], 3, v[174:175]
	v_add_co_u32 v121, vcc_lo, s2, v119
	v_add_co_ci_u32_e32 v122, vcc_lo, s3, v120, vcc_lo
	v_lshlrev_b64 v[119:120], 3, v[176:177]
	s_delay_alu instid0(VALU_DEP_4)
	v_add_co_u32 v123, vcc_lo, s2, v123
	v_add_co_ci_u32_e32 v124, vcc_lo, s3, v124, vcc_lo
	s_clause 0x3
	global_load_b64 v[154:155], v[101:102], off
	global_load_b64 v[156:157], v[103:104], off
	global_load_b64 v[158:159], v[105:106], off
	global_load_b64 v[160:161], v[107:108], off
	v_add_co_u32 v119, vcc_lo, s2, v119
	s_waitcnt vmcnt(13)
	scratch_store_b128 off, v[132:135], off offset:304
	s_waitcnt vmcnt(11)
	scratch_store_b128 off, v[136:139], off offset:320
	v_add_co_ci_u32_e32 v120, vcc_lo, s3, v120, vcc_lo
	s_clause 0x3
	global_load_b64 v[162:163], v[109:110], off
	global_load_b64 v[132:133], v[111:112], off
	global_load_b64 v[134:135], v[113:114], off
	global_load_b64 v[136:137], v[115:116], off
	s_waitcnt vmcnt(13)
	scratch_store_b128 off, v[140:143], off offset:336
	s_clause 0x3
	global_load_b64 v[138:139], v[117:118], off
	global_load_b64 v[140:141], v[121:122], off
	;; [unrolled: 1-line block ×4, first 2 shown]
	v_mov_b32_e32 v125, 0
	v_mov_b32_e32 v126, 0xbff00000
	s_cselect_b32 s2, -1, 0
	s_cmpk_eq_i32 s1, 0x84
	s_waitcnt vmcnt(15)
	scratch_store_b128 off, v[144:147], off offset:352
	s_waitcnt vmcnt(13)
	scratch_store_b128 off, v[148:151], off offset:368
	;; [unrolled: 2-line block ×9, first 2 shown]
	s_cbranch_scc1 .LBB125_3
; %bb.2:
	scratch_load_b64 v[125:126], v127, off
	s_waitcnt vmcnt(0)
	v_div_scale_f64 v[128:129], null, v[125:126], v[125:126], 1.0
	v_div_scale_f64 v[134:135], vcc_lo, 1.0, v[125:126], 1.0
	s_delay_alu instid0(VALU_DEP_2) | instskip(SKIP_2) | instid1(VALU_DEP_1)
	v_rcp_f64_e32 v[130:131], v[128:129]
	s_waitcnt_depctr 0xfff
	v_fma_f64 v[132:133], -v[128:129], v[130:131], 1.0
	v_fma_f64 v[130:131], v[130:131], v[132:133], v[130:131]
	s_delay_alu instid0(VALU_DEP_1) | instskip(NEXT) | instid1(VALU_DEP_1)
	v_fma_f64 v[132:133], -v[128:129], v[130:131], 1.0
	v_fma_f64 v[130:131], v[130:131], v[132:133], v[130:131]
	s_delay_alu instid0(VALU_DEP_1) | instskip(NEXT) | instid1(VALU_DEP_1)
	v_mul_f64 v[132:133], v[134:135], v[130:131]
	v_fma_f64 v[128:129], -v[128:129], v[132:133], v[134:135]
	s_delay_alu instid0(VALU_DEP_1) | instskip(NEXT) | instid1(VALU_DEP_1)
	v_div_fmas_f64 v[128:129], v[128:129], v[130:131], v[132:133]
	v_div_fixup_f64 v[125:126], v[128:129], v[125:126], 1.0
	scratch_store_b64 v127, v[125:126], off
	v_xor_b32_e32 v126, 0x80000000, v126
.LBB125_3:
	v_add_nc_u32_e32 v128, 0x1f0, v127
	v_add_nc_u32_e32 v129, 0, v127
	s_cmpk_eq_i32 s0, 0x79
	s_mov_b32 s0, -1
	ds_store_b64 v127, v[125:126]
	s_cbranch_scc1 .LBB125_609
; %bb.4:
	scratch_load_b64 v[125:126], off, off offset:480
	v_cmp_eq_u32_e64 s0, 61, v0
	s_movk_i32 s1, 0x50
	s_movk_i32 s3, 0x60
	;; [unrolled: 1-line block ×25, first 2 shown]
	s_waitcnt vmcnt(0)
	ds_store_b64 v128, v[125:126]
	s_waitcnt lgkmcnt(0)
	s_waitcnt_vscnt null, 0x0
	s_barrier
	buffer_gl0_inv
	s_and_saveexec_b32 s27, s0
	s_cbranch_execz .LBB125_10
; %bb.5:
	s_and_b32 vcc_lo, exec_lo, s2
	s_cbranch_vccz .LBB125_7
; %bb.6:
	scratch_load_b64 v[125:126], v129, off
	ds_load_b64 v[130:131], v128
	s_waitcnt vmcnt(0) lgkmcnt(0)
	v_mul_f64 v[125:126], v[125:126], v[130:131]
	s_cbranch_execz .LBB125_8
	s_branch .LBB125_9
.LBB125_7:
                                        ; implicit-def: $vgpr125_vgpr126
.LBB125_8:
	ds_load_b64 v[125:126], v128
.LBB125_9:
	v_mov_b32_e32 v130, 0
	ds_load_b64 v[130:131], v130 offset:480
	s_waitcnt lgkmcnt(0)
	v_mul_f64 v[125:126], v[125:126], v[130:131]
	scratch_store_b64 off, v[125:126], off offset:480
.LBB125_10:
	s_or_b32 exec_lo, exec_lo, s27
	scratch_load_b64 v[125:126], off, off offset:472
	v_add_nc_u32_e64 v130, 0, 16
	v_add_nc_u32_e64 v131, 0, 32
	;; [unrolled: 1-line block ×29, first 2 shown]
	v_cmp_lt_u32_e64 s1, 59, v0
	s_waitcnt vmcnt(0)
	ds_store_b64 v128, v[125:126]
	s_waitcnt lgkmcnt(0)
	s_waitcnt_vscnt null, 0x0
	s_barrier
	buffer_gl0_inv
	s_and_saveexec_b32 s3, s1
	s_cbranch_execz .LBB125_18
; %bb.11:
	s_and_not1_b32 vcc_lo, exec_lo, s2
	s_cbranch_vccnz .LBB125_13
; %bb.12:
	scratch_load_b64 v[125:126], v129, off
	ds_load_b64 v[159:160], v128
	s_waitcnt vmcnt(0) lgkmcnt(0)
	v_mul_f64 v[125:126], v[125:126], v[159:160]
	s_cbranch_execz .LBB125_14
	s_branch .LBB125_15
.LBB125_13:
                                        ; implicit-def: $vgpr125_vgpr126
.LBB125_14:
	ds_load_b64 v[125:126], v128
.LBB125_15:
	s_and_saveexec_b32 s4, s0
	s_cbranch_execz .LBB125_17
; %bb.16:
	scratch_load_b64 v[159:160], off, off offset:480
	v_mov_b32_e32 v161, 0
	ds_load_b64 v[161:162], v161 offset:976
	s_waitcnt vmcnt(0) lgkmcnt(0)
	v_fma_f64 v[125:126], v[159:160], v[161:162], v[125:126]
.LBB125_17:
	s_or_b32 exec_lo, exec_lo, s4
	v_mov_b32_e32 v159, 0
	ds_load_b64 v[159:160], v159 offset:472
	s_waitcnt lgkmcnt(0)
	v_mul_f64 v[125:126], v[125:126], v[159:160]
	scratch_store_b64 off, v[125:126], off offset:472
.LBB125_18:
	s_or_b32 exec_lo, exec_lo, s3
	scratch_load_b64 v[125:126], off, off offset:464
	v_cmp_lt_u32_e64 s0, 58, v0
	s_waitcnt vmcnt(0)
	ds_store_b64 v128, v[125:126]
	s_waitcnt lgkmcnt(0)
	s_waitcnt_vscnt null, 0x0
	s_barrier
	buffer_gl0_inv
	s_and_saveexec_b32 s3, s0
	s_cbranch_execz .LBB125_28
; %bb.19:
	s_and_not1_b32 vcc_lo, exec_lo, s2
	s_cbranch_vccnz .LBB125_21
; %bb.20:
	scratch_load_b64 v[125:126], v129, off
	ds_load_b64 v[159:160], v128
	s_waitcnt vmcnt(0) lgkmcnt(0)
	v_mul_f64 v[125:126], v[125:126], v[159:160]
	s_cbranch_execz .LBB125_22
	s_branch .LBB125_23
.LBB125_21:
                                        ; implicit-def: $vgpr125_vgpr126
.LBB125_22:
	ds_load_b64 v[125:126], v128
.LBB125_23:
	s_and_saveexec_b32 s4, s1
	s_cbranch_execz .LBB125_27
; %bb.24:
	v_mov_b32_e32 v159, 0
	v_subrev_nc_u32_e32 v160, 59, v0
	s_movk_i32 s5, 0x3c8
	s_mov_b32 s1, 0
	s_delay_alu instid0(VALU_DEP_2)
	v_add_nc_u32_e32 v159, 0x1d8, v159
.LBB125_25:                             ; =>This Inner Loop Header: Depth=1
	scratch_load_b64 v[161:162], v159, off
	v_dual_mov_b32 v163, s5 :: v_dual_add_nc_u32 v160, -1, v160
	v_add_nc_u32_e32 v159, 8, v159
	s_add_i32 s5, s5, 8
	ds_load_b64 v[163:164], v163
	v_cmp_eq_u32_e32 vcc_lo, 0, v160
	s_or_b32 s1, vcc_lo, s1
	s_waitcnt vmcnt(0) lgkmcnt(0)
	v_fma_f64 v[125:126], v[161:162], v[163:164], v[125:126]
	s_and_not1_b32 exec_lo, exec_lo, s1
	s_cbranch_execnz .LBB125_25
; %bb.26:
	s_or_b32 exec_lo, exec_lo, s1
.LBB125_27:
	s_delay_alu instid0(SALU_CYCLE_1)
	s_or_b32 exec_lo, exec_lo, s4
	v_mov_b32_e32 v159, 0
	ds_load_b64 v[159:160], v159 offset:464
	s_waitcnt lgkmcnt(0)
	v_mul_f64 v[125:126], v[125:126], v[159:160]
	scratch_store_b64 off, v[125:126], off offset:464
.LBB125_28:
	s_or_b32 exec_lo, exec_lo, s3
	scratch_load_b64 v[125:126], off, off offset:456
	v_cmp_lt_u32_e64 s1, 57, v0
	s_waitcnt vmcnt(0)
	ds_store_b64 v128, v[125:126]
	s_waitcnt lgkmcnt(0)
	s_waitcnt_vscnt null, 0x0
	s_barrier
	buffer_gl0_inv
	s_and_saveexec_b32 s3, s1
	s_cbranch_execz .LBB125_38
; %bb.29:
	s_and_not1_b32 vcc_lo, exec_lo, s2
	s_cbranch_vccnz .LBB125_31
; %bb.30:
	scratch_load_b64 v[125:126], v129, off
	ds_load_b64 v[159:160], v128
	s_waitcnt vmcnt(0) lgkmcnt(0)
	v_mul_f64 v[125:126], v[125:126], v[159:160]
	s_cbranch_execz .LBB125_32
	s_branch .LBB125_33
.LBB125_31:
                                        ; implicit-def: $vgpr125_vgpr126
.LBB125_32:
	ds_load_b64 v[125:126], v128
.LBB125_33:
	s_and_saveexec_b32 s4, s0
	s_cbranch_execz .LBB125_37
; %bb.34:
	v_subrev_nc_u32_e32 v159, 58, v0
	s_movk_i32 s5, 0x3c0
	s_mov_b32 s0, 0
.LBB125_35:                             ; =>This Inner Loop Header: Depth=1
	scratch_load_b64 v[160:161], v158, off
	v_dual_mov_b32 v162, s5 :: v_dual_add_nc_u32 v159, -1, v159
	v_add_nc_u32_e32 v158, 8, v158
	s_add_i32 s5, s5, 8
	ds_load_b64 v[162:163], v162
	v_cmp_eq_u32_e32 vcc_lo, 0, v159
	s_or_b32 s0, vcc_lo, s0
	s_waitcnt vmcnt(0) lgkmcnt(0)
	v_fma_f64 v[125:126], v[160:161], v[162:163], v[125:126]
	s_and_not1_b32 exec_lo, exec_lo, s0
	s_cbranch_execnz .LBB125_35
; %bb.36:
	s_or_b32 exec_lo, exec_lo, s0
.LBB125_37:
	s_delay_alu instid0(SALU_CYCLE_1)
	s_or_b32 exec_lo, exec_lo, s4
	v_mov_b32_e32 v158, 0
	ds_load_b64 v[158:159], v158 offset:456
	s_waitcnt lgkmcnt(0)
	v_mul_f64 v[125:126], v[125:126], v[158:159]
	scratch_store_b64 off, v[125:126], off offset:456
.LBB125_38:
	s_or_b32 exec_lo, exec_lo, s3
	scratch_load_b64 v[125:126], off, off offset:448
	v_cmp_lt_u32_e64 s0, 56, v0
	s_waitcnt vmcnt(0)
	ds_store_b64 v128, v[125:126]
	s_waitcnt lgkmcnt(0)
	s_waitcnt_vscnt null, 0x0
	s_barrier
	buffer_gl0_inv
	s_and_saveexec_b32 s3, s0
	s_cbranch_execz .LBB125_48
; %bb.39:
	s_and_not1_b32 vcc_lo, exec_lo, s2
	s_cbranch_vccnz .LBB125_41
; %bb.40:
	scratch_load_b64 v[125:126], v129, off
	ds_load_b64 v[158:159], v128
	s_waitcnt vmcnt(0) lgkmcnt(0)
	v_mul_f64 v[125:126], v[125:126], v[158:159]
	s_cbranch_execz .LBB125_42
	s_branch .LBB125_43
.LBB125_41:
                                        ; implicit-def: $vgpr125_vgpr126
.LBB125_42:
	ds_load_b64 v[125:126], v128
.LBB125_43:
	s_and_saveexec_b32 s4, s1
	s_cbranch_execz .LBB125_47
; %bb.44:
	v_mov_b32_e32 v158, 0
	v_subrev_nc_u32_e32 v159, 57, v0
	s_movk_i32 s5, 0x3b8
	s_mov_b32 s1, 0
	s_delay_alu instid0(VALU_DEP_2)
	v_add_nc_u32_e32 v158, 0x1c8, v158
.LBB125_45:                             ; =>This Inner Loop Header: Depth=1
	scratch_load_b64 v[160:161], v158, off
	v_dual_mov_b32 v162, s5 :: v_dual_add_nc_u32 v159, -1, v159
	v_add_nc_u32_e32 v158, 8, v158
	s_add_i32 s5, s5, 8
	ds_load_b64 v[162:163], v162
	v_cmp_eq_u32_e32 vcc_lo, 0, v159
	s_or_b32 s1, vcc_lo, s1
	s_waitcnt vmcnt(0) lgkmcnt(0)
	v_fma_f64 v[125:126], v[160:161], v[162:163], v[125:126]
	s_and_not1_b32 exec_lo, exec_lo, s1
	s_cbranch_execnz .LBB125_45
; %bb.46:
	s_or_b32 exec_lo, exec_lo, s1
.LBB125_47:
	s_delay_alu instid0(SALU_CYCLE_1)
	s_or_b32 exec_lo, exec_lo, s4
	v_mov_b32_e32 v158, 0
	ds_load_b64 v[158:159], v158 offset:448
	s_waitcnt lgkmcnt(0)
	v_mul_f64 v[125:126], v[125:126], v[158:159]
	scratch_store_b64 off, v[125:126], off offset:448
.LBB125_48:
	s_or_b32 exec_lo, exec_lo, s3
	scratch_load_b64 v[125:126], off, off offset:440
	v_cmp_lt_u32_e64 s1, 55, v0
	s_waitcnt vmcnt(0)
	ds_store_b64 v128, v[125:126]
	s_waitcnt lgkmcnt(0)
	s_waitcnt_vscnt null, 0x0
	s_barrier
	buffer_gl0_inv
	s_and_saveexec_b32 s3, s1
	s_cbranch_execz .LBB125_58
; %bb.49:
	s_and_not1_b32 vcc_lo, exec_lo, s2
	s_cbranch_vccnz .LBB125_51
; %bb.50:
	scratch_load_b64 v[125:126], v129, off
	ds_load_b64 v[158:159], v128
	s_waitcnt vmcnt(0) lgkmcnt(0)
	v_mul_f64 v[125:126], v[125:126], v[158:159]
	s_cbranch_execz .LBB125_52
	s_branch .LBB125_53
.LBB125_51:
                                        ; implicit-def: $vgpr125_vgpr126
.LBB125_52:
	ds_load_b64 v[125:126], v128
.LBB125_53:
	s_and_saveexec_b32 s4, s0
	s_cbranch_execz .LBB125_57
; %bb.54:
	v_subrev_nc_u32_e32 v158, 56, v0
	s_movk_i32 s5, 0x3b0
	s_mov_b32 s0, 0
.LBB125_55:                             ; =>This Inner Loop Header: Depth=1
	scratch_load_b64 v[159:160], v157, off
	v_dual_mov_b32 v161, s5 :: v_dual_add_nc_u32 v158, -1, v158
	v_add_nc_u32_e32 v157, 8, v157
	s_add_i32 s5, s5, 8
	ds_load_b64 v[161:162], v161
	v_cmp_eq_u32_e32 vcc_lo, 0, v158
	s_or_b32 s0, vcc_lo, s0
	s_waitcnt vmcnt(0) lgkmcnt(0)
	v_fma_f64 v[125:126], v[159:160], v[161:162], v[125:126]
	s_and_not1_b32 exec_lo, exec_lo, s0
	s_cbranch_execnz .LBB125_55
; %bb.56:
	s_or_b32 exec_lo, exec_lo, s0
.LBB125_57:
	s_delay_alu instid0(SALU_CYCLE_1)
	s_or_b32 exec_lo, exec_lo, s4
	v_mov_b32_e32 v157, 0
	ds_load_b64 v[157:158], v157 offset:440
	s_waitcnt lgkmcnt(0)
	v_mul_f64 v[125:126], v[125:126], v[157:158]
	scratch_store_b64 off, v[125:126], off offset:440
.LBB125_58:
	s_or_b32 exec_lo, exec_lo, s3
	scratch_load_b64 v[125:126], off, off offset:432
	v_cmp_lt_u32_e64 s0, 54, v0
	s_waitcnt vmcnt(0)
	ds_store_b64 v128, v[125:126]
	s_waitcnt lgkmcnt(0)
	s_waitcnt_vscnt null, 0x0
	s_barrier
	buffer_gl0_inv
	s_and_saveexec_b32 s3, s0
	s_cbranch_execz .LBB125_68
; %bb.59:
	s_and_not1_b32 vcc_lo, exec_lo, s2
	s_cbranch_vccnz .LBB125_61
; %bb.60:
	scratch_load_b64 v[125:126], v129, off
	ds_load_b64 v[157:158], v128
	s_waitcnt vmcnt(0) lgkmcnt(0)
	v_mul_f64 v[125:126], v[125:126], v[157:158]
	s_cbranch_execz .LBB125_62
	s_branch .LBB125_63
.LBB125_61:
                                        ; implicit-def: $vgpr125_vgpr126
.LBB125_62:
	ds_load_b64 v[125:126], v128
.LBB125_63:
	s_and_saveexec_b32 s4, s1
	s_cbranch_execz .LBB125_67
; %bb.64:
	v_mov_b32_e32 v157, 0
	v_subrev_nc_u32_e32 v158, 55, v0
	s_movk_i32 s5, 0x3a8
	s_mov_b32 s1, 0
	s_delay_alu instid0(VALU_DEP_2)
	v_add_nc_u32_e32 v157, 0x1b8, v157
.LBB125_65:                             ; =>This Inner Loop Header: Depth=1
	scratch_load_b64 v[159:160], v157, off
	v_dual_mov_b32 v161, s5 :: v_dual_add_nc_u32 v158, -1, v158
	v_add_nc_u32_e32 v157, 8, v157
	s_add_i32 s5, s5, 8
	ds_load_b64 v[161:162], v161
	v_cmp_eq_u32_e32 vcc_lo, 0, v158
	s_or_b32 s1, vcc_lo, s1
	s_waitcnt vmcnt(0) lgkmcnt(0)
	v_fma_f64 v[125:126], v[159:160], v[161:162], v[125:126]
	s_and_not1_b32 exec_lo, exec_lo, s1
	s_cbranch_execnz .LBB125_65
; %bb.66:
	s_or_b32 exec_lo, exec_lo, s1
.LBB125_67:
	s_delay_alu instid0(SALU_CYCLE_1)
	s_or_b32 exec_lo, exec_lo, s4
	v_mov_b32_e32 v157, 0
	ds_load_b64 v[157:158], v157 offset:432
	s_waitcnt lgkmcnt(0)
	v_mul_f64 v[125:126], v[125:126], v[157:158]
	scratch_store_b64 off, v[125:126], off offset:432
.LBB125_68:
	s_or_b32 exec_lo, exec_lo, s3
	scratch_load_b64 v[125:126], off, off offset:424
	v_cmp_lt_u32_e64 s1, 53, v0
	s_waitcnt vmcnt(0)
	ds_store_b64 v128, v[125:126]
	s_waitcnt lgkmcnt(0)
	s_waitcnt_vscnt null, 0x0
	s_barrier
	buffer_gl0_inv
	s_and_saveexec_b32 s3, s1
	s_cbranch_execz .LBB125_78
; %bb.69:
	s_and_not1_b32 vcc_lo, exec_lo, s2
	s_cbranch_vccnz .LBB125_71
; %bb.70:
	scratch_load_b64 v[125:126], v129, off
	ds_load_b64 v[157:158], v128
	s_waitcnt vmcnt(0) lgkmcnt(0)
	v_mul_f64 v[125:126], v[125:126], v[157:158]
	s_cbranch_execz .LBB125_72
	s_branch .LBB125_73
.LBB125_71:
                                        ; implicit-def: $vgpr125_vgpr126
.LBB125_72:
	ds_load_b64 v[125:126], v128
.LBB125_73:
	s_and_saveexec_b32 s4, s0
	s_cbranch_execz .LBB125_77
; %bb.74:
	v_subrev_nc_u32_e32 v157, 54, v0
	s_movk_i32 s5, 0x3a0
	s_mov_b32 s0, 0
.LBB125_75:                             ; =>This Inner Loop Header: Depth=1
	scratch_load_b64 v[158:159], v156, off
	v_dual_mov_b32 v160, s5 :: v_dual_add_nc_u32 v157, -1, v157
	v_add_nc_u32_e32 v156, 8, v156
	s_add_i32 s5, s5, 8
	ds_load_b64 v[160:161], v160
	v_cmp_eq_u32_e32 vcc_lo, 0, v157
	s_or_b32 s0, vcc_lo, s0
	s_waitcnt vmcnt(0) lgkmcnt(0)
	v_fma_f64 v[125:126], v[158:159], v[160:161], v[125:126]
	s_and_not1_b32 exec_lo, exec_lo, s0
	s_cbranch_execnz .LBB125_75
; %bb.76:
	s_or_b32 exec_lo, exec_lo, s0
.LBB125_77:
	s_delay_alu instid0(SALU_CYCLE_1)
	s_or_b32 exec_lo, exec_lo, s4
	v_mov_b32_e32 v156, 0
	ds_load_b64 v[156:157], v156 offset:424
	s_waitcnt lgkmcnt(0)
	v_mul_f64 v[125:126], v[125:126], v[156:157]
	scratch_store_b64 off, v[125:126], off offset:424
.LBB125_78:
	s_or_b32 exec_lo, exec_lo, s3
	scratch_load_b64 v[125:126], off, off offset:416
	v_cmp_lt_u32_e64 s0, 52, v0
	s_waitcnt vmcnt(0)
	ds_store_b64 v128, v[125:126]
	s_waitcnt lgkmcnt(0)
	s_waitcnt_vscnt null, 0x0
	s_barrier
	buffer_gl0_inv
	s_and_saveexec_b32 s3, s0
	s_cbranch_execz .LBB125_88
; %bb.79:
	s_and_not1_b32 vcc_lo, exec_lo, s2
	s_cbranch_vccnz .LBB125_81
; %bb.80:
	scratch_load_b64 v[125:126], v129, off
	ds_load_b64 v[156:157], v128
	s_waitcnt vmcnt(0) lgkmcnt(0)
	v_mul_f64 v[125:126], v[125:126], v[156:157]
	s_cbranch_execz .LBB125_82
	s_branch .LBB125_83
.LBB125_81:
                                        ; implicit-def: $vgpr125_vgpr126
.LBB125_82:
	ds_load_b64 v[125:126], v128
.LBB125_83:
	s_and_saveexec_b32 s4, s1
	s_cbranch_execz .LBB125_87
; %bb.84:
	v_mov_b32_e32 v156, 0
	v_subrev_nc_u32_e32 v157, 53, v0
	s_movk_i32 s5, 0x398
	s_mov_b32 s1, 0
	s_delay_alu instid0(VALU_DEP_2)
	v_add_nc_u32_e32 v156, 0x1a8, v156
.LBB125_85:                             ; =>This Inner Loop Header: Depth=1
	scratch_load_b64 v[158:159], v156, off
	v_dual_mov_b32 v160, s5 :: v_dual_add_nc_u32 v157, -1, v157
	v_add_nc_u32_e32 v156, 8, v156
	s_add_i32 s5, s5, 8
	ds_load_b64 v[160:161], v160
	v_cmp_eq_u32_e32 vcc_lo, 0, v157
	s_or_b32 s1, vcc_lo, s1
	s_waitcnt vmcnt(0) lgkmcnt(0)
	v_fma_f64 v[125:126], v[158:159], v[160:161], v[125:126]
	s_and_not1_b32 exec_lo, exec_lo, s1
	s_cbranch_execnz .LBB125_85
; %bb.86:
	s_or_b32 exec_lo, exec_lo, s1
.LBB125_87:
	s_delay_alu instid0(SALU_CYCLE_1)
	s_or_b32 exec_lo, exec_lo, s4
	v_mov_b32_e32 v156, 0
	ds_load_b64 v[156:157], v156 offset:416
	s_waitcnt lgkmcnt(0)
	v_mul_f64 v[125:126], v[125:126], v[156:157]
	scratch_store_b64 off, v[125:126], off offset:416
.LBB125_88:
	s_or_b32 exec_lo, exec_lo, s3
	scratch_load_b64 v[125:126], off, off offset:408
	v_cmp_lt_u32_e64 s1, 51, v0
	s_waitcnt vmcnt(0)
	ds_store_b64 v128, v[125:126]
	s_waitcnt lgkmcnt(0)
	s_waitcnt_vscnt null, 0x0
	s_barrier
	buffer_gl0_inv
	s_and_saveexec_b32 s3, s1
	s_cbranch_execz .LBB125_98
; %bb.89:
	s_and_not1_b32 vcc_lo, exec_lo, s2
	s_cbranch_vccnz .LBB125_91
; %bb.90:
	scratch_load_b64 v[125:126], v129, off
	ds_load_b64 v[156:157], v128
	s_waitcnt vmcnt(0) lgkmcnt(0)
	v_mul_f64 v[125:126], v[125:126], v[156:157]
	s_cbranch_execz .LBB125_92
	s_branch .LBB125_93
.LBB125_91:
                                        ; implicit-def: $vgpr125_vgpr126
.LBB125_92:
	ds_load_b64 v[125:126], v128
.LBB125_93:
	s_and_saveexec_b32 s4, s0
	s_cbranch_execz .LBB125_97
; %bb.94:
	v_subrev_nc_u32_e32 v156, 52, v0
	s_movk_i32 s5, 0x390
	s_mov_b32 s0, 0
.LBB125_95:                             ; =>This Inner Loop Header: Depth=1
	scratch_load_b64 v[157:158], v155, off
	v_dual_mov_b32 v159, s5 :: v_dual_add_nc_u32 v156, -1, v156
	v_add_nc_u32_e32 v155, 8, v155
	s_add_i32 s5, s5, 8
	ds_load_b64 v[159:160], v159
	v_cmp_eq_u32_e32 vcc_lo, 0, v156
	s_or_b32 s0, vcc_lo, s0
	s_waitcnt vmcnt(0) lgkmcnt(0)
	v_fma_f64 v[125:126], v[157:158], v[159:160], v[125:126]
	s_and_not1_b32 exec_lo, exec_lo, s0
	s_cbranch_execnz .LBB125_95
; %bb.96:
	s_or_b32 exec_lo, exec_lo, s0
.LBB125_97:
	s_delay_alu instid0(SALU_CYCLE_1)
	s_or_b32 exec_lo, exec_lo, s4
	v_mov_b32_e32 v155, 0
	ds_load_b64 v[155:156], v155 offset:408
	s_waitcnt lgkmcnt(0)
	v_mul_f64 v[125:126], v[125:126], v[155:156]
	scratch_store_b64 off, v[125:126], off offset:408
.LBB125_98:
	s_or_b32 exec_lo, exec_lo, s3
	scratch_load_b64 v[125:126], off, off offset:400
	v_cmp_lt_u32_e64 s0, 50, v0
	s_waitcnt vmcnt(0)
	ds_store_b64 v128, v[125:126]
	s_waitcnt lgkmcnt(0)
	s_waitcnt_vscnt null, 0x0
	s_barrier
	buffer_gl0_inv
	s_and_saveexec_b32 s3, s0
	s_cbranch_execz .LBB125_108
; %bb.99:
	s_and_not1_b32 vcc_lo, exec_lo, s2
	s_cbranch_vccnz .LBB125_101
; %bb.100:
	scratch_load_b64 v[125:126], v129, off
	ds_load_b64 v[155:156], v128
	s_waitcnt vmcnt(0) lgkmcnt(0)
	v_mul_f64 v[125:126], v[125:126], v[155:156]
	s_cbranch_execz .LBB125_102
	s_branch .LBB125_103
.LBB125_101:
                                        ; implicit-def: $vgpr125_vgpr126
.LBB125_102:
	ds_load_b64 v[125:126], v128
.LBB125_103:
	s_and_saveexec_b32 s4, s1
	s_cbranch_execz .LBB125_107
; %bb.104:
	v_mov_b32_e32 v155, 0
	v_subrev_nc_u32_e32 v156, 51, v0
	s_movk_i32 s5, 0x388
	s_mov_b32 s1, 0
	s_delay_alu instid0(VALU_DEP_2)
	v_add_nc_u32_e32 v155, 0x198, v155
.LBB125_105:                            ; =>This Inner Loop Header: Depth=1
	scratch_load_b64 v[157:158], v155, off
	v_dual_mov_b32 v159, s5 :: v_dual_add_nc_u32 v156, -1, v156
	v_add_nc_u32_e32 v155, 8, v155
	s_add_i32 s5, s5, 8
	ds_load_b64 v[159:160], v159
	v_cmp_eq_u32_e32 vcc_lo, 0, v156
	s_or_b32 s1, vcc_lo, s1
	s_waitcnt vmcnt(0) lgkmcnt(0)
	v_fma_f64 v[125:126], v[157:158], v[159:160], v[125:126]
	s_and_not1_b32 exec_lo, exec_lo, s1
	s_cbranch_execnz .LBB125_105
; %bb.106:
	s_or_b32 exec_lo, exec_lo, s1
.LBB125_107:
	s_delay_alu instid0(SALU_CYCLE_1)
	s_or_b32 exec_lo, exec_lo, s4
	v_mov_b32_e32 v155, 0
	ds_load_b64 v[155:156], v155 offset:400
	s_waitcnt lgkmcnt(0)
	v_mul_f64 v[125:126], v[125:126], v[155:156]
	scratch_store_b64 off, v[125:126], off offset:400
.LBB125_108:
	s_or_b32 exec_lo, exec_lo, s3
	scratch_load_b64 v[125:126], off, off offset:392
	v_cmp_lt_u32_e64 s1, 49, v0
	s_waitcnt vmcnt(0)
	ds_store_b64 v128, v[125:126]
	s_waitcnt lgkmcnt(0)
	s_waitcnt_vscnt null, 0x0
	s_barrier
	buffer_gl0_inv
	s_and_saveexec_b32 s3, s1
	s_cbranch_execz .LBB125_118
; %bb.109:
	s_and_not1_b32 vcc_lo, exec_lo, s2
	s_cbranch_vccnz .LBB125_111
; %bb.110:
	scratch_load_b64 v[125:126], v129, off
	ds_load_b64 v[155:156], v128
	s_waitcnt vmcnt(0) lgkmcnt(0)
	v_mul_f64 v[125:126], v[125:126], v[155:156]
	s_cbranch_execz .LBB125_112
	s_branch .LBB125_113
.LBB125_111:
                                        ; implicit-def: $vgpr125_vgpr126
.LBB125_112:
	ds_load_b64 v[125:126], v128
.LBB125_113:
	s_and_saveexec_b32 s4, s0
	s_cbranch_execz .LBB125_117
; %bb.114:
	v_subrev_nc_u32_e32 v155, 50, v0
	s_movk_i32 s5, 0x380
	s_mov_b32 s0, 0
.LBB125_115:                            ; =>This Inner Loop Header: Depth=1
	scratch_load_b64 v[156:157], v154, off
	v_dual_mov_b32 v158, s5 :: v_dual_add_nc_u32 v155, -1, v155
	v_add_nc_u32_e32 v154, 8, v154
	s_add_i32 s5, s5, 8
	ds_load_b64 v[158:159], v158
	v_cmp_eq_u32_e32 vcc_lo, 0, v155
	s_or_b32 s0, vcc_lo, s0
	s_waitcnt vmcnt(0) lgkmcnt(0)
	v_fma_f64 v[125:126], v[156:157], v[158:159], v[125:126]
	s_and_not1_b32 exec_lo, exec_lo, s0
	s_cbranch_execnz .LBB125_115
; %bb.116:
	s_or_b32 exec_lo, exec_lo, s0
.LBB125_117:
	s_delay_alu instid0(SALU_CYCLE_1)
	s_or_b32 exec_lo, exec_lo, s4
	v_mov_b32_e32 v154, 0
	ds_load_b64 v[154:155], v154 offset:392
	s_waitcnt lgkmcnt(0)
	v_mul_f64 v[125:126], v[125:126], v[154:155]
	scratch_store_b64 off, v[125:126], off offset:392
.LBB125_118:
	s_or_b32 exec_lo, exec_lo, s3
	scratch_load_b64 v[125:126], off, off offset:384
	v_cmp_lt_u32_e64 s0, 48, v0
	s_waitcnt vmcnt(0)
	ds_store_b64 v128, v[125:126]
	s_waitcnt lgkmcnt(0)
	s_waitcnt_vscnt null, 0x0
	s_barrier
	buffer_gl0_inv
	s_and_saveexec_b32 s3, s0
	s_cbranch_execz .LBB125_128
; %bb.119:
	s_and_not1_b32 vcc_lo, exec_lo, s2
	s_cbranch_vccnz .LBB125_121
; %bb.120:
	scratch_load_b64 v[125:126], v129, off
	ds_load_b64 v[154:155], v128
	s_waitcnt vmcnt(0) lgkmcnt(0)
	v_mul_f64 v[125:126], v[125:126], v[154:155]
	s_cbranch_execz .LBB125_122
	s_branch .LBB125_123
.LBB125_121:
                                        ; implicit-def: $vgpr125_vgpr126
.LBB125_122:
	ds_load_b64 v[125:126], v128
.LBB125_123:
	s_and_saveexec_b32 s4, s1
	s_cbranch_execz .LBB125_127
; %bb.124:
	v_mov_b32_e32 v154, 0
	v_subrev_nc_u32_e32 v155, 49, v0
	s_movk_i32 s5, 0x378
	s_mov_b32 s1, 0
	s_delay_alu instid0(VALU_DEP_2)
	v_add_nc_u32_e32 v154, 0x188, v154
.LBB125_125:                            ; =>This Inner Loop Header: Depth=1
	scratch_load_b64 v[156:157], v154, off
	v_dual_mov_b32 v158, s5 :: v_dual_add_nc_u32 v155, -1, v155
	v_add_nc_u32_e32 v154, 8, v154
	s_add_i32 s5, s5, 8
	ds_load_b64 v[158:159], v158
	v_cmp_eq_u32_e32 vcc_lo, 0, v155
	s_or_b32 s1, vcc_lo, s1
	s_waitcnt vmcnt(0) lgkmcnt(0)
	v_fma_f64 v[125:126], v[156:157], v[158:159], v[125:126]
	s_and_not1_b32 exec_lo, exec_lo, s1
	s_cbranch_execnz .LBB125_125
; %bb.126:
	s_or_b32 exec_lo, exec_lo, s1
.LBB125_127:
	s_delay_alu instid0(SALU_CYCLE_1)
	s_or_b32 exec_lo, exec_lo, s4
	v_mov_b32_e32 v154, 0
	ds_load_b64 v[154:155], v154 offset:384
	s_waitcnt lgkmcnt(0)
	v_mul_f64 v[125:126], v[125:126], v[154:155]
	scratch_store_b64 off, v[125:126], off offset:384
.LBB125_128:
	s_or_b32 exec_lo, exec_lo, s3
	scratch_load_b64 v[125:126], off, off offset:376
	v_cmp_lt_u32_e64 s1, 47, v0
	s_waitcnt vmcnt(0)
	ds_store_b64 v128, v[125:126]
	s_waitcnt lgkmcnt(0)
	s_waitcnt_vscnt null, 0x0
	s_barrier
	buffer_gl0_inv
	s_and_saveexec_b32 s3, s1
	s_cbranch_execz .LBB125_138
; %bb.129:
	s_and_not1_b32 vcc_lo, exec_lo, s2
	s_cbranch_vccnz .LBB125_131
; %bb.130:
	scratch_load_b64 v[125:126], v129, off
	ds_load_b64 v[154:155], v128
	s_waitcnt vmcnt(0) lgkmcnt(0)
	v_mul_f64 v[125:126], v[125:126], v[154:155]
	s_cbranch_execz .LBB125_132
	s_branch .LBB125_133
.LBB125_131:
                                        ; implicit-def: $vgpr125_vgpr126
.LBB125_132:
	ds_load_b64 v[125:126], v128
.LBB125_133:
	s_and_saveexec_b32 s4, s0
	s_cbranch_execz .LBB125_137
; %bb.134:
	v_subrev_nc_u32_e32 v154, 48, v0
	s_movk_i32 s5, 0x370
	s_mov_b32 s0, 0
.LBB125_135:                            ; =>This Inner Loop Header: Depth=1
	scratch_load_b64 v[155:156], v153, off
	v_dual_mov_b32 v157, s5 :: v_dual_add_nc_u32 v154, -1, v154
	v_add_nc_u32_e32 v153, 8, v153
	s_add_i32 s5, s5, 8
	ds_load_b64 v[157:158], v157
	v_cmp_eq_u32_e32 vcc_lo, 0, v154
	s_or_b32 s0, vcc_lo, s0
	s_waitcnt vmcnt(0) lgkmcnt(0)
	v_fma_f64 v[125:126], v[155:156], v[157:158], v[125:126]
	s_and_not1_b32 exec_lo, exec_lo, s0
	s_cbranch_execnz .LBB125_135
; %bb.136:
	s_or_b32 exec_lo, exec_lo, s0
.LBB125_137:
	s_delay_alu instid0(SALU_CYCLE_1)
	s_or_b32 exec_lo, exec_lo, s4
	v_mov_b32_e32 v153, 0
	ds_load_b64 v[153:154], v153 offset:376
	s_waitcnt lgkmcnt(0)
	v_mul_f64 v[125:126], v[125:126], v[153:154]
	scratch_store_b64 off, v[125:126], off offset:376
.LBB125_138:
	s_or_b32 exec_lo, exec_lo, s3
	scratch_load_b64 v[125:126], off, off offset:368
	v_cmp_lt_u32_e64 s0, 46, v0
	s_waitcnt vmcnt(0)
	ds_store_b64 v128, v[125:126]
	s_waitcnt lgkmcnt(0)
	s_waitcnt_vscnt null, 0x0
	s_barrier
	buffer_gl0_inv
	s_and_saveexec_b32 s3, s0
	s_cbranch_execz .LBB125_148
; %bb.139:
	s_and_not1_b32 vcc_lo, exec_lo, s2
	s_cbranch_vccnz .LBB125_141
; %bb.140:
	scratch_load_b64 v[125:126], v129, off
	ds_load_b64 v[153:154], v128
	s_waitcnt vmcnt(0) lgkmcnt(0)
	v_mul_f64 v[125:126], v[125:126], v[153:154]
	s_cbranch_execz .LBB125_142
	s_branch .LBB125_143
.LBB125_141:
                                        ; implicit-def: $vgpr125_vgpr126
.LBB125_142:
	ds_load_b64 v[125:126], v128
.LBB125_143:
	s_and_saveexec_b32 s4, s1
	s_cbranch_execz .LBB125_147
; %bb.144:
	v_mov_b32_e32 v153, 0
	v_subrev_nc_u32_e32 v154, 47, v0
	s_movk_i32 s5, 0x368
	s_mov_b32 s1, 0
	s_delay_alu instid0(VALU_DEP_2)
	v_add_nc_u32_e32 v153, 0x178, v153
.LBB125_145:                            ; =>This Inner Loop Header: Depth=1
	scratch_load_b64 v[155:156], v153, off
	v_dual_mov_b32 v157, s5 :: v_dual_add_nc_u32 v154, -1, v154
	v_add_nc_u32_e32 v153, 8, v153
	s_add_i32 s5, s5, 8
	ds_load_b64 v[157:158], v157
	v_cmp_eq_u32_e32 vcc_lo, 0, v154
	s_or_b32 s1, vcc_lo, s1
	s_waitcnt vmcnt(0) lgkmcnt(0)
	v_fma_f64 v[125:126], v[155:156], v[157:158], v[125:126]
	s_and_not1_b32 exec_lo, exec_lo, s1
	s_cbranch_execnz .LBB125_145
; %bb.146:
	s_or_b32 exec_lo, exec_lo, s1
.LBB125_147:
	s_delay_alu instid0(SALU_CYCLE_1)
	s_or_b32 exec_lo, exec_lo, s4
	v_mov_b32_e32 v153, 0
	ds_load_b64 v[153:154], v153 offset:368
	s_waitcnt lgkmcnt(0)
	v_mul_f64 v[125:126], v[125:126], v[153:154]
	scratch_store_b64 off, v[125:126], off offset:368
.LBB125_148:
	s_or_b32 exec_lo, exec_lo, s3
	scratch_load_b64 v[125:126], off, off offset:360
	v_cmp_lt_u32_e64 s1, 45, v0
	s_waitcnt vmcnt(0)
	ds_store_b64 v128, v[125:126]
	s_waitcnt lgkmcnt(0)
	s_waitcnt_vscnt null, 0x0
	s_barrier
	buffer_gl0_inv
	s_and_saveexec_b32 s3, s1
	s_cbranch_execz .LBB125_158
; %bb.149:
	s_and_not1_b32 vcc_lo, exec_lo, s2
	s_cbranch_vccnz .LBB125_151
; %bb.150:
	scratch_load_b64 v[125:126], v129, off
	ds_load_b64 v[153:154], v128
	s_waitcnt vmcnt(0) lgkmcnt(0)
	v_mul_f64 v[125:126], v[125:126], v[153:154]
	s_cbranch_execz .LBB125_152
	s_branch .LBB125_153
.LBB125_151:
                                        ; implicit-def: $vgpr125_vgpr126
.LBB125_152:
	ds_load_b64 v[125:126], v128
.LBB125_153:
	s_and_saveexec_b32 s4, s0
	s_cbranch_execz .LBB125_157
; %bb.154:
	v_subrev_nc_u32_e32 v153, 46, v0
	s_movk_i32 s5, 0x360
	s_mov_b32 s0, 0
.LBB125_155:                            ; =>This Inner Loop Header: Depth=1
	scratch_load_b64 v[154:155], v152, off
	v_dual_mov_b32 v156, s5 :: v_dual_add_nc_u32 v153, -1, v153
	v_add_nc_u32_e32 v152, 8, v152
	s_add_i32 s5, s5, 8
	ds_load_b64 v[156:157], v156
	v_cmp_eq_u32_e32 vcc_lo, 0, v153
	s_or_b32 s0, vcc_lo, s0
	s_waitcnt vmcnt(0) lgkmcnt(0)
	v_fma_f64 v[125:126], v[154:155], v[156:157], v[125:126]
	s_and_not1_b32 exec_lo, exec_lo, s0
	s_cbranch_execnz .LBB125_155
; %bb.156:
	s_or_b32 exec_lo, exec_lo, s0
.LBB125_157:
	s_delay_alu instid0(SALU_CYCLE_1)
	s_or_b32 exec_lo, exec_lo, s4
	v_mov_b32_e32 v152, 0
	ds_load_b64 v[152:153], v152 offset:360
	s_waitcnt lgkmcnt(0)
	v_mul_f64 v[125:126], v[125:126], v[152:153]
	scratch_store_b64 off, v[125:126], off offset:360
.LBB125_158:
	s_or_b32 exec_lo, exec_lo, s3
	scratch_load_b64 v[125:126], off, off offset:352
	v_cmp_lt_u32_e64 s0, 44, v0
	s_waitcnt vmcnt(0)
	ds_store_b64 v128, v[125:126]
	s_waitcnt lgkmcnt(0)
	s_waitcnt_vscnt null, 0x0
	s_barrier
	buffer_gl0_inv
	s_and_saveexec_b32 s3, s0
	s_cbranch_execz .LBB125_168
; %bb.159:
	s_and_not1_b32 vcc_lo, exec_lo, s2
	s_cbranch_vccnz .LBB125_161
; %bb.160:
	scratch_load_b64 v[125:126], v129, off
	ds_load_b64 v[152:153], v128
	s_waitcnt vmcnt(0) lgkmcnt(0)
	v_mul_f64 v[125:126], v[125:126], v[152:153]
	s_cbranch_execz .LBB125_162
	s_branch .LBB125_163
.LBB125_161:
                                        ; implicit-def: $vgpr125_vgpr126
.LBB125_162:
	ds_load_b64 v[125:126], v128
.LBB125_163:
	s_and_saveexec_b32 s4, s1
	s_cbranch_execz .LBB125_167
; %bb.164:
	v_mov_b32_e32 v152, 0
	v_subrev_nc_u32_e32 v153, 45, v0
	s_movk_i32 s5, 0x358
	s_mov_b32 s1, 0
	s_delay_alu instid0(VALU_DEP_2)
	v_add_nc_u32_e32 v152, 0x168, v152
.LBB125_165:                            ; =>This Inner Loop Header: Depth=1
	scratch_load_b64 v[154:155], v152, off
	v_dual_mov_b32 v156, s5 :: v_dual_add_nc_u32 v153, -1, v153
	v_add_nc_u32_e32 v152, 8, v152
	s_add_i32 s5, s5, 8
	ds_load_b64 v[156:157], v156
	v_cmp_eq_u32_e32 vcc_lo, 0, v153
	s_or_b32 s1, vcc_lo, s1
	s_waitcnt vmcnt(0) lgkmcnt(0)
	v_fma_f64 v[125:126], v[154:155], v[156:157], v[125:126]
	s_and_not1_b32 exec_lo, exec_lo, s1
	s_cbranch_execnz .LBB125_165
; %bb.166:
	s_or_b32 exec_lo, exec_lo, s1
.LBB125_167:
	s_delay_alu instid0(SALU_CYCLE_1)
	s_or_b32 exec_lo, exec_lo, s4
	v_mov_b32_e32 v152, 0
	ds_load_b64 v[152:153], v152 offset:352
	s_waitcnt lgkmcnt(0)
	v_mul_f64 v[125:126], v[125:126], v[152:153]
	scratch_store_b64 off, v[125:126], off offset:352
.LBB125_168:
	s_or_b32 exec_lo, exec_lo, s3
	scratch_load_b64 v[125:126], off, off offset:344
	v_cmp_lt_u32_e64 s1, 43, v0
	s_waitcnt vmcnt(0)
	ds_store_b64 v128, v[125:126]
	s_waitcnt lgkmcnt(0)
	s_waitcnt_vscnt null, 0x0
	s_barrier
	buffer_gl0_inv
	s_and_saveexec_b32 s3, s1
	s_cbranch_execz .LBB125_178
; %bb.169:
	s_and_not1_b32 vcc_lo, exec_lo, s2
	s_cbranch_vccnz .LBB125_171
; %bb.170:
	scratch_load_b64 v[125:126], v129, off
	ds_load_b64 v[152:153], v128
	s_waitcnt vmcnt(0) lgkmcnt(0)
	v_mul_f64 v[125:126], v[125:126], v[152:153]
	s_cbranch_execz .LBB125_172
	s_branch .LBB125_173
.LBB125_171:
                                        ; implicit-def: $vgpr125_vgpr126
.LBB125_172:
	ds_load_b64 v[125:126], v128
.LBB125_173:
	s_and_saveexec_b32 s4, s0
	s_cbranch_execz .LBB125_177
; %bb.174:
	v_subrev_nc_u32_e32 v152, 44, v0
	s_movk_i32 s5, 0x350
	s_mov_b32 s0, 0
.LBB125_175:                            ; =>This Inner Loop Header: Depth=1
	scratch_load_b64 v[153:154], v151, off
	v_dual_mov_b32 v155, s5 :: v_dual_add_nc_u32 v152, -1, v152
	v_add_nc_u32_e32 v151, 8, v151
	s_add_i32 s5, s5, 8
	ds_load_b64 v[155:156], v155
	v_cmp_eq_u32_e32 vcc_lo, 0, v152
	s_or_b32 s0, vcc_lo, s0
	s_waitcnt vmcnt(0) lgkmcnt(0)
	v_fma_f64 v[125:126], v[153:154], v[155:156], v[125:126]
	s_and_not1_b32 exec_lo, exec_lo, s0
	s_cbranch_execnz .LBB125_175
; %bb.176:
	s_or_b32 exec_lo, exec_lo, s0
.LBB125_177:
	s_delay_alu instid0(SALU_CYCLE_1)
	s_or_b32 exec_lo, exec_lo, s4
	v_mov_b32_e32 v151, 0
	ds_load_b64 v[151:152], v151 offset:344
	s_waitcnt lgkmcnt(0)
	v_mul_f64 v[125:126], v[125:126], v[151:152]
	scratch_store_b64 off, v[125:126], off offset:344
.LBB125_178:
	s_or_b32 exec_lo, exec_lo, s3
	scratch_load_b64 v[125:126], off, off offset:336
	v_cmp_lt_u32_e64 s0, 42, v0
	s_waitcnt vmcnt(0)
	ds_store_b64 v128, v[125:126]
	s_waitcnt lgkmcnt(0)
	s_waitcnt_vscnt null, 0x0
	s_barrier
	buffer_gl0_inv
	s_and_saveexec_b32 s3, s0
	s_cbranch_execz .LBB125_188
; %bb.179:
	s_and_not1_b32 vcc_lo, exec_lo, s2
	s_cbranch_vccnz .LBB125_181
; %bb.180:
	scratch_load_b64 v[125:126], v129, off
	ds_load_b64 v[151:152], v128
	s_waitcnt vmcnt(0) lgkmcnt(0)
	v_mul_f64 v[125:126], v[125:126], v[151:152]
	s_cbranch_execz .LBB125_182
	s_branch .LBB125_183
.LBB125_181:
                                        ; implicit-def: $vgpr125_vgpr126
.LBB125_182:
	ds_load_b64 v[125:126], v128
.LBB125_183:
	s_and_saveexec_b32 s4, s1
	s_cbranch_execz .LBB125_187
; %bb.184:
	v_mov_b32_e32 v151, 0
	v_subrev_nc_u32_e32 v152, 43, v0
	s_movk_i32 s5, 0x348
	s_mov_b32 s1, 0
	s_delay_alu instid0(VALU_DEP_2)
	v_add_nc_u32_e32 v151, 0x158, v151
.LBB125_185:                            ; =>This Inner Loop Header: Depth=1
	scratch_load_b64 v[153:154], v151, off
	v_dual_mov_b32 v155, s5 :: v_dual_add_nc_u32 v152, -1, v152
	v_add_nc_u32_e32 v151, 8, v151
	s_add_i32 s5, s5, 8
	ds_load_b64 v[155:156], v155
	v_cmp_eq_u32_e32 vcc_lo, 0, v152
	s_or_b32 s1, vcc_lo, s1
	s_waitcnt vmcnt(0) lgkmcnt(0)
	v_fma_f64 v[125:126], v[153:154], v[155:156], v[125:126]
	s_and_not1_b32 exec_lo, exec_lo, s1
	s_cbranch_execnz .LBB125_185
; %bb.186:
	s_or_b32 exec_lo, exec_lo, s1
.LBB125_187:
	s_delay_alu instid0(SALU_CYCLE_1)
	s_or_b32 exec_lo, exec_lo, s4
	v_mov_b32_e32 v151, 0
	ds_load_b64 v[151:152], v151 offset:336
	s_waitcnt lgkmcnt(0)
	v_mul_f64 v[125:126], v[125:126], v[151:152]
	scratch_store_b64 off, v[125:126], off offset:336
.LBB125_188:
	s_or_b32 exec_lo, exec_lo, s3
	scratch_load_b64 v[125:126], off, off offset:328
	v_cmp_lt_u32_e64 s1, 41, v0
	s_waitcnt vmcnt(0)
	ds_store_b64 v128, v[125:126]
	s_waitcnt lgkmcnt(0)
	s_waitcnt_vscnt null, 0x0
	s_barrier
	buffer_gl0_inv
	s_and_saveexec_b32 s3, s1
	s_cbranch_execz .LBB125_198
; %bb.189:
	s_and_not1_b32 vcc_lo, exec_lo, s2
	s_cbranch_vccnz .LBB125_191
; %bb.190:
	scratch_load_b64 v[125:126], v129, off
	ds_load_b64 v[151:152], v128
	s_waitcnt vmcnt(0) lgkmcnt(0)
	v_mul_f64 v[125:126], v[125:126], v[151:152]
	s_cbranch_execz .LBB125_192
	s_branch .LBB125_193
.LBB125_191:
                                        ; implicit-def: $vgpr125_vgpr126
.LBB125_192:
	ds_load_b64 v[125:126], v128
.LBB125_193:
	s_and_saveexec_b32 s4, s0
	s_cbranch_execz .LBB125_197
; %bb.194:
	v_subrev_nc_u32_e32 v151, 42, v0
	s_movk_i32 s5, 0x340
	s_mov_b32 s0, 0
.LBB125_195:                            ; =>This Inner Loop Header: Depth=1
	scratch_load_b64 v[152:153], v150, off
	v_dual_mov_b32 v154, s5 :: v_dual_add_nc_u32 v151, -1, v151
	v_add_nc_u32_e32 v150, 8, v150
	s_add_i32 s5, s5, 8
	ds_load_b64 v[154:155], v154
	v_cmp_eq_u32_e32 vcc_lo, 0, v151
	s_or_b32 s0, vcc_lo, s0
	s_waitcnt vmcnt(0) lgkmcnt(0)
	v_fma_f64 v[125:126], v[152:153], v[154:155], v[125:126]
	s_and_not1_b32 exec_lo, exec_lo, s0
	s_cbranch_execnz .LBB125_195
; %bb.196:
	s_or_b32 exec_lo, exec_lo, s0
.LBB125_197:
	s_delay_alu instid0(SALU_CYCLE_1)
	s_or_b32 exec_lo, exec_lo, s4
	v_mov_b32_e32 v150, 0
	ds_load_b64 v[150:151], v150 offset:328
	s_waitcnt lgkmcnt(0)
	v_mul_f64 v[125:126], v[125:126], v[150:151]
	scratch_store_b64 off, v[125:126], off offset:328
.LBB125_198:
	s_or_b32 exec_lo, exec_lo, s3
	scratch_load_b64 v[125:126], off, off offset:320
	v_cmp_lt_u32_e64 s0, 40, v0
	s_waitcnt vmcnt(0)
	ds_store_b64 v128, v[125:126]
	s_waitcnt lgkmcnt(0)
	s_waitcnt_vscnt null, 0x0
	s_barrier
	buffer_gl0_inv
	s_and_saveexec_b32 s3, s0
	s_cbranch_execz .LBB125_208
; %bb.199:
	s_and_not1_b32 vcc_lo, exec_lo, s2
	s_cbranch_vccnz .LBB125_201
; %bb.200:
	scratch_load_b64 v[125:126], v129, off
	ds_load_b64 v[150:151], v128
	s_waitcnt vmcnt(0) lgkmcnt(0)
	v_mul_f64 v[125:126], v[125:126], v[150:151]
	s_cbranch_execz .LBB125_202
	s_branch .LBB125_203
.LBB125_201:
                                        ; implicit-def: $vgpr125_vgpr126
.LBB125_202:
	ds_load_b64 v[125:126], v128
.LBB125_203:
	s_and_saveexec_b32 s4, s1
	s_cbranch_execz .LBB125_207
; %bb.204:
	v_mov_b32_e32 v150, 0
	v_subrev_nc_u32_e32 v151, 41, v0
	s_movk_i32 s5, 0x338
	s_mov_b32 s1, 0
	s_delay_alu instid0(VALU_DEP_2)
	v_add_nc_u32_e32 v150, 0x148, v150
.LBB125_205:                            ; =>This Inner Loop Header: Depth=1
	scratch_load_b64 v[152:153], v150, off
	v_dual_mov_b32 v154, s5 :: v_dual_add_nc_u32 v151, -1, v151
	v_add_nc_u32_e32 v150, 8, v150
	s_add_i32 s5, s5, 8
	ds_load_b64 v[154:155], v154
	v_cmp_eq_u32_e32 vcc_lo, 0, v151
	s_or_b32 s1, vcc_lo, s1
	s_waitcnt vmcnt(0) lgkmcnt(0)
	v_fma_f64 v[125:126], v[152:153], v[154:155], v[125:126]
	s_and_not1_b32 exec_lo, exec_lo, s1
	s_cbranch_execnz .LBB125_205
; %bb.206:
	s_or_b32 exec_lo, exec_lo, s1
.LBB125_207:
	s_delay_alu instid0(SALU_CYCLE_1)
	s_or_b32 exec_lo, exec_lo, s4
	v_mov_b32_e32 v150, 0
	ds_load_b64 v[150:151], v150 offset:320
	s_waitcnt lgkmcnt(0)
	v_mul_f64 v[125:126], v[125:126], v[150:151]
	scratch_store_b64 off, v[125:126], off offset:320
.LBB125_208:
	s_or_b32 exec_lo, exec_lo, s3
	scratch_load_b64 v[125:126], off, off offset:312
	v_cmp_lt_u32_e64 s1, 39, v0
	s_waitcnt vmcnt(0)
	ds_store_b64 v128, v[125:126]
	s_waitcnt lgkmcnt(0)
	s_waitcnt_vscnt null, 0x0
	s_barrier
	buffer_gl0_inv
	s_and_saveexec_b32 s3, s1
	s_cbranch_execz .LBB125_218
; %bb.209:
	s_and_not1_b32 vcc_lo, exec_lo, s2
	s_cbranch_vccnz .LBB125_211
; %bb.210:
	scratch_load_b64 v[125:126], v129, off
	ds_load_b64 v[150:151], v128
	s_waitcnt vmcnt(0) lgkmcnt(0)
	v_mul_f64 v[125:126], v[125:126], v[150:151]
	s_cbranch_execz .LBB125_212
	s_branch .LBB125_213
.LBB125_211:
                                        ; implicit-def: $vgpr125_vgpr126
.LBB125_212:
	ds_load_b64 v[125:126], v128
.LBB125_213:
	s_and_saveexec_b32 s4, s0
	s_cbranch_execz .LBB125_217
; %bb.214:
	v_subrev_nc_u32_e32 v150, 40, v0
	s_movk_i32 s5, 0x330
	s_mov_b32 s0, 0
.LBB125_215:                            ; =>This Inner Loop Header: Depth=1
	scratch_load_b64 v[151:152], v149, off
	v_dual_mov_b32 v153, s5 :: v_dual_add_nc_u32 v150, -1, v150
	v_add_nc_u32_e32 v149, 8, v149
	s_add_i32 s5, s5, 8
	ds_load_b64 v[153:154], v153
	v_cmp_eq_u32_e32 vcc_lo, 0, v150
	s_or_b32 s0, vcc_lo, s0
	s_waitcnt vmcnt(0) lgkmcnt(0)
	v_fma_f64 v[125:126], v[151:152], v[153:154], v[125:126]
	s_and_not1_b32 exec_lo, exec_lo, s0
	s_cbranch_execnz .LBB125_215
; %bb.216:
	s_or_b32 exec_lo, exec_lo, s0
.LBB125_217:
	s_delay_alu instid0(SALU_CYCLE_1)
	s_or_b32 exec_lo, exec_lo, s4
	v_mov_b32_e32 v149, 0
	ds_load_b64 v[149:150], v149 offset:312
	s_waitcnt lgkmcnt(0)
	v_mul_f64 v[125:126], v[125:126], v[149:150]
	scratch_store_b64 off, v[125:126], off offset:312
.LBB125_218:
	s_or_b32 exec_lo, exec_lo, s3
	scratch_load_b64 v[125:126], off, off offset:304
	v_cmp_lt_u32_e64 s0, 38, v0
	s_waitcnt vmcnt(0)
	ds_store_b64 v128, v[125:126]
	s_waitcnt lgkmcnt(0)
	s_waitcnt_vscnt null, 0x0
	s_barrier
	buffer_gl0_inv
	s_and_saveexec_b32 s3, s0
	s_cbranch_execz .LBB125_228
; %bb.219:
	s_and_not1_b32 vcc_lo, exec_lo, s2
	s_cbranch_vccnz .LBB125_221
; %bb.220:
	scratch_load_b64 v[125:126], v129, off
	ds_load_b64 v[149:150], v128
	s_waitcnt vmcnt(0) lgkmcnt(0)
	v_mul_f64 v[125:126], v[125:126], v[149:150]
	s_cbranch_execz .LBB125_222
	s_branch .LBB125_223
.LBB125_221:
                                        ; implicit-def: $vgpr125_vgpr126
.LBB125_222:
	ds_load_b64 v[125:126], v128
.LBB125_223:
	s_and_saveexec_b32 s4, s1
	s_cbranch_execz .LBB125_227
; %bb.224:
	v_mov_b32_e32 v149, 0
	v_subrev_nc_u32_e32 v150, 39, v0
	s_movk_i32 s5, 0x328
	s_mov_b32 s1, 0
	s_delay_alu instid0(VALU_DEP_2)
	v_add_nc_u32_e32 v149, 0x138, v149
.LBB125_225:                            ; =>This Inner Loop Header: Depth=1
	scratch_load_b64 v[151:152], v149, off
	v_dual_mov_b32 v153, s5 :: v_dual_add_nc_u32 v150, -1, v150
	v_add_nc_u32_e32 v149, 8, v149
	s_add_i32 s5, s5, 8
	ds_load_b64 v[153:154], v153
	v_cmp_eq_u32_e32 vcc_lo, 0, v150
	s_or_b32 s1, vcc_lo, s1
	s_waitcnt vmcnt(0) lgkmcnt(0)
	v_fma_f64 v[125:126], v[151:152], v[153:154], v[125:126]
	s_and_not1_b32 exec_lo, exec_lo, s1
	s_cbranch_execnz .LBB125_225
; %bb.226:
	s_or_b32 exec_lo, exec_lo, s1
.LBB125_227:
	s_delay_alu instid0(SALU_CYCLE_1)
	s_or_b32 exec_lo, exec_lo, s4
	v_mov_b32_e32 v149, 0
	ds_load_b64 v[149:150], v149 offset:304
	s_waitcnt lgkmcnt(0)
	v_mul_f64 v[125:126], v[125:126], v[149:150]
	scratch_store_b64 off, v[125:126], off offset:304
.LBB125_228:
	s_or_b32 exec_lo, exec_lo, s3
	scratch_load_b64 v[125:126], off, off offset:296
	v_cmp_lt_u32_e64 s1, 37, v0
	s_waitcnt vmcnt(0)
	ds_store_b64 v128, v[125:126]
	s_waitcnt lgkmcnt(0)
	s_waitcnt_vscnt null, 0x0
	s_barrier
	buffer_gl0_inv
	s_and_saveexec_b32 s3, s1
	s_cbranch_execz .LBB125_238
; %bb.229:
	s_and_not1_b32 vcc_lo, exec_lo, s2
	s_cbranch_vccnz .LBB125_231
; %bb.230:
	scratch_load_b64 v[125:126], v129, off
	ds_load_b64 v[149:150], v128
	s_waitcnt vmcnt(0) lgkmcnt(0)
	v_mul_f64 v[125:126], v[125:126], v[149:150]
	s_cbranch_execz .LBB125_232
	s_branch .LBB125_233
.LBB125_231:
                                        ; implicit-def: $vgpr125_vgpr126
.LBB125_232:
	ds_load_b64 v[125:126], v128
.LBB125_233:
	s_and_saveexec_b32 s4, s0
	s_cbranch_execz .LBB125_237
; %bb.234:
	v_subrev_nc_u32_e32 v149, 38, v0
	s_movk_i32 s5, 0x320
	s_mov_b32 s0, 0
.LBB125_235:                            ; =>This Inner Loop Header: Depth=1
	scratch_load_b64 v[150:151], v148, off
	v_dual_mov_b32 v152, s5 :: v_dual_add_nc_u32 v149, -1, v149
	v_add_nc_u32_e32 v148, 8, v148
	s_add_i32 s5, s5, 8
	ds_load_b64 v[152:153], v152
	v_cmp_eq_u32_e32 vcc_lo, 0, v149
	s_or_b32 s0, vcc_lo, s0
	s_waitcnt vmcnt(0) lgkmcnt(0)
	v_fma_f64 v[125:126], v[150:151], v[152:153], v[125:126]
	s_and_not1_b32 exec_lo, exec_lo, s0
	s_cbranch_execnz .LBB125_235
; %bb.236:
	s_or_b32 exec_lo, exec_lo, s0
.LBB125_237:
	s_delay_alu instid0(SALU_CYCLE_1)
	s_or_b32 exec_lo, exec_lo, s4
	v_mov_b32_e32 v148, 0
	ds_load_b64 v[148:149], v148 offset:296
	s_waitcnt lgkmcnt(0)
	v_mul_f64 v[125:126], v[125:126], v[148:149]
	scratch_store_b64 off, v[125:126], off offset:296
.LBB125_238:
	s_or_b32 exec_lo, exec_lo, s3
	scratch_load_b64 v[125:126], off, off offset:288
	v_cmp_lt_u32_e64 s0, 36, v0
	s_waitcnt vmcnt(0)
	ds_store_b64 v128, v[125:126]
	s_waitcnt lgkmcnt(0)
	s_waitcnt_vscnt null, 0x0
	s_barrier
	buffer_gl0_inv
	s_and_saveexec_b32 s3, s0
	s_cbranch_execz .LBB125_248
; %bb.239:
	s_and_not1_b32 vcc_lo, exec_lo, s2
	s_cbranch_vccnz .LBB125_241
; %bb.240:
	scratch_load_b64 v[125:126], v129, off
	ds_load_b64 v[148:149], v128
	s_waitcnt vmcnt(0) lgkmcnt(0)
	v_mul_f64 v[125:126], v[125:126], v[148:149]
	s_cbranch_execz .LBB125_242
	s_branch .LBB125_243
.LBB125_241:
                                        ; implicit-def: $vgpr125_vgpr126
.LBB125_242:
	ds_load_b64 v[125:126], v128
.LBB125_243:
	s_and_saveexec_b32 s4, s1
	s_cbranch_execz .LBB125_247
; %bb.244:
	v_mov_b32_e32 v148, 0
	v_subrev_nc_u32_e32 v149, 37, v0
	s_movk_i32 s5, 0x318
	s_mov_b32 s1, 0
	s_delay_alu instid0(VALU_DEP_2)
	v_add_nc_u32_e32 v148, 0x128, v148
.LBB125_245:                            ; =>This Inner Loop Header: Depth=1
	scratch_load_b64 v[150:151], v148, off
	v_dual_mov_b32 v152, s5 :: v_dual_add_nc_u32 v149, -1, v149
	v_add_nc_u32_e32 v148, 8, v148
	s_add_i32 s5, s5, 8
	ds_load_b64 v[152:153], v152
	v_cmp_eq_u32_e32 vcc_lo, 0, v149
	s_or_b32 s1, vcc_lo, s1
	s_waitcnt vmcnt(0) lgkmcnt(0)
	v_fma_f64 v[125:126], v[150:151], v[152:153], v[125:126]
	s_and_not1_b32 exec_lo, exec_lo, s1
	s_cbranch_execnz .LBB125_245
; %bb.246:
	s_or_b32 exec_lo, exec_lo, s1
.LBB125_247:
	s_delay_alu instid0(SALU_CYCLE_1)
	s_or_b32 exec_lo, exec_lo, s4
	v_mov_b32_e32 v148, 0
	ds_load_b64 v[148:149], v148 offset:288
	s_waitcnt lgkmcnt(0)
	v_mul_f64 v[125:126], v[125:126], v[148:149]
	scratch_store_b64 off, v[125:126], off offset:288
.LBB125_248:
	s_or_b32 exec_lo, exec_lo, s3
	scratch_load_b64 v[125:126], off, off offset:280
	v_cmp_lt_u32_e64 s1, 35, v0
	s_waitcnt vmcnt(0)
	ds_store_b64 v128, v[125:126]
	s_waitcnt lgkmcnt(0)
	s_waitcnt_vscnt null, 0x0
	s_barrier
	buffer_gl0_inv
	s_and_saveexec_b32 s3, s1
	s_cbranch_execz .LBB125_258
; %bb.249:
	s_and_not1_b32 vcc_lo, exec_lo, s2
	s_cbranch_vccnz .LBB125_251
; %bb.250:
	scratch_load_b64 v[125:126], v129, off
	ds_load_b64 v[148:149], v128
	s_waitcnt vmcnt(0) lgkmcnt(0)
	v_mul_f64 v[125:126], v[125:126], v[148:149]
	s_cbranch_execz .LBB125_252
	s_branch .LBB125_253
.LBB125_251:
                                        ; implicit-def: $vgpr125_vgpr126
.LBB125_252:
	ds_load_b64 v[125:126], v128
.LBB125_253:
	s_and_saveexec_b32 s4, s0
	s_cbranch_execz .LBB125_257
; %bb.254:
	v_subrev_nc_u32_e32 v148, 36, v0
	s_movk_i32 s5, 0x310
	s_mov_b32 s0, 0
.LBB125_255:                            ; =>This Inner Loop Header: Depth=1
	scratch_load_b64 v[149:150], v147, off
	v_dual_mov_b32 v151, s5 :: v_dual_add_nc_u32 v148, -1, v148
	v_add_nc_u32_e32 v147, 8, v147
	s_add_i32 s5, s5, 8
	ds_load_b64 v[151:152], v151
	v_cmp_eq_u32_e32 vcc_lo, 0, v148
	s_or_b32 s0, vcc_lo, s0
	s_waitcnt vmcnt(0) lgkmcnt(0)
	v_fma_f64 v[125:126], v[149:150], v[151:152], v[125:126]
	s_and_not1_b32 exec_lo, exec_lo, s0
	s_cbranch_execnz .LBB125_255
; %bb.256:
	s_or_b32 exec_lo, exec_lo, s0
.LBB125_257:
	s_delay_alu instid0(SALU_CYCLE_1)
	s_or_b32 exec_lo, exec_lo, s4
	v_mov_b32_e32 v147, 0
	ds_load_b64 v[147:148], v147 offset:280
	s_waitcnt lgkmcnt(0)
	v_mul_f64 v[125:126], v[125:126], v[147:148]
	scratch_store_b64 off, v[125:126], off offset:280
.LBB125_258:
	s_or_b32 exec_lo, exec_lo, s3
	scratch_load_b64 v[125:126], off, off offset:272
	v_cmp_lt_u32_e64 s0, 34, v0
	s_waitcnt vmcnt(0)
	ds_store_b64 v128, v[125:126]
	s_waitcnt lgkmcnt(0)
	s_waitcnt_vscnt null, 0x0
	s_barrier
	buffer_gl0_inv
	s_and_saveexec_b32 s3, s0
	s_cbranch_execz .LBB125_268
; %bb.259:
	s_and_not1_b32 vcc_lo, exec_lo, s2
	s_cbranch_vccnz .LBB125_261
; %bb.260:
	scratch_load_b64 v[125:126], v129, off
	ds_load_b64 v[147:148], v128
	s_waitcnt vmcnt(0) lgkmcnt(0)
	v_mul_f64 v[125:126], v[125:126], v[147:148]
	s_cbranch_execz .LBB125_262
	s_branch .LBB125_263
.LBB125_261:
                                        ; implicit-def: $vgpr125_vgpr126
.LBB125_262:
	ds_load_b64 v[125:126], v128
.LBB125_263:
	s_and_saveexec_b32 s4, s1
	s_cbranch_execz .LBB125_267
; %bb.264:
	v_mov_b32_e32 v147, 0
	v_subrev_nc_u32_e32 v148, 35, v0
	s_movk_i32 s5, 0x308
	s_mov_b32 s1, 0
	s_delay_alu instid0(VALU_DEP_2)
	v_add_nc_u32_e32 v147, 0x118, v147
.LBB125_265:                            ; =>This Inner Loop Header: Depth=1
	scratch_load_b64 v[149:150], v147, off
	v_dual_mov_b32 v151, s5 :: v_dual_add_nc_u32 v148, -1, v148
	v_add_nc_u32_e32 v147, 8, v147
	s_add_i32 s5, s5, 8
	ds_load_b64 v[151:152], v151
	v_cmp_eq_u32_e32 vcc_lo, 0, v148
	s_or_b32 s1, vcc_lo, s1
	s_waitcnt vmcnt(0) lgkmcnt(0)
	v_fma_f64 v[125:126], v[149:150], v[151:152], v[125:126]
	s_and_not1_b32 exec_lo, exec_lo, s1
	s_cbranch_execnz .LBB125_265
; %bb.266:
	s_or_b32 exec_lo, exec_lo, s1
.LBB125_267:
	s_delay_alu instid0(SALU_CYCLE_1)
	s_or_b32 exec_lo, exec_lo, s4
	v_mov_b32_e32 v147, 0
	ds_load_b64 v[147:148], v147 offset:272
	s_waitcnt lgkmcnt(0)
	v_mul_f64 v[125:126], v[125:126], v[147:148]
	scratch_store_b64 off, v[125:126], off offset:272
.LBB125_268:
	s_or_b32 exec_lo, exec_lo, s3
	scratch_load_b64 v[125:126], off, off offset:264
	v_cmp_lt_u32_e64 s1, 33, v0
	s_waitcnt vmcnt(0)
	ds_store_b64 v128, v[125:126]
	s_waitcnt lgkmcnt(0)
	s_waitcnt_vscnt null, 0x0
	s_barrier
	buffer_gl0_inv
	s_and_saveexec_b32 s3, s1
	s_cbranch_execz .LBB125_278
; %bb.269:
	s_and_not1_b32 vcc_lo, exec_lo, s2
	s_cbranch_vccnz .LBB125_271
; %bb.270:
	scratch_load_b64 v[125:126], v129, off
	ds_load_b64 v[147:148], v128
	s_waitcnt vmcnt(0) lgkmcnt(0)
	v_mul_f64 v[125:126], v[125:126], v[147:148]
	s_cbranch_execz .LBB125_272
	s_branch .LBB125_273
.LBB125_271:
                                        ; implicit-def: $vgpr125_vgpr126
.LBB125_272:
	ds_load_b64 v[125:126], v128
.LBB125_273:
	s_and_saveexec_b32 s4, s0
	s_cbranch_execz .LBB125_277
; %bb.274:
	v_subrev_nc_u32_e32 v147, 34, v0
	s_movk_i32 s5, 0x300
	s_mov_b32 s0, 0
.LBB125_275:                            ; =>This Inner Loop Header: Depth=1
	scratch_load_b64 v[148:149], v146, off
	v_dual_mov_b32 v150, s5 :: v_dual_add_nc_u32 v147, -1, v147
	v_add_nc_u32_e32 v146, 8, v146
	s_add_i32 s5, s5, 8
	ds_load_b64 v[150:151], v150
	v_cmp_eq_u32_e32 vcc_lo, 0, v147
	s_or_b32 s0, vcc_lo, s0
	s_waitcnt vmcnt(0) lgkmcnt(0)
	v_fma_f64 v[125:126], v[148:149], v[150:151], v[125:126]
	s_and_not1_b32 exec_lo, exec_lo, s0
	s_cbranch_execnz .LBB125_275
; %bb.276:
	s_or_b32 exec_lo, exec_lo, s0
.LBB125_277:
	s_delay_alu instid0(SALU_CYCLE_1)
	s_or_b32 exec_lo, exec_lo, s4
	v_mov_b32_e32 v146, 0
	ds_load_b64 v[146:147], v146 offset:264
	s_waitcnt lgkmcnt(0)
	v_mul_f64 v[125:126], v[125:126], v[146:147]
	scratch_store_b64 off, v[125:126], off offset:264
.LBB125_278:
	s_or_b32 exec_lo, exec_lo, s3
	scratch_load_b64 v[125:126], off, off offset:256
	v_cmp_lt_u32_e64 s0, 32, v0
	s_waitcnt vmcnt(0)
	ds_store_b64 v128, v[125:126]
	s_waitcnt lgkmcnt(0)
	s_waitcnt_vscnt null, 0x0
	s_barrier
	buffer_gl0_inv
	s_and_saveexec_b32 s3, s0
	s_cbranch_execz .LBB125_288
; %bb.279:
	s_and_not1_b32 vcc_lo, exec_lo, s2
	s_cbranch_vccnz .LBB125_281
; %bb.280:
	scratch_load_b64 v[125:126], v129, off
	ds_load_b64 v[146:147], v128
	s_waitcnt vmcnt(0) lgkmcnt(0)
	v_mul_f64 v[125:126], v[125:126], v[146:147]
	s_cbranch_execz .LBB125_282
	s_branch .LBB125_283
.LBB125_281:
                                        ; implicit-def: $vgpr125_vgpr126
.LBB125_282:
	ds_load_b64 v[125:126], v128
.LBB125_283:
	s_and_saveexec_b32 s4, s1
	s_cbranch_execz .LBB125_287
; %bb.284:
	v_mov_b32_e32 v146, 0
	v_subrev_nc_u32_e32 v147, 33, v0
	s_movk_i32 s5, 0x2f8
	s_mov_b32 s1, 0
	s_delay_alu instid0(VALU_DEP_2)
	v_add_nc_u32_e32 v146, 0x108, v146
.LBB125_285:                            ; =>This Inner Loop Header: Depth=1
	scratch_load_b64 v[148:149], v146, off
	v_dual_mov_b32 v150, s5 :: v_dual_add_nc_u32 v147, -1, v147
	v_add_nc_u32_e32 v146, 8, v146
	s_add_i32 s5, s5, 8
	ds_load_b64 v[150:151], v150
	v_cmp_eq_u32_e32 vcc_lo, 0, v147
	s_or_b32 s1, vcc_lo, s1
	s_waitcnt vmcnt(0) lgkmcnt(0)
	v_fma_f64 v[125:126], v[148:149], v[150:151], v[125:126]
	s_and_not1_b32 exec_lo, exec_lo, s1
	s_cbranch_execnz .LBB125_285
; %bb.286:
	s_or_b32 exec_lo, exec_lo, s1
.LBB125_287:
	s_delay_alu instid0(SALU_CYCLE_1)
	s_or_b32 exec_lo, exec_lo, s4
	v_mov_b32_e32 v146, 0
	ds_load_b64 v[146:147], v146 offset:256
	s_waitcnt lgkmcnt(0)
	v_mul_f64 v[125:126], v[125:126], v[146:147]
	scratch_store_b64 off, v[125:126], off offset:256
.LBB125_288:
	s_or_b32 exec_lo, exec_lo, s3
	scratch_load_b64 v[125:126], off, off offset:248
	v_cmp_lt_u32_e64 s1, 31, v0
	s_waitcnt vmcnt(0)
	ds_store_b64 v128, v[125:126]
	s_waitcnt lgkmcnt(0)
	s_waitcnt_vscnt null, 0x0
	s_barrier
	buffer_gl0_inv
	s_and_saveexec_b32 s3, s1
	s_cbranch_execz .LBB125_298
; %bb.289:
	s_and_not1_b32 vcc_lo, exec_lo, s2
	s_cbranch_vccnz .LBB125_291
; %bb.290:
	scratch_load_b64 v[125:126], v129, off
	ds_load_b64 v[146:147], v128
	s_waitcnt vmcnt(0) lgkmcnt(0)
	v_mul_f64 v[125:126], v[125:126], v[146:147]
	s_cbranch_execz .LBB125_292
	s_branch .LBB125_293
.LBB125_291:
                                        ; implicit-def: $vgpr125_vgpr126
.LBB125_292:
	ds_load_b64 v[125:126], v128
.LBB125_293:
	s_and_saveexec_b32 s4, s0
	s_cbranch_execz .LBB125_297
; %bb.294:
	v_subrev_nc_u32_e32 v146, 32, v0
	s_movk_i32 s5, 0x2f0
	s_mov_b32 s0, 0
.LBB125_295:                            ; =>This Inner Loop Header: Depth=1
	scratch_load_b64 v[147:148], v145, off
	v_dual_mov_b32 v149, s5 :: v_dual_add_nc_u32 v146, -1, v146
	v_add_nc_u32_e32 v145, 8, v145
	s_add_i32 s5, s5, 8
	ds_load_b64 v[149:150], v149
	v_cmp_eq_u32_e32 vcc_lo, 0, v146
	s_or_b32 s0, vcc_lo, s0
	s_waitcnt vmcnt(0) lgkmcnt(0)
	v_fma_f64 v[125:126], v[147:148], v[149:150], v[125:126]
	s_and_not1_b32 exec_lo, exec_lo, s0
	s_cbranch_execnz .LBB125_295
; %bb.296:
	s_or_b32 exec_lo, exec_lo, s0
.LBB125_297:
	s_delay_alu instid0(SALU_CYCLE_1)
	s_or_b32 exec_lo, exec_lo, s4
	v_mov_b32_e32 v145, 0
	ds_load_b64 v[145:146], v145 offset:248
	s_waitcnt lgkmcnt(0)
	v_mul_f64 v[125:126], v[125:126], v[145:146]
	scratch_store_b64 off, v[125:126], off offset:248
.LBB125_298:
	s_or_b32 exec_lo, exec_lo, s3
	scratch_load_b64 v[125:126], off, off offset:240
	v_cmp_lt_u32_e64 s0, 30, v0
	s_waitcnt vmcnt(0)
	ds_store_b64 v128, v[125:126]
	s_waitcnt lgkmcnt(0)
	s_waitcnt_vscnt null, 0x0
	s_barrier
	buffer_gl0_inv
	s_and_saveexec_b32 s3, s0
	s_cbranch_execz .LBB125_308
; %bb.299:
	s_and_not1_b32 vcc_lo, exec_lo, s2
	s_cbranch_vccnz .LBB125_301
; %bb.300:
	scratch_load_b64 v[125:126], v129, off
	ds_load_b64 v[145:146], v128
	s_waitcnt vmcnt(0) lgkmcnt(0)
	v_mul_f64 v[125:126], v[125:126], v[145:146]
	s_cbranch_execz .LBB125_302
	s_branch .LBB125_303
.LBB125_301:
                                        ; implicit-def: $vgpr125_vgpr126
.LBB125_302:
	ds_load_b64 v[125:126], v128
.LBB125_303:
	s_and_saveexec_b32 s4, s1
	s_cbranch_execz .LBB125_307
; %bb.304:
	v_mov_b32_e32 v145, 0
	v_subrev_nc_u32_e32 v146, 31, v0
	s_movk_i32 s5, 0x2e8
	s_mov_b32 s1, 0
	s_delay_alu instid0(VALU_DEP_2)
	v_add_nc_u32_e32 v145, 0xf8, v145
.LBB125_305:                            ; =>This Inner Loop Header: Depth=1
	scratch_load_b64 v[147:148], v145, off
	v_dual_mov_b32 v149, s5 :: v_dual_add_nc_u32 v146, -1, v146
	v_add_nc_u32_e32 v145, 8, v145
	s_add_i32 s5, s5, 8
	ds_load_b64 v[149:150], v149
	v_cmp_eq_u32_e32 vcc_lo, 0, v146
	s_or_b32 s1, vcc_lo, s1
	s_waitcnt vmcnt(0) lgkmcnt(0)
	v_fma_f64 v[125:126], v[147:148], v[149:150], v[125:126]
	s_and_not1_b32 exec_lo, exec_lo, s1
	s_cbranch_execnz .LBB125_305
; %bb.306:
	s_or_b32 exec_lo, exec_lo, s1
.LBB125_307:
	s_delay_alu instid0(SALU_CYCLE_1)
	s_or_b32 exec_lo, exec_lo, s4
	v_mov_b32_e32 v145, 0
	ds_load_b64 v[145:146], v145 offset:240
	s_waitcnt lgkmcnt(0)
	v_mul_f64 v[125:126], v[125:126], v[145:146]
	scratch_store_b64 off, v[125:126], off offset:240
.LBB125_308:
	s_or_b32 exec_lo, exec_lo, s3
	scratch_load_b64 v[125:126], off, off offset:232
	v_cmp_lt_u32_e64 s1, 29, v0
	s_waitcnt vmcnt(0)
	ds_store_b64 v128, v[125:126]
	s_waitcnt lgkmcnt(0)
	s_waitcnt_vscnt null, 0x0
	s_barrier
	buffer_gl0_inv
	s_and_saveexec_b32 s3, s1
	s_cbranch_execz .LBB125_318
; %bb.309:
	s_and_not1_b32 vcc_lo, exec_lo, s2
	s_cbranch_vccnz .LBB125_311
; %bb.310:
	scratch_load_b64 v[125:126], v129, off
	ds_load_b64 v[145:146], v128
	s_waitcnt vmcnt(0) lgkmcnt(0)
	v_mul_f64 v[125:126], v[125:126], v[145:146]
	s_cbranch_execz .LBB125_312
	s_branch .LBB125_313
.LBB125_311:
                                        ; implicit-def: $vgpr125_vgpr126
.LBB125_312:
	ds_load_b64 v[125:126], v128
.LBB125_313:
	s_and_saveexec_b32 s4, s0
	s_cbranch_execz .LBB125_317
; %bb.314:
	v_subrev_nc_u32_e32 v145, 30, v0
	s_movk_i32 s5, 0x2e0
	s_mov_b32 s0, 0
.LBB125_315:                            ; =>This Inner Loop Header: Depth=1
	scratch_load_b64 v[146:147], v144, off
	v_dual_mov_b32 v148, s5 :: v_dual_add_nc_u32 v145, -1, v145
	v_add_nc_u32_e32 v144, 8, v144
	s_add_i32 s5, s5, 8
	ds_load_b64 v[148:149], v148
	v_cmp_eq_u32_e32 vcc_lo, 0, v145
	s_or_b32 s0, vcc_lo, s0
	s_waitcnt vmcnt(0) lgkmcnt(0)
	v_fma_f64 v[125:126], v[146:147], v[148:149], v[125:126]
	s_and_not1_b32 exec_lo, exec_lo, s0
	s_cbranch_execnz .LBB125_315
; %bb.316:
	s_or_b32 exec_lo, exec_lo, s0
.LBB125_317:
	s_delay_alu instid0(SALU_CYCLE_1)
	s_or_b32 exec_lo, exec_lo, s4
	v_mov_b32_e32 v144, 0
	ds_load_b64 v[144:145], v144 offset:232
	s_waitcnt lgkmcnt(0)
	v_mul_f64 v[125:126], v[125:126], v[144:145]
	scratch_store_b64 off, v[125:126], off offset:232
.LBB125_318:
	s_or_b32 exec_lo, exec_lo, s3
	scratch_load_b64 v[125:126], off, off offset:224
	v_cmp_lt_u32_e64 s0, 28, v0
	s_waitcnt vmcnt(0)
	ds_store_b64 v128, v[125:126]
	s_waitcnt lgkmcnt(0)
	s_waitcnt_vscnt null, 0x0
	s_barrier
	buffer_gl0_inv
	s_and_saveexec_b32 s3, s0
	s_cbranch_execz .LBB125_328
; %bb.319:
	s_and_not1_b32 vcc_lo, exec_lo, s2
	s_cbranch_vccnz .LBB125_321
; %bb.320:
	scratch_load_b64 v[125:126], v129, off
	ds_load_b64 v[144:145], v128
	s_waitcnt vmcnt(0) lgkmcnt(0)
	v_mul_f64 v[125:126], v[125:126], v[144:145]
	s_cbranch_execz .LBB125_322
	s_branch .LBB125_323
.LBB125_321:
                                        ; implicit-def: $vgpr125_vgpr126
.LBB125_322:
	ds_load_b64 v[125:126], v128
.LBB125_323:
	s_and_saveexec_b32 s4, s1
	s_cbranch_execz .LBB125_327
; %bb.324:
	v_mov_b32_e32 v144, 0
	v_subrev_nc_u32_e32 v145, 29, v0
	s_movk_i32 s5, 0x2d8
	s_mov_b32 s1, 0
	s_delay_alu instid0(VALU_DEP_2)
	v_add_nc_u32_e32 v144, 0xe8, v144
.LBB125_325:                            ; =>This Inner Loop Header: Depth=1
	scratch_load_b64 v[146:147], v144, off
	v_dual_mov_b32 v148, s5 :: v_dual_add_nc_u32 v145, -1, v145
	v_add_nc_u32_e32 v144, 8, v144
	s_add_i32 s5, s5, 8
	ds_load_b64 v[148:149], v148
	v_cmp_eq_u32_e32 vcc_lo, 0, v145
	s_or_b32 s1, vcc_lo, s1
	s_waitcnt vmcnt(0) lgkmcnt(0)
	v_fma_f64 v[125:126], v[146:147], v[148:149], v[125:126]
	s_and_not1_b32 exec_lo, exec_lo, s1
	s_cbranch_execnz .LBB125_325
; %bb.326:
	s_or_b32 exec_lo, exec_lo, s1
.LBB125_327:
	s_delay_alu instid0(SALU_CYCLE_1)
	s_or_b32 exec_lo, exec_lo, s4
	v_mov_b32_e32 v144, 0
	ds_load_b64 v[144:145], v144 offset:224
	s_waitcnt lgkmcnt(0)
	v_mul_f64 v[125:126], v[125:126], v[144:145]
	scratch_store_b64 off, v[125:126], off offset:224
.LBB125_328:
	s_or_b32 exec_lo, exec_lo, s3
	scratch_load_b64 v[125:126], off, off offset:216
	v_cmp_lt_u32_e64 s1, 27, v0
	s_waitcnt vmcnt(0)
	ds_store_b64 v128, v[125:126]
	s_waitcnt lgkmcnt(0)
	s_waitcnt_vscnt null, 0x0
	s_barrier
	buffer_gl0_inv
	s_and_saveexec_b32 s3, s1
	s_cbranch_execz .LBB125_338
; %bb.329:
	s_and_not1_b32 vcc_lo, exec_lo, s2
	s_cbranch_vccnz .LBB125_331
; %bb.330:
	scratch_load_b64 v[125:126], v129, off
	ds_load_b64 v[144:145], v128
	s_waitcnt vmcnt(0) lgkmcnt(0)
	v_mul_f64 v[125:126], v[125:126], v[144:145]
	s_cbranch_execz .LBB125_332
	s_branch .LBB125_333
.LBB125_331:
                                        ; implicit-def: $vgpr125_vgpr126
.LBB125_332:
	ds_load_b64 v[125:126], v128
.LBB125_333:
	s_and_saveexec_b32 s4, s0
	s_cbranch_execz .LBB125_337
; %bb.334:
	v_subrev_nc_u32_e32 v144, 28, v0
	s_movk_i32 s5, 0x2d0
	s_mov_b32 s0, 0
.LBB125_335:                            ; =>This Inner Loop Header: Depth=1
	scratch_load_b64 v[145:146], v143, off
	v_dual_mov_b32 v147, s5 :: v_dual_add_nc_u32 v144, -1, v144
	v_add_nc_u32_e32 v143, 8, v143
	s_add_i32 s5, s5, 8
	ds_load_b64 v[147:148], v147
	v_cmp_eq_u32_e32 vcc_lo, 0, v144
	s_or_b32 s0, vcc_lo, s0
	s_waitcnt vmcnt(0) lgkmcnt(0)
	v_fma_f64 v[125:126], v[145:146], v[147:148], v[125:126]
	s_and_not1_b32 exec_lo, exec_lo, s0
	s_cbranch_execnz .LBB125_335
; %bb.336:
	s_or_b32 exec_lo, exec_lo, s0
.LBB125_337:
	s_delay_alu instid0(SALU_CYCLE_1)
	s_or_b32 exec_lo, exec_lo, s4
	v_mov_b32_e32 v143, 0
	ds_load_b64 v[143:144], v143 offset:216
	s_waitcnt lgkmcnt(0)
	v_mul_f64 v[125:126], v[125:126], v[143:144]
	scratch_store_b64 off, v[125:126], off offset:216
.LBB125_338:
	s_or_b32 exec_lo, exec_lo, s3
	scratch_load_b64 v[125:126], off, off offset:208
	v_cmp_lt_u32_e64 s0, 26, v0
	s_waitcnt vmcnt(0)
	ds_store_b64 v128, v[125:126]
	s_waitcnt lgkmcnt(0)
	s_waitcnt_vscnt null, 0x0
	s_barrier
	buffer_gl0_inv
	s_and_saveexec_b32 s3, s0
	s_cbranch_execz .LBB125_348
; %bb.339:
	s_and_not1_b32 vcc_lo, exec_lo, s2
	s_cbranch_vccnz .LBB125_341
; %bb.340:
	scratch_load_b64 v[125:126], v129, off
	ds_load_b64 v[143:144], v128
	s_waitcnt vmcnt(0) lgkmcnt(0)
	v_mul_f64 v[125:126], v[125:126], v[143:144]
	s_cbranch_execz .LBB125_342
	s_branch .LBB125_343
.LBB125_341:
                                        ; implicit-def: $vgpr125_vgpr126
.LBB125_342:
	ds_load_b64 v[125:126], v128
.LBB125_343:
	s_and_saveexec_b32 s4, s1
	s_cbranch_execz .LBB125_347
; %bb.344:
	v_mov_b32_e32 v143, 0
	v_subrev_nc_u32_e32 v144, 27, v0
	s_movk_i32 s5, 0x2c8
	s_mov_b32 s1, 0
	s_delay_alu instid0(VALU_DEP_2)
	v_add_nc_u32_e32 v143, 0xd8, v143
.LBB125_345:                            ; =>This Inner Loop Header: Depth=1
	scratch_load_b64 v[145:146], v143, off
	v_dual_mov_b32 v147, s5 :: v_dual_add_nc_u32 v144, -1, v144
	v_add_nc_u32_e32 v143, 8, v143
	s_add_i32 s5, s5, 8
	ds_load_b64 v[147:148], v147
	v_cmp_eq_u32_e32 vcc_lo, 0, v144
	s_or_b32 s1, vcc_lo, s1
	s_waitcnt vmcnt(0) lgkmcnt(0)
	v_fma_f64 v[125:126], v[145:146], v[147:148], v[125:126]
	s_and_not1_b32 exec_lo, exec_lo, s1
	s_cbranch_execnz .LBB125_345
; %bb.346:
	s_or_b32 exec_lo, exec_lo, s1
.LBB125_347:
	s_delay_alu instid0(SALU_CYCLE_1)
	s_or_b32 exec_lo, exec_lo, s4
	v_mov_b32_e32 v143, 0
	ds_load_b64 v[143:144], v143 offset:208
	s_waitcnt lgkmcnt(0)
	v_mul_f64 v[125:126], v[125:126], v[143:144]
	scratch_store_b64 off, v[125:126], off offset:208
.LBB125_348:
	s_or_b32 exec_lo, exec_lo, s3
	scratch_load_b64 v[125:126], off, off offset:200
	v_cmp_lt_u32_e64 s1, 25, v0
	s_waitcnt vmcnt(0)
	ds_store_b64 v128, v[125:126]
	s_waitcnt lgkmcnt(0)
	s_waitcnt_vscnt null, 0x0
	s_barrier
	buffer_gl0_inv
	s_and_saveexec_b32 s3, s1
	s_cbranch_execz .LBB125_358
; %bb.349:
	s_and_not1_b32 vcc_lo, exec_lo, s2
	s_cbranch_vccnz .LBB125_351
; %bb.350:
	scratch_load_b64 v[125:126], v129, off
	ds_load_b64 v[143:144], v128
	s_waitcnt vmcnt(0) lgkmcnt(0)
	v_mul_f64 v[125:126], v[125:126], v[143:144]
	s_cbranch_execz .LBB125_352
	s_branch .LBB125_353
.LBB125_351:
                                        ; implicit-def: $vgpr125_vgpr126
.LBB125_352:
	ds_load_b64 v[125:126], v128
.LBB125_353:
	s_and_saveexec_b32 s4, s0
	s_cbranch_execz .LBB125_357
; %bb.354:
	v_subrev_nc_u32_e32 v143, 26, v0
	s_movk_i32 s5, 0x2c0
	s_mov_b32 s0, 0
.LBB125_355:                            ; =>This Inner Loop Header: Depth=1
	scratch_load_b64 v[144:145], v142, off
	v_dual_mov_b32 v146, s5 :: v_dual_add_nc_u32 v143, -1, v143
	v_add_nc_u32_e32 v142, 8, v142
	s_add_i32 s5, s5, 8
	ds_load_b64 v[146:147], v146
	v_cmp_eq_u32_e32 vcc_lo, 0, v143
	s_or_b32 s0, vcc_lo, s0
	s_waitcnt vmcnt(0) lgkmcnt(0)
	v_fma_f64 v[125:126], v[144:145], v[146:147], v[125:126]
	s_and_not1_b32 exec_lo, exec_lo, s0
	s_cbranch_execnz .LBB125_355
; %bb.356:
	s_or_b32 exec_lo, exec_lo, s0
.LBB125_357:
	s_delay_alu instid0(SALU_CYCLE_1)
	s_or_b32 exec_lo, exec_lo, s4
	v_mov_b32_e32 v142, 0
	ds_load_b64 v[142:143], v142 offset:200
	s_waitcnt lgkmcnt(0)
	v_mul_f64 v[125:126], v[125:126], v[142:143]
	scratch_store_b64 off, v[125:126], off offset:200
.LBB125_358:
	s_or_b32 exec_lo, exec_lo, s3
	scratch_load_b64 v[125:126], off, off offset:192
	v_cmp_lt_u32_e64 s0, 24, v0
	s_waitcnt vmcnt(0)
	ds_store_b64 v128, v[125:126]
	s_waitcnt lgkmcnt(0)
	s_waitcnt_vscnt null, 0x0
	s_barrier
	buffer_gl0_inv
	s_and_saveexec_b32 s3, s0
	s_cbranch_execz .LBB125_368
; %bb.359:
	s_and_not1_b32 vcc_lo, exec_lo, s2
	s_cbranch_vccnz .LBB125_361
; %bb.360:
	scratch_load_b64 v[125:126], v129, off
	ds_load_b64 v[142:143], v128
	s_waitcnt vmcnt(0) lgkmcnt(0)
	v_mul_f64 v[125:126], v[125:126], v[142:143]
	s_cbranch_execz .LBB125_362
	s_branch .LBB125_363
.LBB125_361:
                                        ; implicit-def: $vgpr125_vgpr126
.LBB125_362:
	ds_load_b64 v[125:126], v128
.LBB125_363:
	s_and_saveexec_b32 s4, s1
	s_cbranch_execz .LBB125_367
; %bb.364:
	v_mov_b32_e32 v142, 0
	v_subrev_nc_u32_e32 v143, 25, v0
	s_movk_i32 s5, 0x2b8
	s_mov_b32 s1, 0
	s_delay_alu instid0(VALU_DEP_2)
	v_add_nc_u32_e32 v142, 0xc8, v142
.LBB125_365:                            ; =>This Inner Loop Header: Depth=1
	scratch_load_b64 v[144:145], v142, off
	v_dual_mov_b32 v146, s5 :: v_dual_add_nc_u32 v143, -1, v143
	v_add_nc_u32_e32 v142, 8, v142
	s_add_i32 s5, s5, 8
	ds_load_b64 v[146:147], v146
	v_cmp_eq_u32_e32 vcc_lo, 0, v143
	s_or_b32 s1, vcc_lo, s1
	s_waitcnt vmcnt(0) lgkmcnt(0)
	v_fma_f64 v[125:126], v[144:145], v[146:147], v[125:126]
	s_and_not1_b32 exec_lo, exec_lo, s1
	s_cbranch_execnz .LBB125_365
; %bb.366:
	s_or_b32 exec_lo, exec_lo, s1
.LBB125_367:
	s_delay_alu instid0(SALU_CYCLE_1)
	s_or_b32 exec_lo, exec_lo, s4
	v_mov_b32_e32 v142, 0
	ds_load_b64 v[142:143], v142 offset:192
	s_waitcnt lgkmcnt(0)
	v_mul_f64 v[125:126], v[125:126], v[142:143]
	scratch_store_b64 off, v[125:126], off offset:192
.LBB125_368:
	s_or_b32 exec_lo, exec_lo, s3
	scratch_load_b64 v[125:126], off, off offset:184
	v_cmp_lt_u32_e64 s1, 23, v0
	s_waitcnt vmcnt(0)
	ds_store_b64 v128, v[125:126]
	s_waitcnt lgkmcnt(0)
	s_waitcnt_vscnt null, 0x0
	s_barrier
	buffer_gl0_inv
	s_and_saveexec_b32 s3, s1
	s_cbranch_execz .LBB125_378
; %bb.369:
	s_and_not1_b32 vcc_lo, exec_lo, s2
	s_cbranch_vccnz .LBB125_371
; %bb.370:
	scratch_load_b64 v[125:126], v129, off
	ds_load_b64 v[142:143], v128
	s_waitcnt vmcnt(0) lgkmcnt(0)
	v_mul_f64 v[125:126], v[125:126], v[142:143]
	s_cbranch_execz .LBB125_372
	s_branch .LBB125_373
.LBB125_371:
                                        ; implicit-def: $vgpr125_vgpr126
.LBB125_372:
	ds_load_b64 v[125:126], v128
.LBB125_373:
	s_and_saveexec_b32 s4, s0
	s_cbranch_execz .LBB125_377
; %bb.374:
	v_subrev_nc_u32_e32 v142, 24, v0
	s_movk_i32 s5, 0x2b0
	s_mov_b32 s0, 0
.LBB125_375:                            ; =>This Inner Loop Header: Depth=1
	scratch_load_b64 v[143:144], v141, off
	v_dual_mov_b32 v145, s5 :: v_dual_add_nc_u32 v142, -1, v142
	v_add_nc_u32_e32 v141, 8, v141
	s_add_i32 s5, s5, 8
	ds_load_b64 v[145:146], v145
	v_cmp_eq_u32_e32 vcc_lo, 0, v142
	s_or_b32 s0, vcc_lo, s0
	s_waitcnt vmcnt(0) lgkmcnt(0)
	v_fma_f64 v[125:126], v[143:144], v[145:146], v[125:126]
	s_and_not1_b32 exec_lo, exec_lo, s0
	s_cbranch_execnz .LBB125_375
; %bb.376:
	s_or_b32 exec_lo, exec_lo, s0
.LBB125_377:
	s_delay_alu instid0(SALU_CYCLE_1)
	s_or_b32 exec_lo, exec_lo, s4
	v_mov_b32_e32 v141, 0
	ds_load_b64 v[141:142], v141 offset:184
	s_waitcnt lgkmcnt(0)
	v_mul_f64 v[125:126], v[125:126], v[141:142]
	scratch_store_b64 off, v[125:126], off offset:184
.LBB125_378:
	s_or_b32 exec_lo, exec_lo, s3
	scratch_load_b64 v[125:126], off, off offset:176
	v_cmp_lt_u32_e64 s0, 22, v0
	s_waitcnt vmcnt(0)
	ds_store_b64 v128, v[125:126]
	s_waitcnt lgkmcnt(0)
	s_waitcnt_vscnt null, 0x0
	s_barrier
	buffer_gl0_inv
	s_and_saveexec_b32 s3, s0
	s_cbranch_execz .LBB125_388
; %bb.379:
	s_and_not1_b32 vcc_lo, exec_lo, s2
	s_cbranch_vccnz .LBB125_381
; %bb.380:
	scratch_load_b64 v[125:126], v129, off
	ds_load_b64 v[141:142], v128
	s_waitcnt vmcnt(0) lgkmcnt(0)
	v_mul_f64 v[125:126], v[125:126], v[141:142]
	s_cbranch_execz .LBB125_382
	s_branch .LBB125_383
.LBB125_381:
                                        ; implicit-def: $vgpr125_vgpr126
.LBB125_382:
	ds_load_b64 v[125:126], v128
.LBB125_383:
	s_and_saveexec_b32 s4, s1
	s_cbranch_execz .LBB125_387
; %bb.384:
	v_mov_b32_e32 v141, 0
	v_subrev_nc_u32_e32 v142, 23, v0
	s_movk_i32 s5, 0x2a8
	s_mov_b32 s1, 0
	s_delay_alu instid0(VALU_DEP_2)
	v_add_nc_u32_e32 v141, 0xb8, v141
.LBB125_385:                            ; =>This Inner Loop Header: Depth=1
	scratch_load_b64 v[143:144], v141, off
	v_dual_mov_b32 v145, s5 :: v_dual_add_nc_u32 v142, -1, v142
	v_add_nc_u32_e32 v141, 8, v141
	s_add_i32 s5, s5, 8
	ds_load_b64 v[145:146], v145
	v_cmp_eq_u32_e32 vcc_lo, 0, v142
	s_or_b32 s1, vcc_lo, s1
	s_waitcnt vmcnt(0) lgkmcnt(0)
	v_fma_f64 v[125:126], v[143:144], v[145:146], v[125:126]
	s_and_not1_b32 exec_lo, exec_lo, s1
	s_cbranch_execnz .LBB125_385
; %bb.386:
	s_or_b32 exec_lo, exec_lo, s1
.LBB125_387:
	s_delay_alu instid0(SALU_CYCLE_1)
	s_or_b32 exec_lo, exec_lo, s4
	v_mov_b32_e32 v141, 0
	ds_load_b64 v[141:142], v141 offset:176
	s_waitcnt lgkmcnt(0)
	v_mul_f64 v[125:126], v[125:126], v[141:142]
	scratch_store_b64 off, v[125:126], off offset:176
.LBB125_388:
	s_or_b32 exec_lo, exec_lo, s3
	scratch_load_b64 v[125:126], off, off offset:168
	v_cmp_lt_u32_e64 s1, 21, v0
	s_waitcnt vmcnt(0)
	ds_store_b64 v128, v[125:126]
	s_waitcnt lgkmcnt(0)
	s_waitcnt_vscnt null, 0x0
	s_barrier
	buffer_gl0_inv
	s_and_saveexec_b32 s3, s1
	s_cbranch_execz .LBB125_398
; %bb.389:
	s_and_not1_b32 vcc_lo, exec_lo, s2
	s_cbranch_vccnz .LBB125_391
; %bb.390:
	scratch_load_b64 v[125:126], v129, off
	ds_load_b64 v[141:142], v128
	s_waitcnt vmcnt(0) lgkmcnt(0)
	v_mul_f64 v[125:126], v[125:126], v[141:142]
	s_cbranch_execz .LBB125_392
	s_branch .LBB125_393
.LBB125_391:
                                        ; implicit-def: $vgpr125_vgpr126
.LBB125_392:
	ds_load_b64 v[125:126], v128
.LBB125_393:
	s_and_saveexec_b32 s4, s0
	s_cbranch_execz .LBB125_397
; %bb.394:
	v_subrev_nc_u32_e32 v141, 22, v0
	s_movk_i32 s5, 0x2a0
	s_mov_b32 s0, 0
.LBB125_395:                            ; =>This Inner Loop Header: Depth=1
	scratch_load_b64 v[142:143], v140, off
	v_dual_mov_b32 v144, s5 :: v_dual_add_nc_u32 v141, -1, v141
	v_add_nc_u32_e32 v140, 8, v140
	s_add_i32 s5, s5, 8
	ds_load_b64 v[144:145], v144
	v_cmp_eq_u32_e32 vcc_lo, 0, v141
	s_or_b32 s0, vcc_lo, s0
	s_waitcnt vmcnt(0) lgkmcnt(0)
	v_fma_f64 v[125:126], v[142:143], v[144:145], v[125:126]
	s_and_not1_b32 exec_lo, exec_lo, s0
	s_cbranch_execnz .LBB125_395
; %bb.396:
	s_or_b32 exec_lo, exec_lo, s0
.LBB125_397:
	s_delay_alu instid0(SALU_CYCLE_1)
	s_or_b32 exec_lo, exec_lo, s4
	v_mov_b32_e32 v140, 0
	ds_load_b64 v[140:141], v140 offset:168
	s_waitcnt lgkmcnt(0)
	v_mul_f64 v[125:126], v[125:126], v[140:141]
	scratch_store_b64 off, v[125:126], off offset:168
.LBB125_398:
	s_or_b32 exec_lo, exec_lo, s3
	scratch_load_b64 v[125:126], off, off offset:160
	v_cmp_lt_u32_e64 s0, 20, v0
	s_waitcnt vmcnt(0)
	ds_store_b64 v128, v[125:126]
	s_waitcnt lgkmcnt(0)
	s_waitcnt_vscnt null, 0x0
	s_barrier
	buffer_gl0_inv
	s_and_saveexec_b32 s3, s0
	s_cbranch_execz .LBB125_408
; %bb.399:
	s_and_not1_b32 vcc_lo, exec_lo, s2
	s_cbranch_vccnz .LBB125_401
; %bb.400:
	scratch_load_b64 v[125:126], v129, off
	ds_load_b64 v[140:141], v128
	s_waitcnt vmcnt(0) lgkmcnt(0)
	v_mul_f64 v[125:126], v[125:126], v[140:141]
	s_cbranch_execz .LBB125_402
	s_branch .LBB125_403
.LBB125_401:
                                        ; implicit-def: $vgpr125_vgpr126
.LBB125_402:
	ds_load_b64 v[125:126], v128
.LBB125_403:
	s_and_saveexec_b32 s4, s1
	s_cbranch_execz .LBB125_407
; %bb.404:
	v_mov_b32_e32 v140, 0
	v_subrev_nc_u32_e32 v141, 21, v0
	s_movk_i32 s5, 0x298
	s_mov_b32 s1, 0
	s_delay_alu instid0(VALU_DEP_2)
	v_add_nc_u32_e32 v140, 0xa8, v140
.LBB125_405:                            ; =>This Inner Loop Header: Depth=1
	scratch_load_b64 v[142:143], v140, off
	v_dual_mov_b32 v144, s5 :: v_dual_add_nc_u32 v141, -1, v141
	v_add_nc_u32_e32 v140, 8, v140
	s_add_i32 s5, s5, 8
	ds_load_b64 v[144:145], v144
	v_cmp_eq_u32_e32 vcc_lo, 0, v141
	s_or_b32 s1, vcc_lo, s1
	s_waitcnt vmcnt(0) lgkmcnt(0)
	v_fma_f64 v[125:126], v[142:143], v[144:145], v[125:126]
	s_and_not1_b32 exec_lo, exec_lo, s1
	s_cbranch_execnz .LBB125_405
; %bb.406:
	s_or_b32 exec_lo, exec_lo, s1
.LBB125_407:
	s_delay_alu instid0(SALU_CYCLE_1)
	s_or_b32 exec_lo, exec_lo, s4
	v_mov_b32_e32 v140, 0
	ds_load_b64 v[140:141], v140 offset:160
	s_waitcnt lgkmcnt(0)
	v_mul_f64 v[125:126], v[125:126], v[140:141]
	scratch_store_b64 off, v[125:126], off offset:160
.LBB125_408:
	s_or_b32 exec_lo, exec_lo, s3
	scratch_load_b64 v[125:126], off, off offset:152
	v_cmp_lt_u32_e64 s1, 19, v0
	s_waitcnt vmcnt(0)
	ds_store_b64 v128, v[125:126]
	s_waitcnt lgkmcnt(0)
	s_waitcnt_vscnt null, 0x0
	s_barrier
	buffer_gl0_inv
	s_and_saveexec_b32 s3, s1
	s_cbranch_execz .LBB125_418
; %bb.409:
	s_and_not1_b32 vcc_lo, exec_lo, s2
	s_cbranch_vccnz .LBB125_411
; %bb.410:
	scratch_load_b64 v[125:126], v129, off
	ds_load_b64 v[140:141], v128
	s_waitcnt vmcnt(0) lgkmcnt(0)
	v_mul_f64 v[125:126], v[125:126], v[140:141]
	s_cbranch_execz .LBB125_412
	s_branch .LBB125_413
.LBB125_411:
                                        ; implicit-def: $vgpr125_vgpr126
.LBB125_412:
	ds_load_b64 v[125:126], v128
.LBB125_413:
	s_and_saveexec_b32 s4, s0
	s_cbranch_execz .LBB125_417
; %bb.414:
	v_subrev_nc_u32_e32 v140, 20, v0
	s_movk_i32 s5, 0x290
	s_mov_b32 s0, 0
.LBB125_415:                            ; =>This Inner Loop Header: Depth=1
	scratch_load_b64 v[141:142], v139, off
	v_dual_mov_b32 v143, s5 :: v_dual_add_nc_u32 v140, -1, v140
	v_add_nc_u32_e32 v139, 8, v139
	s_add_i32 s5, s5, 8
	ds_load_b64 v[143:144], v143
	v_cmp_eq_u32_e32 vcc_lo, 0, v140
	s_or_b32 s0, vcc_lo, s0
	s_waitcnt vmcnt(0) lgkmcnt(0)
	v_fma_f64 v[125:126], v[141:142], v[143:144], v[125:126]
	s_and_not1_b32 exec_lo, exec_lo, s0
	s_cbranch_execnz .LBB125_415
; %bb.416:
	s_or_b32 exec_lo, exec_lo, s0
.LBB125_417:
	s_delay_alu instid0(SALU_CYCLE_1)
	s_or_b32 exec_lo, exec_lo, s4
	v_mov_b32_e32 v139, 0
	ds_load_b64 v[139:140], v139 offset:152
	s_waitcnt lgkmcnt(0)
	v_mul_f64 v[125:126], v[125:126], v[139:140]
	scratch_store_b64 off, v[125:126], off offset:152
.LBB125_418:
	s_or_b32 exec_lo, exec_lo, s3
	scratch_load_b64 v[125:126], off, off offset:144
	v_cmp_lt_u32_e64 s0, 18, v0
	s_waitcnt vmcnt(0)
	ds_store_b64 v128, v[125:126]
	s_waitcnt lgkmcnt(0)
	s_waitcnt_vscnt null, 0x0
	s_barrier
	buffer_gl0_inv
	s_and_saveexec_b32 s3, s0
	s_cbranch_execz .LBB125_428
; %bb.419:
	s_and_not1_b32 vcc_lo, exec_lo, s2
	s_cbranch_vccnz .LBB125_421
; %bb.420:
	scratch_load_b64 v[125:126], v129, off
	ds_load_b64 v[139:140], v128
	s_waitcnt vmcnt(0) lgkmcnt(0)
	v_mul_f64 v[125:126], v[125:126], v[139:140]
	s_cbranch_execz .LBB125_422
	s_branch .LBB125_423
.LBB125_421:
                                        ; implicit-def: $vgpr125_vgpr126
.LBB125_422:
	ds_load_b64 v[125:126], v128
.LBB125_423:
	s_and_saveexec_b32 s4, s1
	s_cbranch_execz .LBB125_427
; %bb.424:
	v_mov_b32_e32 v139, 0
	v_subrev_nc_u32_e32 v140, 19, v0
	s_movk_i32 s5, 0x288
	s_mov_b32 s1, 0
	s_delay_alu instid0(VALU_DEP_2)
	v_add_nc_u32_e32 v139, 0x98, v139
.LBB125_425:                            ; =>This Inner Loop Header: Depth=1
	scratch_load_b64 v[141:142], v139, off
	v_dual_mov_b32 v143, s5 :: v_dual_add_nc_u32 v140, -1, v140
	v_add_nc_u32_e32 v139, 8, v139
	s_add_i32 s5, s5, 8
	ds_load_b64 v[143:144], v143
	v_cmp_eq_u32_e32 vcc_lo, 0, v140
	s_or_b32 s1, vcc_lo, s1
	s_waitcnt vmcnt(0) lgkmcnt(0)
	v_fma_f64 v[125:126], v[141:142], v[143:144], v[125:126]
	s_and_not1_b32 exec_lo, exec_lo, s1
	s_cbranch_execnz .LBB125_425
; %bb.426:
	s_or_b32 exec_lo, exec_lo, s1
.LBB125_427:
	s_delay_alu instid0(SALU_CYCLE_1)
	s_or_b32 exec_lo, exec_lo, s4
	v_mov_b32_e32 v139, 0
	ds_load_b64 v[139:140], v139 offset:144
	s_waitcnt lgkmcnt(0)
	v_mul_f64 v[125:126], v[125:126], v[139:140]
	scratch_store_b64 off, v[125:126], off offset:144
.LBB125_428:
	s_or_b32 exec_lo, exec_lo, s3
	scratch_load_b64 v[125:126], off, off offset:136
	v_cmp_lt_u32_e64 s1, 17, v0
	s_waitcnt vmcnt(0)
	ds_store_b64 v128, v[125:126]
	s_waitcnt lgkmcnt(0)
	s_waitcnt_vscnt null, 0x0
	s_barrier
	buffer_gl0_inv
	s_and_saveexec_b32 s3, s1
	s_cbranch_execz .LBB125_438
; %bb.429:
	s_and_not1_b32 vcc_lo, exec_lo, s2
	s_cbranch_vccnz .LBB125_431
; %bb.430:
	scratch_load_b64 v[125:126], v129, off
	ds_load_b64 v[139:140], v128
	s_waitcnt vmcnt(0) lgkmcnt(0)
	v_mul_f64 v[125:126], v[125:126], v[139:140]
	s_cbranch_execz .LBB125_432
	s_branch .LBB125_433
.LBB125_431:
                                        ; implicit-def: $vgpr125_vgpr126
.LBB125_432:
	ds_load_b64 v[125:126], v128
.LBB125_433:
	s_and_saveexec_b32 s4, s0
	s_cbranch_execz .LBB125_437
; %bb.434:
	v_subrev_nc_u32_e32 v139, 18, v0
	s_movk_i32 s5, 0x280
	s_mov_b32 s0, 0
.LBB125_435:                            ; =>This Inner Loop Header: Depth=1
	scratch_load_b64 v[140:141], v138, off
	v_dual_mov_b32 v142, s5 :: v_dual_add_nc_u32 v139, -1, v139
	v_add_nc_u32_e32 v138, 8, v138
	s_add_i32 s5, s5, 8
	ds_load_b64 v[142:143], v142
	v_cmp_eq_u32_e32 vcc_lo, 0, v139
	s_or_b32 s0, vcc_lo, s0
	s_waitcnt vmcnt(0) lgkmcnt(0)
	v_fma_f64 v[125:126], v[140:141], v[142:143], v[125:126]
	s_and_not1_b32 exec_lo, exec_lo, s0
	s_cbranch_execnz .LBB125_435
; %bb.436:
	s_or_b32 exec_lo, exec_lo, s0
.LBB125_437:
	s_delay_alu instid0(SALU_CYCLE_1)
	s_or_b32 exec_lo, exec_lo, s4
	v_mov_b32_e32 v138, 0
	ds_load_b64 v[138:139], v138 offset:136
	s_waitcnt lgkmcnt(0)
	v_mul_f64 v[125:126], v[125:126], v[138:139]
	scratch_store_b64 off, v[125:126], off offset:136
.LBB125_438:
	s_or_b32 exec_lo, exec_lo, s3
	scratch_load_b64 v[125:126], off, off offset:128
	v_cmp_lt_u32_e64 s0, 16, v0
	s_waitcnt vmcnt(0)
	ds_store_b64 v128, v[125:126]
	s_waitcnt lgkmcnt(0)
	s_waitcnt_vscnt null, 0x0
	s_barrier
	buffer_gl0_inv
	s_and_saveexec_b32 s3, s0
	s_cbranch_execz .LBB125_448
; %bb.439:
	s_and_not1_b32 vcc_lo, exec_lo, s2
	s_cbranch_vccnz .LBB125_441
; %bb.440:
	scratch_load_b64 v[125:126], v129, off
	ds_load_b64 v[138:139], v128
	s_waitcnt vmcnt(0) lgkmcnt(0)
	v_mul_f64 v[125:126], v[125:126], v[138:139]
	s_cbranch_execz .LBB125_442
	s_branch .LBB125_443
.LBB125_441:
                                        ; implicit-def: $vgpr125_vgpr126
.LBB125_442:
	ds_load_b64 v[125:126], v128
.LBB125_443:
	s_and_saveexec_b32 s4, s1
	s_cbranch_execz .LBB125_447
; %bb.444:
	v_mov_b32_e32 v138, 0
	v_subrev_nc_u32_e32 v139, 17, v0
	s_movk_i32 s5, 0x278
	s_mov_b32 s1, 0
	s_delay_alu instid0(VALU_DEP_2)
	v_add_nc_u32_e32 v138, 0x88, v138
.LBB125_445:                            ; =>This Inner Loop Header: Depth=1
	scratch_load_b64 v[140:141], v138, off
	v_dual_mov_b32 v142, s5 :: v_dual_add_nc_u32 v139, -1, v139
	v_add_nc_u32_e32 v138, 8, v138
	s_add_i32 s5, s5, 8
	ds_load_b64 v[142:143], v142
	v_cmp_eq_u32_e32 vcc_lo, 0, v139
	s_or_b32 s1, vcc_lo, s1
	s_waitcnt vmcnt(0) lgkmcnt(0)
	v_fma_f64 v[125:126], v[140:141], v[142:143], v[125:126]
	s_and_not1_b32 exec_lo, exec_lo, s1
	s_cbranch_execnz .LBB125_445
; %bb.446:
	s_or_b32 exec_lo, exec_lo, s1
.LBB125_447:
	s_delay_alu instid0(SALU_CYCLE_1)
	s_or_b32 exec_lo, exec_lo, s4
	v_mov_b32_e32 v138, 0
	ds_load_b64 v[138:139], v138 offset:128
	s_waitcnt lgkmcnt(0)
	v_mul_f64 v[125:126], v[125:126], v[138:139]
	scratch_store_b64 off, v[125:126], off offset:128
.LBB125_448:
	s_or_b32 exec_lo, exec_lo, s3
	scratch_load_b64 v[125:126], off, off offset:120
	v_cmp_lt_u32_e64 s1, 15, v0
	s_waitcnt vmcnt(0)
	ds_store_b64 v128, v[125:126]
	s_waitcnt lgkmcnt(0)
	s_waitcnt_vscnt null, 0x0
	s_barrier
	buffer_gl0_inv
	s_and_saveexec_b32 s3, s1
	s_cbranch_execz .LBB125_458
; %bb.449:
	s_and_not1_b32 vcc_lo, exec_lo, s2
	s_cbranch_vccnz .LBB125_451
; %bb.450:
	scratch_load_b64 v[125:126], v129, off
	ds_load_b64 v[138:139], v128
	s_waitcnt vmcnt(0) lgkmcnt(0)
	v_mul_f64 v[125:126], v[125:126], v[138:139]
	s_cbranch_execz .LBB125_452
	s_branch .LBB125_453
.LBB125_451:
                                        ; implicit-def: $vgpr125_vgpr126
.LBB125_452:
	ds_load_b64 v[125:126], v128
.LBB125_453:
	s_and_saveexec_b32 s4, s0
	s_cbranch_execz .LBB125_457
; %bb.454:
	v_add_nc_u32_e32 v138, -16, v0
	s_movk_i32 s5, 0x270
	s_mov_b32 s0, 0
.LBB125_455:                            ; =>This Inner Loop Header: Depth=1
	scratch_load_b64 v[139:140], v137, off
	v_dual_mov_b32 v141, s5 :: v_dual_add_nc_u32 v138, -1, v138
	v_add_nc_u32_e32 v137, 8, v137
	s_add_i32 s5, s5, 8
	ds_load_b64 v[141:142], v141
	v_cmp_eq_u32_e32 vcc_lo, 0, v138
	s_or_b32 s0, vcc_lo, s0
	s_waitcnt vmcnt(0) lgkmcnt(0)
	v_fma_f64 v[125:126], v[139:140], v[141:142], v[125:126]
	s_and_not1_b32 exec_lo, exec_lo, s0
	s_cbranch_execnz .LBB125_455
; %bb.456:
	s_or_b32 exec_lo, exec_lo, s0
.LBB125_457:
	s_delay_alu instid0(SALU_CYCLE_1)
	s_or_b32 exec_lo, exec_lo, s4
	v_mov_b32_e32 v137, 0
	ds_load_b64 v[137:138], v137 offset:120
	s_waitcnt lgkmcnt(0)
	v_mul_f64 v[125:126], v[125:126], v[137:138]
	scratch_store_b64 off, v[125:126], off offset:120
.LBB125_458:
	s_or_b32 exec_lo, exec_lo, s3
	scratch_load_b64 v[125:126], off, off offset:112
	v_cmp_lt_u32_e64 s0, 14, v0
	s_waitcnt vmcnt(0)
	ds_store_b64 v128, v[125:126]
	s_waitcnt lgkmcnt(0)
	s_waitcnt_vscnt null, 0x0
	s_barrier
	buffer_gl0_inv
	s_and_saveexec_b32 s3, s0
	s_cbranch_execz .LBB125_468
; %bb.459:
	s_and_not1_b32 vcc_lo, exec_lo, s2
	s_cbranch_vccnz .LBB125_461
; %bb.460:
	scratch_load_b64 v[125:126], v129, off
	ds_load_b64 v[137:138], v128
	s_waitcnt vmcnt(0) lgkmcnt(0)
	v_mul_f64 v[125:126], v[125:126], v[137:138]
	s_cbranch_execz .LBB125_462
	s_branch .LBB125_463
.LBB125_461:
                                        ; implicit-def: $vgpr125_vgpr126
.LBB125_462:
	ds_load_b64 v[125:126], v128
.LBB125_463:
	s_and_saveexec_b32 s4, s1
	s_cbranch_execz .LBB125_467
; %bb.464:
	v_dual_mov_b32 v137, 0 :: v_dual_add_nc_u32 v138, -15, v0
	s_movk_i32 s5, 0x268
	s_mov_b32 s1, 0
	s_delay_alu instid0(VALU_DEP_1)
	v_add_nc_u32_e32 v137, 0x78, v137
.LBB125_465:                            ; =>This Inner Loop Header: Depth=1
	scratch_load_b64 v[139:140], v137, off
	v_dual_mov_b32 v141, s5 :: v_dual_add_nc_u32 v138, -1, v138
	v_add_nc_u32_e32 v137, 8, v137
	s_add_i32 s5, s5, 8
	ds_load_b64 v[141:142], v141
	v_cmp_eq_u32_e32 vcc_lo, 0, v138
	s_or_b32 s1, vcc_lo, s1
	s_waitcnt vmcnt(0) lgkmcnt(0)
	v_fma_f64 v[125:126], v[139:140], v[141:142], v[125:126]
	s_and_not1_b32 exec_lo, exec_lo, s1
	s_cbranch_execnz .LBB125_465
; %bb.466:
	s_or_b32 exec_lo, exec_lo, s1
.LBB125_467:
	s_delay_alu instid0(SALU_CYCLE_1)
	s_or_b32 exec_lo, exec_lo, s4
	v_mov_b32_e32 v137, 0
	ds_load_b64 v[137:138], v137 offset:112
	s_waitcnt lgkmcnt(0)
	v_mul_f64 v[125:126], v[125:126], v[137:138]
	scratch_store_b64 off, v[125:126], off offset:112
.LBB125_468:
	s_or_b32 exec_lo, exec_lo, s3
	scratch_load_b64 v[125:126], off, off offset:104
	v_cmp_lt_u32_e64 s1, 13, v0
	s_waitcnt vmcnt(0)
	ds_store_b64 v128, v[125:126]
	s_waitcnt lgkmcnt(0)
	s_waitcnt_vscnt null, 0x0
	s_barrier
	buffer_gl0_inv
	s_and_saveexec_b32 s3, s1
	s_cbranch_execz .LBB125_478
; %bb.469:
	s_and_not1_b32 vcc_lo, exec_lo, s2
	s_cbranch_vccnz .LBB125_471
; %bb.470:
	scratch_load_b64 v[125:126], v129, off
	ds_load_b64 v[137:138], v128
	s_waitcnt vmcnt(0) lgkmcnt(0)
	v_mul_f64 v[125:126], v[125:126], v[137:138]
	s_cbranch_execz .LBB125_472
	s_branch .LBB125_473
.LBB125_471:
                                        ; implicit-def: $vgpr125_vgpr126
.LBB125_472:
	ds_load_b64 v[125:126], v128
.LBB125_473:
	s_and_saveexec_b32 s4, s0
	s_cbranch_execz .LBB125_477
; %bb.474:
	v_add_nc_u32_e32 v137, -14, v0
	s_movk_i32 s5, 0x260
	s_mov_b32 s0, 0
.LBB125_475:                            ; =>This Inner Loop Header: Depth=1
	scratch_load_b64 v[138:139], v136, off
	v_dual_mov_b32 v140, s5 :: v_dual_add_nc_u32 v137, -1, v137
	v_add_nc_u32_e32 v136, 8, v136
	s_add_i32 s5, s5, 8
	ds_load_b64 v[140:141], v140
	v_cmp_eq_u32_e32 vcc_lo, 0, v137
	s_or_b32 s0, vcc_lo, s0
	s_waitcnt vmcnt(0) lgkmcnt(0)
	v_fma_f64 v[125:126], v[138:139], v[140:141], v[125:126]
	s_and_not1_b32 exec_lo, exec_lo, s0
	s_cbranch_execnz .LBB125_475
; %bb.476:
	s_or_b32 exec_lo, exec_lo, s0
.LBB125_477:
	s_delay_alu instid0(SALU_CYCLE_1)
	s_or_b32 exec_lo, exec_lo, s4
	v_mov_b32_e32 v136, 0
	ds_load_b64 v[136:137], v136 offset:104
	s_waitcnt lgkmcnt(0)
	v_mul_f64 v[125:126], v[125:126], v[136:137]
	scratch_store_b64 off, v[125:126], off offset:104
.LBB125_478:
	s_or_b32 exec_lo, exec_lo, s3
	scratch_load_b64 v[125:126], off, off offset:96
	v_cmp_lt_u32_e64 s0, 12, v0
	s_waitcnt vmcnt(0)
	ds_store_b64 v128, v[125:126]
	s_waitcnt lgkmcnt(0)
	s_waitcnt_vscnt null, 0x0
	s_barrier
	buffer_gl0_inv
	s_and_saveexec_b32 s3, s0
	s_cbranch_execz .LBB125_488
; %bb.479:
	s_and_not1_b32 vcc_lo, exec_lo, s2
	s_cbranch_vccnz .LBB125_481
; %bb.480:
	scratch_load_b64 v[125:126], v129, off
	ds_load_b64 v[136:137], v128
	s_waitcnt vmcnt(0) lgkmcnt(0)
	v_mul_f64 v[125:126], v[125:126], v[136:137]
	s_cbranch_execz .LBB125_482
	s_branch .LBB125_483
.LBB125_481:
                                        ; implicit-def: $vgpr125_vgpr126
.LBB125_482:
	ds_load_b64 v[125:126], v128
.LBB125_483:
	s_and_saveexec_b32 s4, s1
	s_cbranch_execz .LBB125_487
; %bb.484:
	v_dual_mov_b32 v136, 0 :: v_dual_add_nc_u32 v137, -13, v0
	s_movk_i32 s5, 0x258
	s_mov_b32 s1, 0
	s_delay_alu instid0(VALU_DEP_1)
	v_add_nc_u32_e32 v136, 0x68, v136
.LBB125_485:                            ; =>This Inner Loop Header: Depth=1
	scratch_load_b64 v[138:139], v136, off
	v_dual_mov_b32 v140, s5 :: v_dual_add_nc_u32 v137, -1, v137
	v_add_nc_u32_e32 v136, 8, v136
	s_add_i32 s5, s5, 8
	ds_load_b64 v[140:141], v140
	v_cmp_eq_u32_e32 vcc_lo, 0, v137
	s_or_b32 s1, vcc_lo, s1
	s_waitcnt vmcnt(0) lgkmcnt(0)
	v_fma_f64 v[125:126], v[138:139], v[140:141], v[125:126]
	s_and_not1_b32 exec_lo, exec_lo, s1
	s_cbranch_execnz .LBB125_485
; %bb.486:
	s_or_b32 exec_lo, exec_lo, s1
.LBB125_487:
	s_delay_alu instid0(SALU_CYCLE_1)
	s_or_b32 exec_lo, exec_lo, s4
	v_mov_b32_e32 v136, 0
	ds_load_b64 v[136:137], v136 offset:96
	s_waitcnt lgkmcnt(0)
	v_mul_f64 v[125:126], v[125:126], v[136:137]
	scratch_store_b64 off, v[125:126], off offset:96
.LBB125_488:
	s_or_b32 exec_lo, exec_lo, s3
	scratch_load_b64 v[125:126], off, off offset:88
	v_cmp_lt_u32_e64 s1, 11, v0
	s_waitcnt vmcnt(0)
	ds_store_b64 v128, v[125:126]
	s_waitcnt lgkmcnt(0)
	s_waitcnt_vscnt null, 0x0
	s_barrier
	buffer_gl0_inv
	s_and_saveexec_b32 s3, s1
	s_cbranch_execz .LBB125_498
; %bb.489:
	s_and_not1_b32 vcc_lo, exec_lo, s2
	s_cbranch_vccnz .LBB125_491
; %bb.490:
	scratch_load_b64 v[125:126], v129, off
	ds_load_b64 v[136:137], v128
	s_waitcnt vmcnt(0) lgkmcnt(0)
	v_mul_f64 v[125:126], v[125:126], v[136:137]
	s_cbranch_execz .LBB125_492
	s_branch .LBB125_493
.LBB125_491:
                                        ; implicit-def: $vgpr125_vgpr126
.LBB125_492:
	ds_load_b64 v[125:126], v128
.LBB125_493:
	s_and_saveexec_b32 s4, s0
	s_cbranch_execz .LBB125_497
; %bb.494:
	v_add_nc_u32_e32 v136, -12, v0
	s_movk_i32 s5, 0x250
	s_mov_b32 s0, 0
.LBB125_495:                            ; =>This Inner Loop Header: Depth=1
	scratch_load_b64 v[137:138], v135, off
	v_dual_mov_b32 v139, s5 :: v_dual_add_nc_u32 v136, -1, v136
	v_add_nc_u32_e32 v135, 8, v135
	s_add_i32 s5, s5, 8
	ds_load_b64 v[139:140], v139
	v_cmp_eq_u32_e32 vcc_lo, 0, v136
	s_or_b32 s0, vcc_lo, s0
	s_waitcnt vmcnt(0) lgkmcnt(0)
	v_fma_f64 v[125:126], v[137:138], v[139:140], v[125:126]
	s_and_not1_b32 exec_lo, exec_lo, s0
	s_cbranch_execnz .LBB125_495
; %bb.496:
	s_or_b32 exec_lo, exec_lo, s0
.LBB125_497:
	s_delay_alu instid0(SALU_CYCLE_1)
	s_or_b32 exec_lo, exec_lo, s4
	v_mov_b32_e32 v135, 0
	ds_load_b64 v[135:136], v135 offset:88
	s_waitcnt lgkmcnt(0)
	v_mul_f64 v[125:126], v[125:126], v[135:136]
	scratch_store_b64 off, v[125:126], off offset:88
.LBB125_498:
	s_or_b32 exec_lo, exec_lo, s3
	scratch_load_b64 v[125:126], off, off offset:80
	v_cmp_lt_u32_e64 s0, 10, v0
	s_waitcnt vmcnt(0)
	ds_store_b64 v128, v[125:126]
	s_waitcnt lgkmcnt(0)
	s_waitcnt_vscnt null, 0x0
	s_barrier
	buffer_gl0_inv
	s_and_saveexec_b32 s3, s0
	s_cbranch_execz .LBB125_508
; %bb.499:
	s_and_not1_b32 vcc_lo, exec_lo, s2
	s_cbranch_vccnz .LBB125_501
; %bb.500:
	scratch_load_b64 v[125:126], v129, off
	ds_load_b64 v[135:136], v128
	s_waitcnt vmcnt(0) lgkmcnt(0)
	v_mul_f64 v[125:126], v[125:126], v[135:136]
	s_cbranch_execz .LBB125_502
	s_branch .LBB125_503
.LBB125_501:
                                        ; implicit-def: $vgpr125_vgpr126
.LBB125_502:
	ds_load_b64 v[125:126], v128
.LBB125_503:
	s_and_saveexec_b32 s4, s1
	s_cbranch_execz .LBB125_507
; %bb.504:
	v_dual_mov_b32 v135, 0 :: v_dual_add_nc_u32 v136, -11, v0
	s_movk_i32 s5, 0x248
	s_mov_b32 s1, 0
	s_delay_alu instid0(VALU_DEP_1)
	v_add_nc_u32_e32 v135, 0x58, v135
.LBB125_505:                            ; =>This Inner Loop Header: Depth=1
	scratch_load_b64 v[137:138], v135, off
	v_dual_mov_b32 v139, s5 :: v_dual_add_nc_u32 v136, -1, v136
	v_add_nc_u32_e32 v135, 8, v135
	s_add_i32 s5, s5, 8
	ds_load_b64 v[139:140], v139
	v_cmp_eq_u32_e32 vcc_lo, 0, v136
	s_or_b32 s1, vcc_lo, s1
	s_waitcnt vmcnt(0) lgkmcnt(0)
	v_fma_f64 v[125:126], v[137:138], v[139:140], v[125:126]
	s_and_not1_b32 exec_lo, exec_lo, s1
	s_cbranch_execnz .LBB125_505
; %bb.506:
	s_or_b32 exec_lo, exec_lo, s1
.LBB125_507:
	s_delay_alu instid0(SALU_CYCLE_1)
	s_or_b32 exec_lo, exec_lo, s4
	v_mov_b32_e32 v135, 0
	ds_load_b64 v[135:136], v135 offset:80
	s_waitcnt lgkmcnt(0)
	v_mul_f64 v[125:126], v[125:126], v[135:136]
	scratch_store_b64 off, v[125:126], off offset:80
.LBB125_508:
	s_or_b32 exec_lo, exec_lo, s3
	scratch_load_b64 v[125:126], off, off offset:72
	v_cmp_lt_u32_e64 s1, 9, v0
	s_waitcnt vmcnt(0)
	ds_store_b64 v128, v[125:126]
	s_waitcnt lgkmcnt(0)
	s_waitcnt_vscnt null, 0x0
	s_barrier
	buffer_gl0_inv
	s_and_saveexec_b32 s3, s1
	s_cbranch_execz .LBB125_518
; %bb.509:
	s_and_not1_b32 vcc_lo, exec_lo, s2
	s_cbranch_vccnz .LBB125_511
; %bb.510:
	scratch_load_b64 v[125:126], v129, off
	ds_load_b64 v[135:136], v128
	s_waitcnt vmcnt(0) lgkmcnt(0)
	v_mul_f64 v[125:126], v[125:126], v[135:136]
	s_cbranch_execz .LBB125_512
	s_branch .LBB125_513
.LBB125_511:
                                        ; implicit-def: $vgpr125_vgpr126
.LBB125_512:
	ds_load_b64 v[125:126], v128
.LBB125_513:
	s_and_saveexec_b32 s4, s0
	s_cbranch_execz .LBB125_517
; %bb.514:
	v_add_nc_u32_e32 v135, -10, v0
	s_movk_i32 s5, 0x240
	s_mov_b32 s0, 0
.LBB125_515:                            ; =>This Inner Loop Header: Depth=1
	scratch_load_b64 v[136:137], v134, off
	v_dual_mov_b32 v138, s5 :: v_dual_add_nc_u32 v135, -1, v135
	v_add_nc_u32_e32 v134, 8, v134
	s_add_i32 s5, s5, 8
	ds_load_b64 v[138:139], v138
	v_cmp_eq_u32_e32 vcc_lo, 0, v135
	s_or_b32 s0, vcc_lo, s0
	s_waitcnt vmcnt(0) lgkmcnt(0)
	v_fma_f64 v[125:126], v[136:137], v[138:139], v[125:126]
	s_and_not1_b32 exec_lo, exec_lo, s0
	s_cbranch_execnz .LBB125_515
; %bb.516:
	s_or_b32 exec_lo, exec_lo, s0
.LBB125_517:
	s_delay_alu instid0(SALU_CYCLE_1)
	s_or_b32 exec_lo, exec_lo, s4
	v_mov_b32_e32 v134, 0
	ds_load_b64 v[134:135], v134 offset:72
	s_waitcnt lgkmcnt(0)
	v_mul_f64 v[125:126], v[125:126], v[134:135]
	scratch_store_b64 off, v[125:126], off offset:72
.LBB125_518:
	s_or_b32 exec_lo, exec_lo, s3
	scratch_load_b64 v[125:126], off, off offset:64
	v_cmp_lt_u32_e64 s0, 8, v0
	s_waitcnt vmcnt(0)
	ds_store_b64 v128, v[125:126]
	s_waitcnt lgkmcnt(0)
	s_waitcnt_vscnt null, 0x0
	s_barrier
	buffer_gl0_inv
	s_and_saveexec_b32 s3, s0
	s_cbranch_execz .LBB125_528
; %bb.519:
	s_and_not1_b32 vcc_lo, exec_lo, s2
	s_cbranch_vccnz .LBB125_521
; %bb.520:
	scratch_load_b64 v[125:126], v129, off
	ds_load_b64 v[134:135], v128
	s_waitcnt vmcnt(0) lgkmcnt(0)
	v_mul_f64 v[125:126], v[125:126], v[134:135]
	s_cbranch_execz .LBB125_522
	s_branch .LBB125_523
.LBB125_521:
                                        ; implicit-def: $vgpr125_vgpr126
.LBB125_522:
	ds_load_b64 v[125:126], v128
.LBB125_523:
	s_and_saveexec_b32 s4, s1
	s_cbranch_execz .LBB125_527
; %bb.524:
	v_dual_mov_b32 v134, 0 :: v_dual_add_nc_u32 v135, -9, v0
	s_movk_i32 s5, 0x238
	s_mov_b32 s1, 0
	s_delay_alu instid0(VALU_DEP_1)
	v_add_nc_u32_e32 v134, 0x48, v134
.LBB125_525:                            ; =>This Inner Loop Header: Depth=1
	scratch_load_b64 v[136:137], v134, off
	v_dual_mov_b32 v138, s5 :: v_dual_add_nc_u32 v135, -1, v135
	v_add_nc_u32_e32 v134, 8, v134
	s_add_i32 s5, s5, 8
	ds_load_b64 v[138:139], v138
	v_cmp_eq_u32_e32 vcc_lo, 0, v135
	s_or_b32 s1, vcc_lo, s1
	s_waitcnt vmcnt(0) lgkmcnt(0)
	v_fma_f64 v[125:126], v[136:137], v[138:139], v[125:126]
	s_and_not1_b32 exec_lo, exec_lo, s1
	s_cbranch_execnz .LBB125_525
; %bb.526:
	s_or_b32 exec_lo, exec_lo, s1
.LBB125_527:
	s_delay_alu instid0(SALU_CYCLE_1)
	s_or_b32 exec_lo, exec_lo, s4
	v_mov_b32_e32 v134, 0
	ds_load_b64 v[134:135], v134 offset:64
	s_waitcnt lgkmcnt(0)
	v_mul_f64 v[125:126], v[125:126], v[134:135]
	scratch_store_b64 off, v[125:126], off offset:64
.LBB125_528:
	s_or_b32 exec_lo, exec_lo, s3
	scratch_load_b64 v[125:126], off, off offset:56
	v_cmp_lt_u32_e64 s1, 7, v0
	s_waitcnt vmcnt(0)
	ds_store_b64 v128, v[125:126]
	s_waitcnt lgkmcnt(0)
	s_waitcnt_vscnt null, 0x0
	s_barrier
	buffer_gl0_inv
	s_and_saveexec_b32 s3, s1
	s_cbranch_execz .LBB125_538
; %bb.529:
	s_and_not1_b32 vcc_lo, exec_lo, s2
	s_cbranch_vccnz .LBB125_531
; %bb.530:
	scratch_load_b64 v[125:126], v129, off
	ds_load_b64 v[134:135], v128
	s_waitcnt vmcnt(0) lgkmcnt(0)
	v_mul_f64 v[125:126], v[125:126], v[134:135]
	s_cbranch_execz .LBB125_532
	s_branch .LBB125_533
.LBB125_531:
                                        ; implicit-def: $vgpr125_vgpr126
.LBB125_532:
	ds_load_b64 v[125:126], v128
.LBB125_533:
	s_and_saveexec_b32 s4, s0
	s_cbranch_execz .LBB125_537
; %bb.534:
	v_add_nc_u32_e32 v134, -8, v0
	s_movk_i32 s5, 0x230
	s_mov_b32 s0, 0
.LBB125_535:                            ; =>This Inner Loop Header: Depth=1
	scratch_load_b64 v[135:136], v133, off
	v_dual_mov_b32 v137, s5 :: v_dual_add_nc_u32 v134, -1, v134
	v_add_nc_u32_e32 v133, 8, v133
	s_add_i32 s5, s5, 8
	ds_load_b64 v[137:138], v137
	v_cmp_eq_u32_e32 vcc_lo, 0, v134
	s_or_b32 s0, vcc_lo, s0
	s_waitcnt vmcnt(0) lgkmcnt(0)
	v_fma_f64 v[125:126], v[135:136], v[137:138], v[125:126]
	s_and_not1_b32 exec_lo, exec_lo, s0
	s_cbranch_execnz .LBB125_535
; %bb.536:
	s_or_b32 exec_lo, exec_lo, s0
.LBB125_537:
	s_delay_alu instid0(SALU_CYCLE_1)
	s_or_b32 exec_lo, exec_lo, s4
	v_mov_b32_e32 v133, 0
	ds_load_b64 v[133:134], v133 offset:56
	s_waitcnt lgkmcnt(0)
	v_mul_f64 v[125:126], v[125:126], v[133:134]
	scratch_store_b64 off, v[125:126], off offset:56
.LBB125_538:
	s_or_b32 exec_lo, exec_lo, s3
	scratch_load_b64 v[125:126], off, off offset:48
	v_cmp_lt_u32_e64 s0, 6, v0
	s_waitcnt vmcnt(0)
	ds_store_b64 v128, v[125:126]
	s_waitcnt lgkmcnt(0)
	s_waitcnt_vscnt null, 0x0
	s_barrier
	buffer_gl0_inv
	s_and_saveexec_b32 s3, s0
	s_cbranch_execz .LBB125_548
; %bb.539:
	s_and_not1_b32 vcc_lo, exec_lo, s2
	s_cbranch_vccnz .LBB125_541
; %bb.540:
	scratch_load_b64 v[125:126], v129, off
	ds_load_b64 v[133:134], v128
	s_waitcnt vmcnt(0) lgkmcnt(0)
	v_mul_f64 v[125:126], v[125:126], v[133:134]
	s_cbranch_execz .LBB125_542
	s_branch .LBB125_543
.LBB125_541:
                                        ; implicit-def: $vgpr125_vgpr126
.LBB125_542:
	ds_load_b64 v[125:126], v128
.LBB125_543:
	s_and_saveexec_b32 s4, s1
	s_cbranch_execz .LBB125_547
; %bb.544:
	v_add_nc_u32_e64 v133, 0, 56
	v_add_nc_u32_e32 v134, -7, v0
	s_movk_i32 s5, 0x228
	s_mov_b32 s1, 0
.LBB125_545:                            ; =>This Inner Loop Header: Depth=1
	scratch_load_b64 v[135:136], v133, off
	v_dual_mov_b32 v137, s5 :: v_dual_add_nc_u32 v134, -1, v134
	v_add_nc_u32_e32 v133, 8, v133
	s_add_i32 s5, s5, 8
	ds_load_b64 v[137:138], v137
	v_cmp_eq_u32_e32 vcc_lo, 0, v134
	s_or_b32 s1, vcc_lo, s1
	s_waitcnt vmcnt(0) lgkmcnt(0)
	v_fma_f64 v[125:126], v[135:136], v[137:138], v[125:126]
	s_and_not1_b32 exec_lo, exec_lo, s1
	s_cbranch_execnz .LBB125_545
; %bb.546:
	s_or_b32 exec_lo, exec_lo, s1
.LBB125_547:
	s_delay_alu instid0(SALU_CYCLE_1)
	s_or_b32 exec_lo, exec_lo, s4
	v_mov_b32_e32 v133, 0
	ds_load_b64 v[133:134], v133 offset:48
	s_waitcnt lgkmcnt(0)
	v_mul_f64 v[125:126], v[125:126], v[133:134]
	scratch_store_b64 off, v[125:126], off offset:48
.LBB125_548:
	s_or_b32 exec_lo, exec_lo, s3
	scratch_load_b64 v[125:126], off, off offset:40
	v_cmp_lt_u32_e64 s1, 5, v0
	s_waitcnt vmcnt(0)
	ds_store_b64 v128, v[125:126]
	s_waitcnt lgkmcnt(0)
	s_waitcnt_vscnt null, 0x0
	s_barrier
	buffer_gl0_inv
	s_and_saveexec_b32 s3, s1
	s_cbranch_execz .LBB125_558
; %bb.549:
	s_and_not1_b32 vcc_lo, exec_lo, s2
	s_cbranch_vccnz .LBB125_551
; %bb.550:
	scratch_load_b64 v[125:126], v129, off
	ds_load_b64 v[133:134], v128
	s_waitcnt vmcnt(0) lgkmcnt(0)
	v_mul_f64 v[125:126], v[125:126], v[133:134]
	s_cbranch_execz .LBB125_552
	s_branch .LBB125_553
.LBB125_551:
                                        ; implicit-def: $vgpr125_vgpr126
.LBB125_552:
	ds_load_b64 v[125:126], v128
.LBB125_553:
	s_and_saveexec_b32 s4, s0
	s_cbranch_execz .LBB125_557
; %bb.554:
	v_add_nc_u32_e32 v133, -6, v0
	s_movk_i32 s5, 0x220
	s_mov_b32 s0, 0
.LBB125_555:                            ; =>This Inner Loop Header: Depth=1
	scratch_load_b64 v[134:135], v132, off
	v_dual_mov_b32 v136, s5 :: v_dual_add_nc_u32 v133, -1, v133
	v_add_nc_u32_e32 v132, 8, v132
	s_add_i32 s5, s5, 8
	ds_load_b64 v[136:137], v136
	v_cmp_eq_u32_e32 vcc_lo, 0, v133
	s_or_b32 s0, vcc_lo, s0
	s_waitcnt vmcnt(0) lgkmcnt(0)
	v_fma_f64 v[125:126], v[134:135], v[136:137], v[125:126]
	s_and_not1_b32 exec_lo, exec_lo, s0
	s_cbranch_execnz .LBB125_555
; %bb.556:
	s_or_b32 exec_lo, exec_lo, s0
.LBB125_557:
	s_delay_alu instid0(SALU_CYCLE_1)
	s_or_b32 exec_lo, exec_lo, s4
	v_mov_b32_e32 v132, 0
	ds_load_b64 v[132:133], v132 offset:40
	s_waitcnt lgkmcnt(0)
	v_mul_f64 v[125:126], v[125:126], v[132:133]
	scratch_store_b64 off, v[125:126], off offset:40
.LBB125_558:
	s_or_b32 exec_lo, exec_lo, s3
	scratch_load_b64 v[125:126], off, off offset:32
	v_cmp_lt_u32_e64 s0, 4, v0
	s_waitcnt vmcnt(0)
	ds_store_b64 v128, v[125:126]
	s_waitcnt lgkmcnt(0)
	s_waitcnt_vscnt null, 0x0
	s_barrier
	buffer_gl0_inv
	s_and_saveexec_b32 s3, s0
	s_cbranch_execz .LBB125_568
; %bb.559:
	s_and_not1_b32 vcc_lo, exec_lo, s2
	s_cbranch_vccnz .LBB125_561
; %bb.560:
	scratch_load_b64 v[125:126], v129, off
	ds_load_b64 v[132:133], v128
	s_waitcnt vmcnt(0) lgkmcnt(0)
	v_mul_f64 v[125:126], v[125:126], v[132:133]
	s_cbranch_execz .LBB125_562
	s_branch .LBB125_563
.LBB125_561:
                                        ; implicit-def: $vgpr125_vgpr126
.LBB125_562:
	ds_load_b64 v[125:126], v128
.LBB125_563:
	s_and_saveexec_b32 s4, s1
	s_cbranch_execz .LBB125_567
; %bb.564:
	v_add_nc_u32_e64 v132, 0, 40
	v_add_nc_u32_e32 v133, -5, v0
	s_movk_i32 s5, 0x218
	s_mov_b32 s1, 0
.LBB125_565:                            ; =>This Inner Loop Header: Depth=1
	scratch_load_b64 v[134:135], v132, off
	v_dual_mov_b32 v136, s5 :: v_dual_add_nc_u32 v133, -1, v133
	v_add_nc_u32_e32 v132, 8, v132
	s_add_i32 s5, s5, 8
	ds_load_b64 v[136:137], v136
	v_cmp_eq_u32_e32 vcc_lo, 0, v133
	s_or_b32 s1, vcc_lo, s1
	s_waitcnt vmcnt(0) lgkmcnt(0)
	v_fma_f64 v[125:126], v[134:135], v[136:137], v[125:126]
	s_and_not1_b32 exec_lo, exec_lo, s1
	s_cbranch_execnz .LBB125_565
; %bb.566:
	s_or_b32 exec_lo, exec_lo, s1
.LBB125_567:
	s_delay_alu instid0(SALU_CYCLE_1)
	s_or_b32 exec_lo, exec_lo, s4
	v_mov_b32_e32 v132, 0
	ds_load_b64 v[132:133], v132 offset:32
	s_waitcnt lgkmcnt(0)
	v_mul_f64 v[125:126], v[125:126], v[132:133]
	scratch_store_b64 off, v[125:126], off offset:32
.LBB125_568:
	s_or_b32 exec_lo, exec_lo, s3
	scratch_load_b64 v[125:126], off, off offset:24
	v_cmp_lt_u32_e64 s1, 3, v0
	s_waitcnt vmcnt(0)
	ds_store_b64 v128, v[125:126]
	s_waitcnt lgkmcnt(0)
	s_waitcnt_vscnt null, 0x0
	s_barrier
	buffer_gl0_inv
	s_and_saveexec_b32 s3, s1
	s_cbranch_execz .LBB125_578
; %bb.569:
	s_and_not1_b32 vcc_lo, exec_lo, s2
	s_cbranch_vccnz .LBB125_571
; %bb.570:
	scratch_load_b64 v[125:126], v129, off
	ds_load_b64 v[132:133], v128
	s_waitcnt vmcnt(0) lgkmcnt(0)
	v_mul_f64 v[125:126], v[125:126], v[132:133]
	s_cbranch_execz .LBB125_572
	s_branch .LBB125_573
.LBB125_571:
                                        ; implicit-def: $vgpr125_vgpr126
.LBB125_572:
	ds_load_b64 v[125:126], v128
.LBB125_573:
	s_and_saveexec_b32 s4, s0
	s_cbranch_execz .LBB125_577
; %bb.574:
	v_add_nc_u32_e32 v132, -4, v0
	s_movk_i32 s5, 0x210
	s_mov_b32 s0, 0
.LBB125_575:                            ; =>This Inner Loop Header: Depth=1
	scratch_load_b64 v[133:134], v131, off
	v_dual_mov_b32 v135, s5 :: v_dual_add_nc_u32 v132, -1, v132
	v_add_nc_u32_e32 v131, 8, v131
	s_add_i32 s5, s5, 8
	ds_load_b64 v[135:136], v135
	v_cmp_eq_u32_e32 vcc_lo, 0, v132
	s_or_b32 s0, vcc_lo, s0
	s_waitcnt vmcnt(0) lgkmcnt(0)
	v_fma_f64 v[125:126], v[133:134], v[135:136], v[125:126]
	s_and_not1_b32 exec_lo, exec_lo, s0
	s_cbranch_execnz .LBB125_575
; %bb.576:
	s_or_b32 exec_lo, exec_lo, s0
.LBB125_577:
	s_delay_alu instid0(SALU_CYCLE_1)
	s_or_b32 exec_lo, exec_lo, s4
	v_mov_b32_e32 v131, 0
	ds_load_b64 v[131:132], v131 offset:24
	s_waitcnt lgkmcnt(0)
	v_mul_f64 v[125:126], v[125:126], v[131:132]
	scratch_store_b64 off, v[125:126], off offset:24
.LBB125_578:
	s_or_b32 exec_lo, exec_lo, s3
	scratch_load_b64 v[125:126], off, off offset:16
	v_cmp_lt_u32_e64 s0, 2, v0
	s_waitcnt vmcnt(0)
	ds_store_b64 v128, v[125:126]
	s_waitcnt lgkmcnt(0)
	s_waitcnt_vscnt null, 0x0
	s_barrier
	buffer_gl0_inv
	s_and_saveexec_b32 s3, s0
	s_cbranch_execz .LBB125_588
; %bb.579:
	s_and_not1_b32 vcc_lo, exec_lo, s2
	s_cbranch_vccnz .LBB125_581
; %bb.580:
	scratch_load_b64 v[125:126], v129, off
	ds_load_b64 v[131:132], v128
	s_waitcnt vmcnt(0) lgkmcnt(0)
	v_mul_f64 v[125:126], v[125:126], v[131:132]
	s_cbranch_execz .LBB125_582
	s_branch .LBB125_583
.LBB125_581:
                                        ; implicit-def: $vgpr125_vgpr126
.LBB125_582:
	ds_load_b64 v[125:126], v128
.LBB125_583:
	s_and_saveexec_b32 s4, s1
	s_cbranch_execz .LBB125_587
; %bb.584:
	v_add_nc_u32_e64 v131, 0, 24
	v_add_nc_u32_e32 v132, -3, v0
	s_movk_i32 s5, 0x208
	s_mov_b32 s1, 0
.LBB125_585:                            ; =>This Inner Loop Header: Depth=1
	scratch_load_b64 v[133:134], v131, off
	v_dual_mov_b32 v135, s5 :: v_dual_add_nc_u32 v132, -1, v132
	v_add_nc_u32_e32 v131, 8, v131
	s_add_i32 s5, s5, 8
	ds_load_b64 v[135:136], v135
	v_cmp_eq_u32_e32 vcc_lo, 0, v132
	s_or_b32 s1, vcc_lo, s1
	s_waitcnt vmcnt(0) lgkmcnt(0)
	v_fma_f64 v[125:126], v[133:134], v[135:136], v[125:126]
	s_and_not1_b32 exec_lo, exec_lo, s1
	s_cbranch_execnz .LBB125_585
; %bb.586:
	s_or_b32 exec_lo, exec_lo, s1
.LBB125_587:
	s_delay_alu instid0(SALU_CYCLE_1)
	s_or_b32 exec_lo, exec_lo, s4
	v_mov_b32_e32 v131, 0
	ds_load_b64 v[131:132], v131 offset:16
	s_waitcnt lgkmcnt(0)
	v_mul_f64 v[125:126], v[125:126], v[131:132]
	scratch_store_b64 off, v[125:126], off offset:16
.LBB125_588:
	s_or_b32 exec_lo, exec_lo, s3
	scratch_load_b64 v[125:126], off, off offset:8
	v_cmp_lt_u32_e64 s1, 1, v0
	s_waitcnt vmcnt(0)
	ds_store_b64 v128, v[125:126]
	s_waitcnt lgkmcnt(0)
	s_waitcnt_vscnt null, 0x0
	s_barrier
	buffer_gl0_inv
	s_and_saveexec_b32 s3, s1
	s_cbranch_execz .LBB125_598
; %bb.589:
	s_and_not1_b32 vcc_lo, exec_lo, s2
	s_cbranch_vccnz .LBB125_591
; %bb.590:
	scratch_load_b64 v[125:126], v129, off
	ds_load_b64 v[131:132], v128
	s_waitcnt vmcnt(0) lgkmcnt(0)
	v_mul_f64 v[125:126], v[125:126], v[131:132]
	s_cbranch_execz .LBB125_592
	s_branch .LBB125_593
.LBB125_591:
                                        ; implicit-def: $vgpr125_vgpr126
.LBB125_592:
	ds_load_b64 v[125:126], v128
.LBB125_593:
	s_and_saveexec_b32 s4, s0
	s_cbranch_execz .LBB125_597
; %bb.594:
	v_add_nc_u32_e32 v131, -2, v0
	s_movk_i32 s5, 0x200
	s_mov_b32 s0, 0
.LBB125_595:                            ; =>This Inner Loop Header: Depth=1
	scratch_load_b64 v[132:133], v130, off
	v_dual_mov_b32 v134, s5 :: v_dual_add_nc_u32 v131, -1, v131
	v_add_nc_u32_e32 v130, 8, v130
	s_add_i32 s5, s5, 8
	ds_load_b64 v[134:135], v134
	v_cmp_eq_u32_e32 vcc_lo, 0, v131
	s_or_b32 s0, vcc_lo, s0
	s_waitcnt vmcnt(0) lgkmcnt(0)
	v_fma_f64 v[125:126], v[132:133], v[134:135], v[125:126]
	s_and_not1_b32 exec_lo, exec_lo, s0
	s_cbranch_execnz .LBB125_595
; %bb.596:
	s_or_b32 exec_lo, exec_lo, s0
.LBB125_597:
	s_delay_alu instid0(SALU_CYCLE_1)
	s_or_b32 exec_lo, exec_lo, s4
	v_mov_b32_e32 v130, 0
	ds_load_b64 v[130:131], v130 offset:8
	s_waitcnt lgkmcnt(0)
	v_mul_f64 v[125:126], v[125:126], v[130:131]
	scratch_store_b64 off, v[125:126], off offset:8
.LBB125_598:
	s_or_b32 exec_lo, exec_lo, s3
	scratch_load_b64 v[125:126], off, off
	s_mov_b32 s0, 0
	s_mov_b32 s3, exec_lo
	s_waitcnt vmcnt(0)
	ds_store_b64 v128, v[125:126]
	s_waitcnt lgkmcnt(0)
	s_waitcnt_vscnt null, 0x0
	s_barrier
	buffer_gl0_inv
	v_cmpx_ne_u32_e32 0, v0
	s_cbranch_execz .LBB125_608
; %bb.599:
	s_and_not1_b32 vcc_lo, exec_lo, s2
	s_cbranch_vccnz .LBB125_601
; %bb.600:
	scratch_load_b64 v[125:126], v129, off
	ds_load_b64 v[130:131], v128
	s_waitcnt vmcnt(0) lgkmcnt(0)
	v_mul_f64 v[125:126], v[125:126], v[130:131]
	s_cbranch_execz .LBB125_602
	s_branch .LBB125_603
.LBB125_601:
                                        ; implicit-def: $vgpr125_vgpr126
.LBB125_602:
	ds_load_b64 v[125:126], v128
.LBB125_603:
	s_and_saveexec_b32 s4, s1
	s_cbranch_execz .LBB125_607
; %bb.604:
	v_or_b32_e64 v130, 0, 8
	v_add_nc_u32_e32 v131, -1, v0
	s_movk_i32 s5, 0x1f8
	s_mov_b32 s1, 0
.LBB125_605:                            ; =>This Inner Loop Header: Depth=1
	scratch_load_b64 v[132:133], v130, off
	v_dual_mov_b32 v134, s5 :: v_dual_add_nc_u32 v131, -1, v131
	v_add_nc_u32_e32 v130, 8, v130
	s_add_i32 s5, s5, 8
	ds_load_b64 v[134:135], v134
	v_cmp_eq_u32_e32 vcc_lo, 0, v131
	s_or_b32 s1, vcc_lo, s1
	s_waitcnt vmcnt(0) lgkmcnt(0)
	v_fma_f64 v[125:126], v[132:133], v[134:135], v[125:126]
	s_and_not1_b32 exec_lo, exec_lo, s1
	s_cbranch_execnz .LBB125_605
; %bb.606:
	s_or_b32 exec_lo, exec_lo, s1
.LBB125_607:
	s_delay_alu instid0(SALU_CYCLE_1)
	s_or_b32 exec_lo, exec_lo, s4
	v_mov_b32_e32 v130, 0
	ds_load_b64 v[130:131], v130
	s_waitcnt lgkmcnt(0)
	v_mul_f64 v[125:126], v[125:126], v[130:131]
	scratch_store_b64 off, v[125:126], off
.LBB125_608:
	s_or_b32 exec_lo, exec_lo, s3
.LBB125_609:
	s_delay_alu instid0(SALU_CYCLE_1)
	s_and_b32 vcc_lo, exec_lo, s0
	s_cbranch_vccz .LBB125_1215
; %bb.610:
	scratch_load_b64 v[125:126], off, off offset:8
	v_cmp_eq_u32_e64 s0, 0, v0
	s_waitcnt vmcnt(0)
	ds_store_b64 v128, v[125:126]
	s_waitcnt lgkmcnt(0)
	s_waitcnt_vscnt null, 0x0
	s_barrier
	buffer_gl0_inv
	s_and_saveexec_b32 s1, s0
	s_cbranch_execz .LBB125_616
; %bb.611:
	s_and_b32 vcc_lo, exec_lo, s2
	s_cbranch_vccz .LBB125_613
; %bb.612:
	scratch_load_b64 v[125:126], v129, off
	ds_load_b64 v[130:131], v128
	s_waitcnt vmcnt(0) lgkmcnt(0)
	v_mul_f64 v[125:126], v[125:126], v[130:131]
	s_cbranch_execz .LBB125_614
	s_branch .LBB125_615
.LBB125_613:
                                        ; implicit-def: $vgpr125_vgpr126
.LBB125_614:
	ds_load_b64 v[125:126], v128
.LBB125_615:
	v_mov_b32_e32 v130, 0
	ds_load_b64 v[130:131], v130 offset:8
	s_waitcnt lgkmcnt(0)
	v_mul_f64 v[125:126], v[125:126], v[130:131]
	scratch_store_b64 off, v[125:126], off offset:8
.LBB125_616:
	s_or_b32 exec_lo, exec_lo, s1
	scratch_load_b64 v[125:126], off, off offset:16
	v_cndmask_b32_e64 v130, 0, 1, s2
	s_mov_b32 s1, exec_lo
	s_waitcnt vmcnt(0)
	ds_store_b64 v128, v[125:126]
	s_waitcnt lgkmcnt(0)
	s_waitcnt_vscnt null, 0x0
	s_barrier
	buffer_gl0_inv
	v_cmpx_gt_u32_e32 2, v0
	s_cbranch_execz .LBB125_624
; %bb.617:
	s_and_not1_b32 vcc_lo, exec_lo, s2
	s_cbranch_vccnz .LBB125_619
; %bb.618:
	scratch_load_b64 v[125:126], v129, off
	ds_load_b64 v[131:132], v128
	s_waitcnt vmcnt(0) lgkmcnt(0)
	v_mul_f64 v[125:126], v[125:126], v[131:132]
	s_cbranch_execz .LBB125_620
	s_branch .LBB125_621
.LBB125_619:
                                        ; implicit-def: $vgpr125_vgpr126
.LBB125_620:
	ds_load_b64 v[125:126], v128
.LBB125_621:
	s_and_saveexec_b32 s2, s0
	s_cbranch_execz .LBB125_623
; %bb.622:
	scratch_load_b64 v[131:132], v129, off offset:8
	ds_load_b64 v[133:134], v128 offset:8
	s_waitcnt vmcnt(0) lgkmcnt(0)
	v_fma_f64 v[125:126], v[131:132], v[133:134], v[125:126]
.LBB125_623:
	s_or_b32 exec_lo, exec_lo, s2
	v_mov_b32_e32 v131, 0
	ds_load_b64 v[131:132], v131 offset:16
	s_waitcnt lgkmcnt(0)
	v_mul_f64 v[125:126], v[125:126], v[131:132]
	scratch_store_b64 off, v[125:126], off offset:16
.LBB125_624:
	s_or_b32 exec_lo, exec_lo, s1
	scratch_load_b64 v[125:126], off, off offset:24
	s_mov_b32 s1, exec_lo
	s_waitcnt vmcnt(0)
	ds_store_b64 v128, v[125:126]
	s_waitcnt lgkmcnt(0)
	s_waitcnt_vscnt null, 0x0
	s_barrier
	buffer_gl0_inv
	v_cmpx_gt_u32_e32 3, v0
	s_cbranch_execz .LBB125_634
; %bb.625:
	v_cmp_ne_u32_e32 vcc_lo, 1, v130
	s_cbranch_vccnz .LBB125_627
; %bb.626:
	scratch_load_b64 v[125:126], v129, off
	ds_load_b64 v[131:132], v128
	s_waitcnt vmcnt(0) lgkmcnt(0)
	v_mul_f64 v[125:126], v[125:126], v[131:132]
	s_cbranch_execz .LBB125_628
	s_branch .LBB125_629
.LBB125_627:
                                        ; implicit-def: $vgpr125_vgpr126
.LBB125_628:
	ds_load_b64 v[125:126], v128
.LBB125_629:
	s_mov_b32 s2, exec_lo
	v_cmpx_ne_u32_e32 2, v0
	s_cbranch_execz .LBB125_633
; %bb.630:
	scratch_load_b64 v[131:132], v129, off offset:8
	ds_load_b64 v[133:134], v128 offset:8
	s_waitcnt vmcnt(0) lgkmcnt(0)
	v_fma_f64 v[125:126], v[131:132], v[133:134], v[125:126]
	s_and_saveexec_b32 s3, s0
	s_cbranch_execz .LBB125_632
; %bb.631:
	scratch_load_b64 v[131:132], off, off offset:16
	v_mov_b32_e32 v133, 0
	ds_load_b64 v[133:134], v133 offset:512
	s_waitcnt vmcnt(0) lgkmcnt(0)
	v_fma_f64 v[125:126], v[131:132], v[133:134], v[125:126]
.LBB125_632:
	s_or_b32 exec_lo, exec_lo, s3
.LBB125_633:
	s_delay_alu instid0(SALU_CYCLE_1)
	s_or_b32 exec_lo, exec_lo, s2
	v_mov_b32_e32 v131, 0
	ds_load_b64 v[131:132], v131 offset:24
	s_waitcnt lgkmcnt(0)
	v_mul_f64 v[125:126], v[125:126], v[131:132]
	scratch_store_b64 off, v[125:126], off offset:24
.LBB125_634:
	s_or_b32 exec_lo, exec_lo, s1
	scratch_load_b64 v[125:126], off, off offset:32
	s_mov_b32 s0, exec_lo
	s_waitcnt vmcnt(0)
	ds_store_b64 v128, v[125:126]
	s_waitcnt lgkmcnt(0)
	s_waitcnt_vscnt null, 0x0
	s_barrier
	buffer_gl0_inv
	v_cmpx_gt_u32_e32 4, v0
	s_cbranch_execz .LBB125_644
; %bb.635:
	v_cmp_ne_u32_e32 vcc_lo, 1, v130
	s_cbranch_vccnz .LBB125_637
; %bb.636:
	scratch_load_b64 v[125:126], v129, off
	ds_load_b64 v[131:132], v128
	s_waitcnt vmcnt(0) lgkmcnt(0)
	v_mul_f64 v[125:126], v[125:126], v[131:132]
	s_cbranch_execz .LBB125_638
	s_branch .LBB125_639
.LBB125_637:
                                        ; implicit-def: $vgpr125_vgpr126
.LBB125_638:
	ds_load_b64 v[125:126], v128
.LBB125_639:
	s_mov_b32 s1, exec_lo
	v_cmpx_ne_u32_e32 3, v0
	s_cbranch_execz .LBB125_643
; %bb.640:
	v_add_nc_u32_e32 v131, 0x1f8, v127
	v_add3_u32 v132, 0, v127, 8
	v_mov_b32_e32 v133, v0
	s_mov_b32 s2, 0
.LBB125_641:                            ; =>This Inner Loop Header: Depth=1
	scratch_load_b64 v[134:135], v132, off
	ds_load_b64 v[136:137], v131
	v_add_nc_u32_e32 v133, 1, v133
	v_add_nc_u32_e32 v131, 8, v131
	v_add_nc_u32_e32 v132, 8, v132
	s_delay_alu instid0(VALU_DEP_3)
	v_cmp_lt_u32_e32 vcc_lo, 2, v133
	s_or_b32 s2, vcc_lo, s2
	s_waitcnt vmcnt(0) lgkmcnt(0)
	v_fma_f64 v[125:126], v[134:135], v[136:137], v[125:126]
	s_and_not1_b32 exec_lo, exec_lo, s2
	s_cbranch_execnz .LBB125_641
; %bb.642:
	s_or_b32 exec_lo, exec_lo, s2
.LBB125_643:
	s_delay_alu instid0(SALU_CYCLE_1)
	s_or_b32 exec_lo, exec_lo, s1
	v_mov_b32_e32 v131, 0
	ds_load_b64 v[131:132], v131 offset:32
	s_waitcnt lgkmcnt(0)
	v_mul_f64 v[125:126], v[125:126], v[131:132]
	scratch_store_b64 off, v[125:126], off offset:32
.LBB125_644:
	s_or_b32 exec_lo, exec_lo, s0
	scratch_load_b64 v[125:126], off, off offset:40
	s_mov_b32 s0, exec_lo
	s_waitcnt vmcnt(0)
	ds_store_b64 v128, v[125:126]
	s_waitcnt lgkmcnt(0)
	s_waitcnt_vscnt null, 0x0
	s_barrier
	buffer_gl0_inv
	v_cmpx_gt_u32_e32 5, v0
	s_cbranch_execz .LBB125_654
; %bb.645:
	v_cmp_ne_u32_e32 vcc_lo, 1, v130
	s_cbranch_vccnz .LBB125_647
; %bb.646:
	scratch_load_b64 v[125:126], v129, off
	ds_load_b64 v[131:132], v128
	s_waitcnt vmcnt(0) lgkmcnt(0)
	v_mul_f64 v[125:126], v[125:126], v[131:132]
	s_cbranch_execz .LBB125_648
	s_branch .LBB125_649
.LBB125_647:
                                        ; implicit-def: $vgpr125_vgpr126
.LBB125_648:
	ds_load_b64 v[125:126], v128
.LBB125_649:
	s_mov_b32 s1, exec_lo
	v_cmpx_ne_u32_e32 4, v0
	s_cbranch_execz .LBB125_653
; %bb.650:
	v_add_nc_u32_e32 v131, 0x1f8, v127
	v_add3_u32 v132, 0, v127, 8
	v_mov_b32_e32 v133, v0
	s_mov_b32 s2, 0
.LBB125_651:                            ; =>This Inner Loop Header: Depth=1
	scratch_load_b64 v[134:135], v132, off
	ds_load_b64 v[136:137], v131
	v_add_nc_u32_e32 v133, 1, v133
	v_add_nc_u32_e32 v131, 8, v131
	v_add_nc_u32_e32 v132, 8, v132
	s_delay_alu instid0(VALU_DEP_3)
	v_cmp_lt_u32_e32 vcc_lo, 3, v133
	s_or_b32 s2, vcc_lo, s2
	s_waitcnt vmcnt(0) lgkmcnt(0)
	v_fma_f64 v[125:126], v[134:135], v[136:137], v[125:126]
	s_and_not1_b32 exec_lo, exec_lo, s2
	s_cbranch_execnz .LBB125_651
; %bb.652:
	s_or_b32 exec_lo, exec_lo, s2
.LBB125_653:
	s_delay_alu instid0(SALU_CYCLE_1)
	s_or_b32 exec_lo, exec_lo, s1
	v_mov_b32_e32 v131, 0
	ds_load_b64 v[131:132], v131 offset:40
	s_waitcnt lgkmcnt(0)
	v_mul_f64 v[125:126], v[125:126], v[131:132]
	scratch_store_b64 off, v[125:126], off offset:40
.LBB125_654:
	;; [unrolled: 58-line block ×36, first 2 shown]
	s_or_b32 exec_lo, exec_lo, s0
	scratch_load_b64 v[125:126], off, off offset:320
	s_mov_b32 s0, exec_lo
	s_waitcnt vmcnt(0)
	ds_store_b64 v128, v[125:126]
	s_waitcnt lgkmcnt(0)
	s_waitcnt_vscnt null, 0x0
	s_barrier
	buffer_gl0_inv
	v_cmpx_gt_u32_e32 40, v0
	s_cbranch_execz .LBB125_1004
; %bb.995:
	v_cmp_ne_u32_e32 vcc_lo, 1, v130
	s_cbranch_vccnz .LBB125_997
; %bb.996:
	scratch_load_b64 v[125:126], v129, off
	ds_load_b64 v[131:132], v128
	s_waitcnt vmcnt(0) lgkmcnt(0)
	v_mul_f64 v[125:126], v[125:126], v[131:132]
	s_cbranch_execz .LBB125_998
	s_branch .LBB125_999
.LBB125_997:
                                        ; implicit-def: $vgpr125_vgpr126
.LBB125_998:
	ds_load_b64 v[125:126], v128
.LBB125_999:
	s_mov_b32 s1, exec_lo
	v_cmpx_ne_u32_e32 39, v0
	s_cbranch_execz .LBB125_1003
; %bb.1000:
	v_add_nc_u32_e32 v131, 0x1f8, v127
	v_add3_u32 v132, 0, v127, 8
	v_mov_b32_e32 v133, v0
	s_mov_b32 s2, 0
.LBB125_1001:                           ; =>This Inner Loop Header: Depth=1
	scratch_load_b64 v[134:135], v132, off
	ds_load_b64 v[136:137], v131
	v_add_nc_u32_e32 v133, 1, v133
	v_add_nc_u32_e32 v131, 8, v131
	v_add_nc_u32_e32 v132, 8, v132
	s_delay_alu instid0(VALU_DEP_3)
	v_cmp_lt_u32_e32 vcc_lo, 38, v133
	s_or_b32 s2, vcc_lo, s2
	s_waitcnt vmcnt(0) lgkmcnt(0)
	v_fma_f64 v[125:126], v[134:135], v[136:137], v[125:126]
	s_and_not1_b32 exec_lo, exec_lo, s2
	s_cbranch_execnz .LBB125_1001
; %bb.1002:
	s_or_b32 exec_lo, exec_lo, s2
.LBB125_1003:
	s_delay_alu instid0(SALU_CYCLE_1)
	s_or_b32 exec_lo, exec_lo, s1
	v_mov_b32_e32 v131, 0
	ds_load_b64 v[131:132], v131 offset:320
	s_waitcnt lgkmcnt(0)
	v_mul_f64 v[125:126], v[125:126], v[131:132]
	scratch_store_b64 off, v[125:126], off offset:320
.LBB125_1004:
	s_or_b32 exec_lo, exec_lo, s0
	scratch_load_b64 v[125:126], off, off offset:328
	s_mov_b32 s0, exec_lo
	s_waitcnt vmcnt(0)
	ds_store_b64 v128, v[125:126]
	s_waitcnt lgkmcnt(0)
	s_waitcnt_vscnt null, 0x0
	s_barrier
	buffer_gl0_inv
	v_cmpx_gt_u32_e32 41, v0
	s_cbranch_execz .LBB125_1014
; %bb.1005:
	v_cmp_ne_u32_e32 vcc_lo, 1, v130
	s_cbranch_vccnz .LBB125_1007
; %bb.1006:
	scratch_load_b64 v[125:126], v129, off
	ds_load_b64 v[131:132], v128
	s_waitcnt vmcnt(0) lgkmcnt(0)
	v_mul_f64 v[125:126], v[125:126], v[131:132]
	s_cbranch_execz .LBB125_1008
	s_branch .LBB125_1009
.LBB125_1007:
                                        ; implicit-def: $vgpr125_vgpr126
.LBB125_1008:
	ds_load_b64 v[125:126], v128
.LBB125_1009:
	s_mov_b32 s1, exec_lo
	v_cmpx_ne_u32_e32 40, v0
	s_cbranch_execz .LBB125_1013
; %bb.1010:
	v_add_nc_u32_e32 v131, 0x1f8, v127
	v_add3_u32 v132, 0, v127, 8
	v_mov_b32_e32 v133, v0
	s_mov_b32 s2, 0
.LBB125_1011:                           ; =>This Inner Loop Header: Depth=1
	scratch_load_b64 v[134:135], v132, off
	ds_load_b64 v[136:137], v131
	v_add_nc_u32_e32 v133, 1, v133
	v_add_nc_u32_e32 v131, 8, v131
	v_add_nc_u32_e32 v132, 8, v132
	s_delay_alu instid0(VALU_DEP_3)
	v_cmp_lt_u32_e32 vcc_lo, 39, v133
	s_or_b32 s2, vcc_lo, s2
	s_waitcnt vmcnt(0) lgkmcnt(0)
	v_fma_f64 v[125:126], v[134:135], v[136:137], v[125:126]
	s_and_not1_b32 exec_lo, exec_lo, s2
	s_cbranch_execnz .LBB125_1011
; %bb.1012:
	s_or_b32 exec_lo, exec_lo, s2
.LBB125_1013:
	s_delay_alu instid0(SALU_CYCLE_1)
	s_or_b32 exec_lo, exec_lo, s1
	v_mov_b32_e32 v131, 0
	ds_load_b64 v[131:132], v131 offset:328
	s_waitcnt lgkmcnt(0)
	v_mul_f64 v[125:126], v[125:126], v[131:132]
	scratch_store_b64 off, v[125:126], off offset:328
.LBB125_1014:
	;; [unrolled: 58-line block ×20, first 2 shown]
	s_or_b32 exec_lo, exec_lo, s0
	scratch_load_b64 v[125:126], off, off offset:480
	v_cmp_gt_u32_e64 s0, 60, v0
	s_waitcnt vmcnt(0)
	ds_store_b64 v128, v[125:126]
	s_waitcnt lgkmcnt(0)
	s_waitcnt_vscnt null, 0x0
	s_barrier
	buffer_gl0_inv
	s_and_saveexec_b32 s1, s0
	s_cbranch_execz .LBB125_1204
; %bb.1195:
	v_cmp_ne_u32_e32 vcc_lo, 1, v130
	s_cbranch_vccnz .LBB125_1197
; %bb.1196:
	scratch_load_b64 v[125:126], v129, off
	ds_load_b64 v[131:132], v128
	s_waitcnt vmcnt(0) lgkmcnt(0)
	v_mul_f64 v[125:126], v[125:126], v[131:132]
	s_cbranch_execz .LBB125_1198
	s_branch .LBB125_1199
.LBB125_1197:
                                        ; implicit-def: $vgpr125_vgpr126
.LBB125_1198:
	ds_load_b64 v[125:126], v128
.LBB125_1199:
	s_mov_b32 s2, exec_lo
	v_cmpx_ne_u32_e32 59, v0
	s_cbranch_execz .LBB125_1203
; %bb.1200:
	v_add_nc_u32_e32 v131, 0x1f8, v127
	v_add3_u32 v132, 0, v127, 8
	v_mov_b32_e32 v133, v0
	s_mov_b32 s3, 0
.LBB125_1201:                           ; =>This Inner Loop Header: Depth=1
	scratch_load_b64 v[134:135], v132, off
	ds_load_b64 v[136:137], v131
	v_add_nc_u32_e32 v133, 1, v133
	v_add_nc_u32_e32 v131, 8, v131
	;; [unrolled: 1-line block ×3, first 2 shown]
	s_delay_alu instid0(VALU_DEP_3)
	v_cmp_lt_u32_e32 vcc_lo, 58, v133
	s_or_b32 s3, vcc_lo, s3
	s_waitcnt vmcnt(0) lgkmcnt(0)
	v_fma_f64 v[125:126], v[134:135], v[136:137], v[125:126]
	s_and_not1_b32 exec_lo, exec_lo, s3
	s_cbranch_execnz .LBB125_1201
; %bb.1202:
	s_or_b32 exec_lo, exec_lo, s3
.LBB125_1203:
	s_delay_alu instid0(SALU_CYCLE_1)
	s_or_b32 exec_lo, exec_lo, s2
	v_mov_b32_e32 v131, 0
	ds_load_b64 v[131:132], v131 offset:480
	s_waitcnt lgkmcnt(0)
	v_mul_f64 v[125:126], v[125:126], v[131:132]
	scratch_store_b64 off, v[125:126], off offset:480
.LBB125_1204:
	s_or_b32 exec_lo, exec_lo, s1
	scratch_load_b64 v[125:126], off, off offset:488
	s_mov_b32 s1, exec_lo
	s_waitcnt vmcnt(0)
	ds_store_b64 v128, v[125:126]
	s_waitcnt lgkmcnt(0)
	s_waitcnt_vscnt null, 0x0
	s_barrier
	buffer_gl0_inv
	v_cmpx_ne_u32_e32 61, v0
	s_cbranch_execz .LBB125_1214
; %bb.1205:
	v_cmp_ne_u32_e32 vcc_lo, 1, v130
	s_cbranch_vccnz .LBB125_1207
; %bb.1206:
	scratch_load_b64 v[125:126], v129, off
	ds_load_b64 v[129:130], v128
	s_waitcnt vmcnt(0) lgkmcnt(0)
	v_mul_f64 v[125:126], v[125:126], v[129:130]
	s_cbranch_execz .LBB125_1208
	s_branch .LBB125_1209
.LBB125_1207:
                                        ; implicit-def: $vgpr125_vgpr126
.LBB125_1208:
	ds_load_b64 v[125:126], v128
.LBB125_1209:
	s_and_saveexec_b32 s2, s0
	s_cbranch_execz .LBB125_1213
; %bb.1210:
	v_add_nc_u32_e32 v128, 0x1f8, v127
	v_add3_u32 v127, 0, v127, 8
	s_mov_b32 s0, 0
.LBB125_1211:                           ; =>This Inner Loop Header: Depth=1
	scratch_load_b64 v[129:130], v127, off
	ds_load_b64 v[131:132], v128
	v_add_nc_u32_e32 v0, 1, v0
	v_add_nc_u32_e32 v128, 8, v128
	;; [unrolled: 1-line block ×3, first 2 shown]
	s_delay_alu instid0(VALU_DEP_3)
	v_cmp_lt_u32_e32 vcc_lo, 59, v0
	s_or_b32 s0, vcc_lo, s0
	s_waitcnt vmcnt(0) lgkmcnt(0)
	v_fma_f64 v[125:126], v[129:130], v[131:132], v[125:126]
	s_and_not1_b32 exec_lo, exec_lo, s0
	s_cbranch_execnz .LBB125_1211
; %bb.1212:
	s_or_b32 exec_lo, exec_lo, s0
.LBB125_1213:
	s_delay_alu instid0(SALU_CYCLE_1)
	s_or_b32 exec_lo, exec_lo, s2
	v_mov_b32_e32 v0, 0
	ds_load_b64 v[127:128], v0 offset:488
	s_waitcnt lgkmcnt(0)
	v_mul_f64 v[125:126], v[125:126], v[127:128]
	scratch_store_b64 off, v[125:126], off offset:488
.LBB125_1214:
	s_or_b32 exec_lo, exec_lo, s1
.LBB125_1215:
	s_clause 0x9
	scratch_load_b128 v[125:128], off, off
	scratch_load_b128 v[129:132], off, off offset:16
	scratch_load_b128 v[133:136], off, off offset:32
	;; [unrolled: 1-line block ×9, first 2 shown]
	s_waitcnt vmcnt(9)
	s_clause 0x1
	global_store_b64 v[23:24], v[125:126], off
	global_store_b64 v[29:30], v[127:128], off
	s_clause 0x1
	scratch_load_b128 v[125:128], off, off offset:160
	scratch_load_b128 v[165:168], off, off offset:176
	s_waitcnt vmcnt(10)
	s_clause 0x1
	global_store_b64 v[31:32], v[129:130], off
	global_store_b64 v[37:38], v[131:132], off
	s_clause 0x1
	scratch_load_b128 v[29:32], off, off offset:192
	scratch_load_b128 v[129:132], off, off offset:208
	;; [unrolled: 7-line block ×10, first 2 shown]
	s_waitcnt vmcnt(19)
	s_clause 0x1
	global_store_b64 v[17:18], v[125:126], off
	global_store_b64 v[21:22], v[127:128], off
	scratch_load_b128 v[15:18], off, off offset:480
	s_waitcnt vmcnt(19)
	s_clause 0x1
	global_store_b64 v[35:36], v[165:166], off
	global_store_b64 v[45:46], v[167:168], off
	s_waitcnt vmcnt(18)
	s_clause 0x1
	global_store_b64 v[47:48], v[29:30], off
	global_store_b64 v[49:50], v[31:32], off
	;; [unrolled: 4-line block ×20, first 2 shown]
.LBB125_1216:
	s_endpgm
	.section	.rodata,"a",@progbits
	.p2align	6, 0x0
	.amdhsa_kernel _ZN9rocsolver6v33100L18trti2_kernel_smallILi62EdPKPdEEv13rocblas_fill_17rocblas_diagonal_T1_iil
		.amdhsa_group_segment_fixed_size 992
		.amdhsa_private_segment_fixed_size 512
		.amdhsa_kernarg_size 32
		.amdhsa_user_sgpr_count 15
		.amdhsa_user_sgpr_dispatch_ptr 0
		.amdhsa_user_sgpr_queue_ptr 0
		.amdhsa_user_sgpr_kernarg_segment_ptr 1
		.amdhsa_user_sgpr_dispatch_id 0
		.amdhsa_user_sgpr_private_segment_size 0
		.amdhsa_wavefront_size32 1
		.amdhsa_uses_dynamic_stack 0
		.amdhsa_enable_private_segment 1
		.amdhsa_system_sgpr_workgroup_id_x 1
		.amdhsa_system_sgpr_workgroup_id_y 0
		.amdhsa_system_sgpr_workgroup_id_z 0
		.amdhsa_system_sgpr_workgroup_info 0
		.amdhsa_system_vgpr_workitem_id 0
		.amdhsa_next_free_vgpr 178
		.amdhsa_next_free_sgpr 28
		.amdhsa_reserve_vcc 1
		.amdhsa_float_round_mode_32 0
		.amdhsa_float_round_mode_16_64 0
		.amdhsa_float_denorm_mode_32 3
		.amdhsa_float_denorm_mode_16_64 3
		.amdhsa_dx10_clamp 1
		.amdhsa_ieee_mode 1
		.amdhsa_fp16_overflow 0
		.amdhsa_workgroup_processor_mode 1
		.amdhsa_memory_ordered 1
		.amdhsa_forward_progress 0
		.amdhsa_shared_vgpr_count 0
		.amdhsa_exception_fp_ieee_invalid_op 0
		.amdhsa_exception_fp_denorm_src 0
		.amdhsa_exception_fp_ieee_div_zero 0
		.amdhsa_exception_fp_ieee_overflow 0
		.amdhsa_exception_fp_ieee_underflow 0
		.amdhsa_exception_fp_ieee_inexact 0
		.amdhsa_exception_int_div_zero 0
	.end_amdhsa_kernel
	.section	.text._ZN9rocsolver6v33100L18trti2_kernel_smallILi62EdPKPdEEv13rocblas_fill_17rocblas_diagonal_T1_iil,"axG",@progbits,_ZN9rocsolver6v33100L18trti2_kernel_smallILi62EdPKPdEEv13rocblas_fill_17rocblas_diagonal_T1_iil,comdat
.Lfunc_end125:
	.size	_ZN9rocsolver6v33100L18trti2_kernel_smallILi62EdPKPdEEv13rocblas_fill_17rocblas_diagonal_T1_iil, .Lfunc_end125-_ZN9rocsolver6v33100L18trti2_kernel_smallILi62EdPKPdEEv13rocblas_fill_17rocblas_diagonal_T1_iil
                                        ; -- End function
	.section	.AMDGPU.csdata,"",@progbits
; Kernel info:
; codeLenInByte = 34120
; NumSgprs: 30
; NumVgprs: 178
; ScratchSize: 512
; MemoryBound: 0
; FloatMode: 240
; IeeeMode: 1
; LDSByteSize: 992 bytes/workgroup (compile time only)
; SGPRBlocks: 3
; VGPRBlocks: 22
; NumSGPRsForWavesPerEU: 30
; NumVGPRsForWavesPerEU: 178
; Occupancy: 8
; WaveLimiterHint : 1
; COMPUTE_PGM_RSRC2:SCRATCH_EN: 1
; COMPUTE_PGM_RSRC2:USER_SGPR: 15
; COMPUTE_PGM_RSRC2:TRAP_HANDLER: 0
; COMPUTE_PGM_RSRC2:TGID_X_EN: 1
; COMPUTE_PGM_RSRC2:TGID_Y_EN: 0
; COMPUTE_PGM_RSRC2:TGID_Z_EN: 0
; COMPUTE_PGM_RSRC2:TIDIG_COMP_CNT: 0
	.section	.text._ZN9rocsolver6v33100L18trti2_kernel_smallILi63EdPKPdEEv13rocblas_fill_17rocblas_diagonal_T1_iil,"axG",@progbits,_ZN9rocsolver6v33100L18trti2_kernel_smallILi63EdPKPdEEv13rocblas_fill_17rocblas_diagonal_T1_iil,comdat
	.globl	_ZN9rocsolver6v33100L18trti2_kernel_smallILi63EdPKPdEEv13rocblas_fill_17rocblas_diagonal_T1_iil ; -- Begin function _ZN9rocsolver6v33100L18trti2_kernel_smallILi63EdPKPdEEv13rocblas_fill_17rocblas_diagonal_T1_iil
	.p2align	8
	.type	_ZN9rocsolver6v33100L18trti2_kernel_smallILi63EdPKPdEEv13rocblas_fill_17rocblas_diagonal_T1_iil,@function
_ZN9rocsolver6v33100L18trti2_kernel_smallILi63EdPKPdEEv13rocblas_fill_17rocblas_diagonal_T1_iil: ; @_ZN9rocsolver6v33100L18trti2_kernel_smallILi63EdPKPdEEv13rocblas_fill_17rocblas_diagonal_T1_iil
; %bb.0:
	s_mov_b32 s2, exec_lo
	v_cmpx_gt_u32_e32 63, v0
	s_cbranch_execz .LBB126_1236
; %bb.1:
	s_clause 0x1
	s_load_b64 s[4:5], s[0:1], 0x10
	s_load_b128 s[0:3], s[0:1], 0x0
	s_mov_b32 s6, s15
	s_ashr_i32 s7, s15, 31
	v_lshlrev_b32_e32 v129, 3, v0
	s_lshl_b64 s[8:9], s[6:7], 3
	s_waitcnt lgkmcnt(0)
	s_ashr_i32 s7, s4, 31
	s_add_u32 s2, s2, s8
	s_addc_u32 s3, s3, s9
	v_add3_u32 v1, s5, s5, v0
	s_load_b64 s[2:3], s[2:3], 0x0
	s_mov_b32 s6, s4
	s_mov_b32 s8, s5
	s_lshl_b64 s[6:7], s[6:7], 3
	v_add_nc_u32_e32 v3, s5, v1
	v_ashrrev_i32_e32 v2, 31, v1
	s_delay_alu instid0(VALU_DEP_2) | instskip(SKIP_1) | instid1(VALU_DEP_3)
	v_add_nc_u32_e32 v5, s5, v3
	v_ashrrev_i32_e32 v4, 31, v3
	v_lshlrev_b64 v[1:2], 3, v[1:2]
	s_delay_alu instid0(VALU_DEP_3) | instskip(SKIP_1) | instid1(VALU_DEP_4)
	v_add_nc_u32_e32 v7, s5, v5
	v_ashrrev_i32_e32 v6, 31, v5
	v_lshlrev_b64 v[3:4], 3, v[3:4]
	s_delay_alu instid0(VALU_DEP_3)
	v_add_nc_u32_e32 v9, s5, v7
	s_waitcnt lgkmcnt(0)
	s_add_u32 s2, s2, s6
	s_addc_u32 s3, s3, s7
	v_add_co_u32 v53, s4, s2, v129
	s_ashr_i32 s9, s5, 31
	v_add_co_ci_u32_e64 v54, null, s3, 0, s4
	v_add_nc_u32_e32 v11, s5, v9
	s_lshl_b64 s[6:7], s[8:9], 3
	v_ashrrev_i32_e32 v8, 31, v7
	v_add_co_u32 v47, vcc_lo, v53, s6
	v_add_co_ci_u32_e32 v48, vcc_lo, s7, v54, vcc_lo
	v_add_nc_u32_e32 v13, s5, v11
	v_lshlrev_b64 v[5:6], 3, v[5:6]
	v_add_co_u32 v41, vcc_lo, s2, v1
	v_add_co_ci_u32_e32 v42, vcc_lo, s3, v2, vcc_lo
	v_lshlrev_b64 v[7:8], 3, v[7:8]
	v_add_co_u32 v29, vcc_lo, s2, v3
	v_ashrrev_i32_e32 v10, 31, v9
	v_add_nc_u32_e32 v1, s5, v13
	s_clause 0x1
	global_load_b64 v[25:26], v129, s[2:3]
	global_load_b64 v[27:28], v[47:48], off
	v_add_co_ci_u32_e32 v30, vcc_lo, s3, v4, vcc_lo
	v_add_co_u32 v23, vcc_lo, s2, v5
	v_add_co_ci_u32_e32 v24, vcc_lo, s3, v6, vcc_lo
	v_add_nc_u32_e32 v3, s5, v1
	v_ashrrev_i32_e32 v12, 31, v11
	v_add_co_u32 v15, vcc_lo, s2, v7
	v_lshlrev_b64 v[6:7], 3, v[9:10]
	v_ashrrev_i32_e32 v14, 31, v13
	v_add_nc_u32_e32 v5, s5, v3
	v_add_co_ci_u32_e32 v16, vcc_lo, s3, v8, vcc_lo
	v_lshlrev_b64 v[8:9], 3, v[11:12]
	v_add_co_u32 v21, vcc_lo, s2, v6
	v_add_co_ci_u32_e32 v22, vcc_lo, s3, v7, vcc_lo
	v_lshlrev_b64 v[6:7], 3, v[13:14]
	v_ashrrev_i32_e32 v2, 31, v1
	v_add_nc_u32_e32 v19, s5, v5
	s_clause 0x3
	global_load_b64 v[57:58], v[15:16], off
	global_load_b64 v[59:60], v[41:42], off
	;; [unrolled: 1-line block ×4, first 2 shown]
	v_add_co_u32 v17, vcc_lo, s2, v8
	v_ashrrev_i32_e32 v4, 31, v3
	v_add_co_ci_u32_e32 v18, vcc_lo, s3, v9, vcc_lo
	v_lshlrev_b64 v[1:2], 3, v[1:2]
	v_add_co_u32 v11, vcc_lo, s2, v6
	v_ashrrev_i32_e32 v6, 31, v5
	v_add_nc_u32_e32 v31, s5, v19
	v_lshlrev_b64 v[3:4], 3, v[3:4]
	v_ashrrev_i32_e32 v20, 31, v19
	v_add_co_ci_u32_e32 v12, vcc_lo, s3, v7, vcc_lo
	v_add_co_u32 v7, vcc_lo, s2, v1
	v_lshlrev_b64 v[5:6], 3, v[5:6]
	v_ashrrev_i32_e32 v32, 31, v31
	v_add_co_ci_u32_e32 v8, vcc_lo, s3, v2, vcc_lo
	v_add_co_u32 v13, vcc_lo, s2, v3
	v_lshlrev_b64 v[2:3], 3, v[19:20]
	v_add_co_ci_u32_e32 v14, vcc_lo, s3, v4, vcc_lo
	v_add_nc_u32_e32 v33, s5, v31
	v_add_co_u32 v9, vcc_lo, s2, v5
	v_lshlrev_b64 v[31:32], 3, v[31:32]
	v_add_co_ci_u32_e32 v10, vcc_lo, s3, v6, vcc_lo
	v_add_co_u32 v5, vcc_lo, s2, v2
	v_add_co_ci_u32_e32 v6, vcc_lo, s3, v3, vcc_lo
	s_delay_alu instid0(VALU_DEP_4)
	v_add_co_u32 v3, vcc_lo, s2, v31
	v_add_co_ci_u32_e32 v4, vcc_lo, s3, v32, vcc_lo
	s_clause 0x7
	global_load_b64 v[63:64], v[21:22], off
	global_load_b64 v[65:66], v[17:18], off
	;; [unrolled: 1-line block ×8, first 2 shown]
	v_add_nc_u32_e32 v35, s5, v33
	v_ashrrev_i32_e32 v34, 31, v33
	s_cmpk_lg_i32 s1, 0x84
	s_delay_alu instid0(VALU_DEP_2) | instskip(SKIP_1) | instid1(VALU_DEP_3)
	v_add_nc_u32_e32 v37, s5, v35
	v_ashrrev_i32_e32 v36, 31, v35
	v_lshlrev_b64 v[31:32], 3, v[33:34]
	s_delay_alu instid0(VALU_DEP_3) | instskip(NEXT) | instid1(VALU_DEP_3)
	v_add_nc_u32_e32 v1, s5, v37
	v_lshlrev_b64 v[33:34], 3, v[35:36]
	v_ashrrev_i32_e32 v38, 31, v37
	s_delay_alu instid0(VALU_DEP_4) | instskip(NEXT) | instid1(VALU_DEP_4)
	v_add_co_u32 v51, vcc_lo, s2, v31
	v_add_nc_u32_e32 v39, s5, v1
	v_ashrrev_i32_e32 v2, 31, v1
	v_add_co_ci_u32_e32 v52, vcc_lo, s3, v32, vcc_lo
	v_lshlrev_b64 v[31:32], 3, v[37:38]
	s_delay_alu instid0(VALU_DEP_4) | instskip(SKIP_2) | instid1(VALU_DEP_3)
	v_add_nc_u32_e32 v19, s5, v39
	v_add_co_u32 v49, vcc_lo, s2, v33
	v_add_co_ci_u32_e32 v50, vcc_lo, s3, v34, vcc_lo
	v_add_nc_u32_e32 v87, s5, v19
	v_lshlrev_b64 v[33:34], 3, v[1:2]
	v_ashrrev_i32_e32 v40, 31, v39
	v_add_co_u32 v43, vcc_lo, s2, v31
	s_delay_alu instid0(VALU_DEP_4) | instskip(SKIP_3) | instid1(VALU_DEP_4)
	v_add_nc_u32_e32 v89, s5, v87
	v_ashrrev_i32_e32 v20, 31, v19
	v_add_co_ci_u32_e32 v44, vcc_lo, s3, v32, vcc_lo
	v_lshlrev_b64 v[31:32], 3, v[39:40]
	v_add_nc_u32_e32 v91, s5, v89
	s_delay_alu instid0(VALU_DEP_4) | instskip(SKIP_2) | instid1(VALU_DEP_4)
	v_lshlrev_b64 v[19:20], 3, v[19:20]
	v_ashrrev_i32_e32 v88, 31, v87
	v_ashrrev_i32_e32 v90, 31, v89
	v_add_nc_u32_e32 v95, s5, v91
	v_ashrrev_i32_e32 v92, 31, v91
	s_delay_alu instid0(VALU_DEP_2) | instskip(SKIP_1) | instid1(VALU_DEP_2)
	v_add_nc_u32_e32 v97, s5, v95
	v_ashrrev_i32_e32 v96, 31, v95
	v_add_nc_u32_e32 v99, s5, v97
	v_ashrrev_i32_e32 v98, 31, v97
	s_delay_alu instid0(VALU_DEP_2) | instskip(SKIP_1) | instid1(VALU_DEP_3)
	v_add_nc_u32_e32 v103, s5, v99
	v_ashrrev_i32_e32 v100, 31, v99
	v_lshlrev_b64 v[39:40], 3, v[97:98]
	s_delay_alu instid0(VALU_DEP_3) | instskip(SKIP_1) | instid1(VALU_DEP_2)
	v_add_nc_u32_e32 v105, s5, v103
	v_ashrrev_i32_e32 v104, 31, v103
	v_add_nc_u32_e32 v107, s5, v105
	v_ashrrev_i32_e32 v106, 31, v105
	s_delay_alu instid0(VALU_DEP_2) | instskip(SKIP_1) | instid1(VALU_DEP_2)
	v_add_nc_u32_e32 v109, s5, v107
	v_ashrrev_i32_e32 v108, 31, v107
	v_add_nc_u32_e32 v111, s5, v109
	v_ashrrev_i32_e32 v110, 31, v109
	s_delay_alu instid0(VALU_DEP_2) | instskip(SKIP_1) | instid1(VALU_DEP_2)
	;; [unrolled: 5-line block ×6, first 2 shown]
	v_add_nc_u32_e32 v130, s5, v127
	v_ashrrev_i32_e32 v128, 31, v127
	v_add_nc_u32_e32 v132, s5, v130
	s_delay_alu instid0(VALU_DEP_1) | instskip(SKIP_1) | instid1(VALU_DEP_2)
	v_add_nc_u32_e32 v134, s5, v132
	v_ashrrev_i32_e32 v133, 31, v132
	v_add_nc_u32_e32 v138, s5, v134
	v_ashrrev_i32_e32 v135, 31, v134
	s_delay_alu instid0(VALU_DEP_2) | instskip(SKIP_1) | instid1(VALU_DEP_2)
	v_add_nc_u32_e32 v140, s5, v138
	v_ashrrev_i32_e32 v139, 31, v138
	v_add_nc_u32_e32 v142, s5, v140
	v_ashrrev_i32_e32 v141, 31, v140
	s_delay_alu instid0(VALU_DEP_2) | instskip(SKIP_1) | instid1(VALU_DEP_2)
	;; [unrolled: 5-line block ×10, first 2 shown]
	v_add_nc_u32_e32 v176, s5, v174
	v_ashrrev_i32_e32 v175, 31, v174
	v_add_nc_u32_e32 v35, s5, v176
	v_ashrrev_i32_e32 v177, 31, v176
	s_delay_alu instid0(VALU_DEP_2) | instskip(NEXT) | instid1(VALU_DEP_1)
	v_ashrrev_i32_e32 v36, 31, v35
	v_lshlrev_b64 v[1:2], 3, v[35:36]
	s_delay_alu instid0(VALU_DEP_1) | instskip(NEXT) | instid1(VALU_DEP_2)
	v_add_co_u32 v1, vcc_lo, s2, v1
	v_add_co_ci_u32_e32 v2, vcc_lo, s3, v2, vcc_lo
	v_add_co_u32 v35, vcc_lo, s2, v33
	v_add_co_ci_u32_e32 v36, vcc_lo, s3, v34, vcc_lo
	v_add_co_u32 v45, vcc_lo, s2, v31
	s_waitcnt vmcnt(12)
	scratch_store_b128 off, v[25:28], off
	v_add_co_ci_u32_e32 v46, vcc_lo, s3, v32, vcc_lo
	v_lshlrev_b64 v[25:26], 3, v[87:88]
	v_add_co_u32 v37, vcc_lo, s2, v19
	v_add_co_ci_u32_e32 v38, vcc_lo, s3, v20, vcc_lo
	v_lshlrev_b64 v[19:20], 3, v[89:90]
	s_delay_alu instid0(VALU_DEP_4) | instskip(SKIP_2) | instid1(VALU_DEP_4)
	v_add_co_u32 v31, vcc_lo, s2, v25
	v_lshlrev_b64 v[27:28], 3, v[91:92]
	v_add_co_ci_u32_e32 v32, vcc_lo, s3, v26, vcc_lo
	v_add_co_u32 v25, vcc_lo, s2, v19
	v_lshlrev_b64 v[33:34], 3, v[95:96]
	s_clause 0x4
	global_load_b64 v[178:179], v[1:2], off
	global_load_b64 v[79:80], v[51:52], off
	;; [unrolled: 1-line block ×5, first 2 shown]
	v_add_co_ci_u32_e32 v26, vcc_lo, s3, v20, vcc_lo
	v_add_co_u32 v19, vcc_lo, s2, v27
	v_add_co_ci_u32_e32 v20, vcc_lo, s3, v28, vcc_lo
	s_waitcnt vmcnt(14)
	scratch_store_b128 off, v[59:62], off offset:16
	s_waitcnt vmcnt(13)
	scratch_store_b128 off, v[55:58], off offset:32
	v_add_co_u32 v27, vcc_lo, s2, v33
	v_lshlrev_b64 v[55:56], 3, v[99:100]
	v_add_co_ci_u32_e32 v28, vcc_lo, s3, v34, vcc_lo
	v_add_co_u32 v33, vcc_lo, s2, v39
	v_add_co_ci_u32_e32 v34, vcc_lo, s3, v40, vcc_lo
	s_delay_alu instid0(VALU_DEP_4)
	v_add_co_u32 v39, vcc_lo, s2, v55
	v_add_co_ci_u32_e32 v40, vcc_lo, s3, v56, vcc_lo
	v_lshlrev_b64 v[55:56], 3, v[103:104]
	s_clause 0x3
	global_load_b64 v[87:88], v[45:46], off
	global_load_b64 v[89:90], v[37:38], off
	;; [unrolled: 1-line block ×4, first 2 shown]
	v_lshlrev_b64 v[57:58], 3, v[105:106]
	v_lshlrev_b64 v[59:60], 3, v[107:108]
	;; [unrolled: 1-line block ×3, first 2 shown]
	s_waitcnt vmcnt(15)
	scratch_store_b128 off, v[63:66], off offset:48
	s_waitcnt vmcnt(13)
	scratch_store_b128 off, v[67:70], off offset:64
	v_add_co_u32 v55, vcc_lo, s2, v55
	v_add_co_ci_u32_e32 v56, vcc_lo, s3, v56, vcc_lo
	v_add_co_u32 v57, vcc_lo, s2, v57
	v_add_co_ci_u32_e32 v58, vcc_lo, s3, v58, vcc_lo
	;; [unrolled: 2-line block ×4, first 2 shown]
	s_clause 0x3
	global_load_b64 v[95:96], v[19:20], off
	global_load_b64 v[97:98], v[27:28], off
	;; [unrolled: 1-line block ×4, first 2 shown]
	s_waitcnt vmcnt(15)
	scratch_store_b128 off, v[71:74], off offset:80
	s_waitcnt vmcnt(13)
	scratch_store_b128 off, v[75:78], off offset:96
	s_clause 0x3
	global_load_b64 v[103:104], v[55:56], off
	global_load_b64 v[105:106], v[57:58], off
	;; [unrolled: 1-line block ×4, first 2 shown]
	v_lshlrev_b64 v[63:64], 3, v[111:112]
	v_lshlrev_b64 v[65:66], 3, v[113:114]
	v_lshlrev_b64 v[67:68], 3, v[115:116]
	v_lshlrev_b64 v[69:70], 3, v[117:118]
	v_lshlrev_b64 v[71:72], 3, v[119:120]
	v_lshlrev_b64 v[73:74], 3, v[121:122]
	v_add_co_u32 v63, vcc_lo, s2, v63
	v_add_co_ci_u32_e32 v64, vcc_lo, s3, v64, vcc_lo
	v_add_co_u32 v65, vcc_lo, s2, v65
	v_add_co_ci_u32_e32 v66, vcc_lo, s3, v66, vcc_lo
	;; [unrolled: 2-line block ×4, first 2 shown]
	v_add_co_u32 v71, vcc_lo, s2, v71
	v_lshlrev_b64 v[75:76], 3, v[123:124]
	v_add_co_ci_u32_e32 v72, vcc_lo, s3, v72, vcc_lo
	v_add_co_u32 v73, vcc_lo, s2, v73
	v_lshlrev_b64 v[77:78], 3, v[125:126]
	v_add_co_ci_u32_e32 v74, vcc_lo, s3, v74, vcc_lo
	v_add_co_u32 v75, vcc_lo, s2, v75
	v_add_co_ci_u32_e32 v76, vcc_lo, s3, v76, vcc_lo
	s_delay_alu instid0(VALU_DEP_4)
	v_add_co_u32 v77, vcc_lo, s2, v77
	v_add_co_ci_u32_e32 v78, vcc_lo, s3, v78, vcc_lo
	s_waitcnt vmcnt(14)
	scratch_store_b128 off, v[79:82], off offset:112
	s_waitcnt vmcnt(12)
	scratch_store_b128 off, v[83:86], off offset:128
	v_lshlrev_b64 v[79:80], 3, v[127:128]
	v_mov_b32_e32 v127, 0
	v_ashrrev_i32_e32 v131, 31, v130
	s_clause 0x3
	global_load_b64 v[111:112], v[63:64], off
	global_load_b64 v[113:114], v[65:66], off
	;; [unrolled: 1-line block ×4, first 2 shown]
	v_lshlrev_b64 v[83:84], 3, v[132:133]
	v_add_co_u32 v79, vcc_lo, s2, v79
	v_lshlrev_b64 v[81:82], 3, v[130:131]
	v_add_co_ci_u32_e32 v80, vcc_lo, s3, v80, vcc_lo
	v_lshlrev_b64 v[85:86], 3, v[134:135]
	s_waitcnt vmcnt(14)
	scratch_store_b128 off, v[87:90], off offset:144
	s_waitcnt vmcnt(12)
	scratch_store_b128 off, v[91:94], off offset:160
	v_add_co_u32 v81, vcc_lo, s2, v81
	v_add_co_ci_u32_e32 v82, vcc_lo, s3, v82, vcc_lo
	v_add_co_u32 v83, vcc_lo, s2, v83
	v_lshlrev_b64 v[87:88], 3, v[138:139]
	s_clause 0x3
	global_load_b64 v[119:120], v[71:72], off
	global_load_b64 v[121:122], v[73:74], off
	;; [unrolled: 1-line block ×4, first 2 shown]
	v_add_co_ci_u32_e32 v84, vcc_lo, s3, v84, vcc_lo
	v_add_co_u32 v85, vcc_lo, s2, v85
	v_lshlrev_b64 v[89:90], 3, v[140:141]
	v_add_co_ci_u32_e32 v86, vcc_lo, s3, v86, vcc_lo
	v_add_co_u32 v87, vcc_lo, s2, v87
	v_lshlrev_b64 v[91:92], 3, v[142:143]
	;; [unrolled: 3-line block ×3, first 2 shown]
	v_add_co_ci_u32_e32 v90, vcc_lo, s3, v90, vcc_lo
	v_add_co_u32 v91, vcc_lo, s2, v91
	v_add_co_ci_u32_e32 v92, vcc_lo, s3, v92, vcc_lo
	s_delay_alu instid0(VALU_DEP_4)
	v_add_co_u32 v93, vcc_lo, s2, v93
	s_waitcnt vmcnt(14)
	scratch_store_b128 off, v[95:98], off offset:176
	s_waitcnt vmcnt(12)
	scratch_store_b128 off, v[99:102], off offset:192
	v_add_co_ci_u32_e32 v94, vcc_lo, s3, v94, vcc_lo
	s_clause 0x3
	global_load_b64 v[130:131], v[79:80], off
	global_load_b64 v[132:133], v[81:82], off
	;; [unrolled: 1-line block ×4, first 2 shown]
	s_waitcnt vmcnt(14)
	scratch_store_b128 off, v[103:106], off offset:208
	s_waitcnt vmcnt(12)
	scratch_store_b128 off, v[107:110], off offset:224
	s_clause 0x3
	global_load_b64 v[138:139], v[87:88], off
	global_load_b64 v[140:141], v[89:90], off
	;; [unrolled: 1-line block ×4, first 2 shown]
	v_lshlrev_b64 v[95:96], 3, v[146:147]
	v_lshlrev_b64 v[97:98], 3, v[148:149]
	v_lshlrev_b64 v[99:100], 3, v[150:151]
	v_lshlrev_b64 v[101:102], 3, v[152:153]
	v_lshlrev_b64 v[103:104], 3, v[154:155]
	v_lshlrev_b64 v[105:106], 3, v[156:157]
	v_add_co_u32 v95, vcc_lo, s2, v95
	v_add_co_ci_u32_e32 v96, vcc_lo, s3, v96, vcc_lo
	v_add_co_u32 v97, vcc_lo, s2, v97
	v_add_co_ci_u32_e32 v98, vcc_lo, s3, v98, vcc_lo
	;; [unrolled: 2-line block ×4, first 2 shown]
	v_add_co_u32 v103, vcc_lo, s2, v103
	v_lshlrev_b64 v[107:108], 3, v[158:159]
	v_add_co_ci_u32_e32 v104, vcc_lo, s3, v104, vcc_lo
	v_add_co_u32 v105, vcc_lo, s2, v105
	v_lshlrev_b64 v[109:110], 3, v[160:161]
	v_add_co_ci_u32_e32 v106, vcc_lo, s3, v106, vcc_lo
	v_add_co_u32 v107, vcc_lo, s2, v107
	v_add_co_ci_u32_e32 v108, vcc_lo, s3, v108, vcc_lo
	s_delay_alu instid0(VALU_DEP_4)
	v_add_co_u32 v109, vcc_lo, s2, v109
	v_add_co_ci_u32_e32 v110, vcc_lo, s3, v110, vcc_lo
	v_mov_b32_e32 v128, 0xbff00000
	s_waitcnt vmcnt(14)
	scratch_store_b128 off, v[111:114], off offset:240
	s_waitcnt vmcnt(12)
	scratch_store_b128 off, v[115:118], off offset:256
	v_lshlrev_b64 v[111:112], 3, v[162:163]
	v_lshlrev_b64 v[113:114], 3, v[164:165]
	;; [unrolled: 1-line block ×4, first 2 shown]
	s_clause 0x2
	global_load_b64 v[146:147], v[95:96], off
	global_load_b64 v[148:149], v[97:98], off
	;; [unrolled: 1-line block ×3, first 2 shown]
	s_waitcnt vmcnt(13)
	scratch_store_b128 off, v[119:122], off offset:272
	s_waitcnt vmcnt(11)
	scratch_store_b128 off, v[123:126], off offset:288
	v_add_co_u32 v111, vcc_lo, s2, v111
	v_add_co_ci_u32_e32 v112, vcc_lo, s3, v112, vcc_lo
	v_add_co_u32 v113, vcc_lo, s2, v113
	v_add_co_ci_u32_e32 v114, vcc_lo, s3, v114, vcc_lo
	v_add_co_u32 v115, vcc_lo, s2, v115
	v_lshlrev_b64 v[119:120], 3, v[170:171]
	v_add_co_ci_u32_e32 v116, vcc_lo, s3, v116, vcc_lo
	v_add_co_u32 v117, vcc_lo, s2, v117
	v_lshlrev_b64 v[121:122], 3, v[172:173]
	;; [unrolled: 3-line block ×4, first 2 shown]
	v_add_co_ci_u32_e32 v122, vcc_lo, s3, v122, vcc_lo
	v_add_co_u32 v123, vcc_lo, s2, v123
	v_add_co_ci_u32_e32 v124, vcc_lo, s3, v124, vcc_lo
	s_delay_alu instid0(VALU_DEP_4)
	v_add_co_u32 v125, vcc_lo, s2, v125
	s_clause 0x3
	global_load_b64 v[152:153], v[101:102], off
	global_load_b64 v[154:155], v[103:104], off
	;; [unrolled: 1-line block ×4, first 2 shown]
	s_waitcnt vmcnt(13)
	scratch_store_b128 off, v[130:133], off offset:304
	s_waitcnt vmcnt(11)
	scratch_store_b128 off, v[134:137], off offset:320
	s_clause 0x3
	global_load_b64 v[160:161], v[109:110], off
	global_load_b64 v[130:131], v[111:112], off
	;; [unrolled: 1-line block ×4, first 2 shown]
	v_add_co_ci_u32_e32 v126, vcc_lo, s3, v126, vcc_lo
	s_waitcnt vmcnt(13)
	scratch_store_b128 off, v[138:141], off offset:336
	s_waitcnt vmcnt(11)
	scratch_store_b128 off, v[142:145], off offset:352
	s_clause 0x4
	global_load_b64 v[136:137], v[117:118], off
	global_load_b64 v[138:139], v[119:120], off
	;; [unrolled: 1-line block ×5, first 2 shown]
	s_cselect_b32 s3, -1, 0
	s_cmpk_eq_i32 s1, 0x84
	s_waitcnt vmcnt(14)
	scratch_store_b128 off, v[146:149], off offset:368
	s_waitcnt vmcnt(12)
	scratch_store_b128 off, v[150:153], off offset:384
	;; [unrolled: 2-line block ×7, first 2 shown]
	s_waitcnt vmcnt(0)
	s_clause 0x1
	scratch_store_b128 off, v[142:145], off offset:480
	scratch_store_b64 off, v[178:179], off offset:496
	s_cbranch_scc1 .LBB126_3
; %bb.2:
	scratch_load_b64 v[127:128], v129, off
	s_waitcnt vmcnt(0)
	v_div_scale_f64 v[130:131], null, v[127:128], v[127:128], 1.0
	v_div_scale_f64 v[136:137], vcc_lo, 1.0, v[127:128], 1.0
	s_delay_alu instid0(VALU_DEP_2) | instskip(SKIP_2) | instid1(VALU_DEP_1)
	v_rcp_f64_e32 v[132:133], v[130:131]
	s_waitcnt_depctr 0xfff
	v_fma_f64 v[134:135], -v[130:131], v[132:133], 1.0
	v_fma_f64 v[132:133], v[132:133], v[134:135], v[132:133]
	s_delay_alu instid0(VALU_DEP_1) | instskip(NEXT) | instid1(VALU_DEP_1)
	v_fma_f64 v[134:135], -v[130:131], v[132:133], 1.0
	v_fma_f64 v[132:133], v[132:133], v[134:135], v[132:133]
	s_delay_alu instid0(VALU_DEP_1) | instskip(NEXT) | instid1(VALU_DEP_1)
	v_mul_f64 v[134:135], v[136:137], v[132:133]
	v_fma_f64 v[130:131], -v[130:131], v[134:135], v[136:137]
	s_delay_alu instid0(VALU_DEP_1) | instskip(NEXT) | instid1(VALU_DEP_1)
	v_div_fmas_f64 v[130:131], v[130:131], v[132:133], v[134:135]
	v_div_fixup_f64 v[127:128], v[130:131], v[127:128], 1.0
	scratch_store_b64 v129, v[127:128], off
	v_xor_b32_e32 v128, 0x80000000, v128
.LBB126_3:
	v_or_b32_e32 v130, 0x200, v129
	v_add_nc_u32_e32 v131, 0, v129
	s_cmpk_eq_i32 s0, 0x79
	s_mov_b32 s0, -1
	ds_store_b64 v129, v[127:128]
	s_cbranch_scc1 .LBB126_619
; %bb.4:
	scratch_load_b64 v[127:128], off, off offset:488
	v_cmp_eq_u32_e64 s0, 62, v0
	s_movk_i32 s1, 0x50
	s_movk_i32 s2, 0x60
	;; [unrolled: 1-line block ×26, first 2 shown]
	s_waitcnt vmcnt(0)
	ds_store_b64 v130, v[127:128]
	s_waitcnt lgkmcnt(0)
	s_waitcnt_vscnt null, 0x0
	s_barrier
	buffer_gl0_inv
	s_and_saveexec_b32 s28, s0
	s_cbranch_execz .LBB126_10
; %bb.5:
	s_and_b32 vcc_lo, exec_lo, s3
	s_cbranch_vccz .LBB126_7
; %bb.6:
	scratch_load_b64 v[127:128], v131, off
	ds_load_b64 v[132:133], v130
	s_waitcnt vmcnt(0) lgkmcnt(0)
	v_mul_f64 v[127:128], v[127:128], v[132:133]
	s_cbranch_execz .LBB126_8
	s_branch .LBB126_9
.LBB126_7:
                                        ; implicit-def: $vgpr127_vgpr128
.LBB126_8:
	ds_load_b64 v[127:128], v130
.LBB126_9:
	v_mov_b32_e32 v132, 0
	ds_load_b64 v[132:133], v132 offset:488
	s_waitcnt lgkmcnt(0)
	v_mul_f64 v[127:128], v[127:128], v[132:133]
	scratch_store_b64 off, v[127:128], off offset:488
.LBB126_10:
	s_or_b32 exec_lo, exec_lo, s28
	scratch_load_b64 v[127:128], off, off offset:480
	v_add_nc_u32_e64 v132, 0, 16
	v_add_nc_u32_e64 v133, 0, 32
	;; [unrolled: 1-line block ×30, first 2 shown]
	v_cmp_lt_u32_e64 s2, 60, v0
	s_waitcnt vmcnt(0)
	ds_store_b64 v130, v[127:128]
	s_waitcnt lgkmcnt(0)
	s_waitcnt_vscnt null, 0x0
	s_barrier
	buffer_gl0_inv
	s_and_saveexec_b32 s1, s2
	s_cbranch_execz .LBB126_18
; %bb.11:
	s_and_not1_b32 vcc_lo, exec_lo, s3
	s_cbranch_vccnz .LBB126_13
; %bb.12:
	scratch_load_b64 v[127:128], v131, off
	ds_load_b64 v[162:163], v130
	s_waitcnt vmcnt(0) lgkmcnt(0)
	v_mul_f64 v[127:128], v[127:128], v[162:163]
	s_cbranch_execz .LBB126_14
	s_branch .LBB126_15
.LBB126_13:
                                        ; implicit-def: $vgpr127_vgpr128
.LBB126_14:
	ds_load_b64 v[127:128], v130
.LBB126_15:
	s_and_saveexec_b32 s4, s0
	s_cbranch_execz .LBB126_17
; %bb.16:
	scratch_load_b64 v[162:163], off, off offset:488
	v_mov_b32_e32 v164, 0
	ds_load_b64 v[164:165], v164 offset:1000
	s_waitcnt vmcnt(0) lgkmcnt(0)
	v_fma_f64 v[127:128], v[162:163], v[164:165], v[127:128]
.LBB126_17:
	s_or_b32 exec_lo, exec_lo, s4
	v_mov_b32_e32 v162, 0
	ds_load_b64 v[162:163], v162 offset:480
	s_waitcnt lgkmcnt(0)
	v_mul_f64 v[127:128], v[127:128], v[162:163]
	scratch_store_b64 off, v[127:128], off offset:480
.LBB126_18:
	s_or_b32 exec_lo, exec_lo, s1
	scratch_load_b64 v[127:128], off, off offset:472
	v_cmp_lt_u32_e64 s1, 59, v0
	s_waitcnt vmcnt(0)
	ds_store_b64 v130, v[127:128]
	s_waitcnt lgkmcnt(0)
	s_waitcnt_vscnt null, 0x0
	s_barrier
	buffer_gl0_inv
	s_and_saveexec_b32 s0, s1
	s_cbranch_execz .LBB126_28
; %bb.19:
	s_and_not1_b32 vcc_lo, exec_lo, s3
	s_cbranch_vccnz .LBB126_21
; %bb.20:
	scratch_load_b64 v[127:128], v131, off
	ds_load_b64 v[162:163], v130
	s_waitcnt vmcnt(0) lgkmcnt(0)
	v_mul_f64 v[127:128], v[127:128], v[162:163]
	s_cbranch_execz .LBB126_22
	s_branch .LBB126_23
.LBB126_21:
                                        ; implicit-def: $vgpr127_vgpr128
.LBB126_22:
	ds_load_b64 v[127:128], v130
.LBB126_23:
	s_and_saveexec_b32 s4, s2
	s_cbranch_execz .LBB126_27
; %bb.24:
	v_subrev_nc_u32_e32 v162, 60, v0
	s_movk_i32 s5, 0x3e0
	s_mov_b32 s2, 0
.LBB126_25:                             ; =>This Inner Loop Header: Depth=1
	scratch_load_b64 v[163:164], v161, off
	v_dual_mov_b32 v165, s5 :: v_dual_add_nc_u32 v162, -1, v162
	v_add_nc_u32_e32 v161, 8, v161
	s_add_i32 s5, s5, 8
	ds_load_b64 v[165:166], v165
	v_cmp_eq_u32_e32 vcc_lo, 0, v162
	s_or_b32 s2, vcc_lo, s2
	s_waitcnt vmcnt(0) lgkmcnt(0)
	v_fma_f64 v[127:128], v[163:164], v[165:166], v[127:128]
	s_and_not1_b32 exec_lo, exec_lo, s2
	s_cbranch_execnz .LBB126_25
; %bb.26:
	s_or_b32 exec_lo, exec_lo, s2
.LBB126_27:
	s_delay_alu instid0(SALU_CYCLE_1)
	s_or_b32 exec_lo, exec_lo, s4
	v_mov_b32_e32 v161, 0
	ds_load_b64 v[161:162], v161 offset:472
	s_waitcnt lgkmcnt(0)
	v_mul_f64 v[127:128], v[127:128], v[161:162]
	scratch_store_b64 off, v[127:128], off offset:472
.LBB126_28:
	s_or_b32 exec_lo, exec_lo, s0
	scratch_load_b64 v[127:128], off, off offset:464
	v_cmp_lt_u32_e64 s0, 58, v0
	s_waitcnt vmcnt(0)
	ds_store_b64 v130, v[127:128]
	s_waitcnt lgkmcnt(0)
	s_waitcnt_vscnt null, 0x0
	s_barrier
	buffer_gl0_inv
	s_and_saveexec_b32 s2, s0
	s_cbranch_execz .LBB126_38
; %bb.29:
	s_and_not1_b32 vcc_lo, exec_lo, s3
	s_cbranch_vccnz .LBB126_31
; %bb.30:
	scratch_load_b64 v[127:128], v131, off
	ds_load_b64 v[161:162], v130
	s_waitcnt vmcnt(0) lgkmcnt(0)
	v_mul_f64 v[127:128], v[127:128], v[161:162]
	s_cbranch_execz .LBB126_32
	s_branch .LBB126_33
.LBB126_31:
                                        ; implicit-def: $vgpr127_vgpr128
.LBB126_32:
	ds_load_b64 v[127:128], v130
.LBB126_33:
	s_and_saveexec_b32 s4, s1
	s_cbranch_execz .LBB126_37
; %bb.34:
	v_mov_b32_e32 v161, 0
	v_subrev_nc_u32_e32 v162, 59, v0
	s_movk_i32 s5, 0x3d8
	s_mov_b32 s1, 0
	s_delay_alu instid0(VALU_DEP_2)
	v_add_nc_u32_e32 v161, 0x1d8, v161
.LBB126_35:                             ; =>This Inner Loop Header: Depth=1
	scratch_load_b64 v[163:164], v161, off
	v_dual_mov_b32 v165, s5 :: v_dual_add_nc_u32 v162, -1, v162
	v_add_nc_u32_e32 v161, 8, v161
	s_add_i32 s5, s5, 8
	ds_load_b64 v[165:166], v165
	v_cmp_eq_u32_e32 vcc_lo, 0, v162
	s_or_b32 s1, vcc_lo, s1
	s_waitcnt vmcnt(0) lgkmcnt(0)
	v_fma_f64 v[127:128], v[163:164], v[165:166], v[127:128]
	s_and_not1_b32 exec_lo, exec_lo, s1
	s_cbranch_execnz .LBB126_35
; %bb.36:
	s_or_b32 exec_lo, exec_lo, s1
.LBB126_37:
	s_delay_alu instid0(SALU_CYCLE_1)
	s_or_b32 exec_lo, exec_lo, s4
	v_mov_b32_e32 v161, 0
	ds_load_b64 v[161:162], v161 offset:464
	s_waitcnt lgkmcnt(0)
	v_mul_f64 v[127:128], v[127:128], v[161:162]
	scratch_store_b64 off, v[127:128], off offset:464
.LBB126_38:
	s_or_b32 exec_lo, exec_lo, s2
	scratch_load_b64 v[127:128], off, off offset:456
	v_cmp_lt_u32_e64 s1, 57, v0
	s_waitcnt vmcnt(0)
	ds_store_b64 v130, v[127:128]
	s_waitcnt lgkmcnt(0)
	s_waitcnt_vscnt null, 0x0
	s_barrier
	buffer_gl0_inv
	s_and_saveexec_b32 s2, s1
	s_cbranch_execz .LBB126_48
; %bb.39:
	s_and_not1_b32 vcc_lo, exec_lo, s3
	s_cbranch_vccnz .LBB126_41
; %bb.40:
	scratch_load_b64 v[127:128], v131, off
	ds_load_b64 v[161:162], v130
	s_waitcnt vmcnt(0) lgkmcnt(0)
	v_mul_f64 v[127:128], v[127:128], v[161:162]
	s_cbranch_execz .LBB126_42
	s_branch .LBB126_43
.LBB126_41:
                                        ; implicit-def: $vgpr127_vgpr128
.LBB126_42:
	ds_load_b64 v[127:128], v130
.LBB126_43:
	s_and_saveexec_b32 s4, s0
	s_cbranch_execz .LBB126_47
; %bb.44:
	v_subrev_nc_u32_e32 v161, 58, v0
	s_movk_i32 s5, 0x3d0
	s_mov_b32 s0, 0
.LBB126_45:                             ; =>This Inner Loop Header: Depth=1
	scratch_load_b64 v[162:163], v160, off
	v_dual_mov_b32 v164, s5 :: v_dual_add_nc_u32 v161, -1, v161
	v_add_nc_u32_e32 v160, 8, v160
	s_add_i32 s5, s5, 8
	ds_load_b64 v[164:165], v164
	v_cmp_eq_u32_e32 vcc_lo, 0, v161
	s_or_b32 s0, vcc_lo, s0
	s_waitcnt vmcnt(0) lgkmcnt(0)
	v_fma_f64 v[127:128], v[162:163], v[164:165], v[127:128]
	s_and_not1_b32 exec_lo, exec_lo, s0
	s_cbranch_execnz .LBB126_45
; %bb.46:
	s_or_b32 exec_lo, exec_lo, s0
.LBB126_47:
	s_delay_alu instid0(SALU_CYCLE_1)
	s_or_b32 exec_lo, exec_lo, s4
	v_mov_b32_e32 v160, 0
	ds_load_b64 v[160:161], v160 offset:456
	s_waitcnt lgkmcnt(0)
	v_mul_f64 v[127:128], v[127:128], v[160:161]
	scratch_store_b64 off, v[127:128], off offset:456
.LBB126_48:
	s_or_b32 exec_lo, exec_lo, s2
	scratch_load_b64 v[127:128], off, off offset:448
	v_cmp_lt_u32_e64 s0, 56, v0
	s_waitcnt vmcnt(0)
	ds_store_b64 v130, v[127:128]
	s_waitcnt lgkmcnt(0)
	s_waitcnt_vscnt null, 0x0
	s_barrier
	buffer_gl0_inv
	s_and_saveexec_b32 s2, s0
	s_cbranch_execz .LBB126_58
; %bb.49:
	s_and_not1_b32 vcc_lo, exec_lo, s3
	s_cbranch_vccnz .LBB126_51
; %bb.50:
	scratch_load_b64 v[127:128], v131, off
	ds_load_b64 v[160:161], v130
	s_waitcnt vmcnt(0) lgkmcnt(0)
	v_mul_f64 v[127:128], v[127:128], v[160:161]
	s_cbranch_execz .LBB126_52
	s_branch .LBB126_53
.LBB126_51:
                                        ; implicit-def: $vgpr127_vgpr128
.LBB126_52:
	ds_load_b64 v[127:128], v130
.LBB126_53:
	s_and_saveexec_b32 s4, s1
	s_cbranch_execz .LBB126_57
; %bb.54:
	v_mov_b32_e32 v160, 0
	v_subrev_nc_u32_e32 v161, 57, v0
	s_movk_i32 s5, 0x3c8
	s_mov_b32 s1, 0
	s_delay_alu instid0(VALU_DEP_2)
	v_add_nc_u32_e32 v160, 0x1c8, v160
.LBB126_55:                             ; =>This Inner Loop Header: Depth=1
	scratch_load_b64 v[162:163], v160, off
	v_dual_mov_b32 v164, s5 :: v_dual_add_nc_u32 v161, -1, v161
	v_add_nc_u32_e32 v160, 8, v160
	s_add_i32 s5, s5, 8
	ds_load_b64 v[164:165], v164
	v_cmp_eq_u32_e32 vcc_lo, 0, v161
	s_or_b32 s1, vcc_lo, s1
	s_waitcnt vmcnt(0) lgkmcnt(0)
	v_fma_f64 v[127:128], v[162:163], v[164:165], v[127:128]
	s_and_not1_b32 exec_lo, exec_lo, s1
	s_cbranch_execnz .LBB126_55
; %bb.56:
	s_or_b32 exec_lo, exec_lo, s1
.LBB126_57:
	s_delay_alu instid0(SALU_CYCLE_1)
	s_or_b32 exec_lo, exec_lo, s4
	v_mov_b32_e32 v160, 0
	ds_load_b64 v[160:161], v160 offset:448
	s_waitcnt lgkmcnt(0)
	v_mul_f64 v[127:128], v[127:128], v[160:161]
	scratch_store_b64 off, v[127:128], off offset:448
.LBB126_58:
	s_or_b32 exec_lo, exec_lo, s2
	scratch_load_b64 v[127:128], off, off offset:440
	v_cmp_lt_u32_e64 s1, 55, v0
	s_waitcnt vmcnt(0)
	ds_store_b64 v130, v[127:128]
	s_waitcnt lgkmcnt(0)
	s_waitcnt_vscnt null, 0x0
	s_barrier
	buffer_gl0_inv
	s_and_saveexec_b32 s2, s1
	s_cbranch_execz .LBB126_68
; %bb.59:
	s_and_not1_b32 vcc_lo, exec_lo, s3
	s_cbranch_vccnz .LBB126_61
; %bb.60:
	scratch_load_b64 v[127:128], v131, off
	ds_load_b64 v[160:161], v130
	s_waitcnt vmcnt(0) lgkmcnt(0)
	v_mul_f64 v[127:128], v[127:128], v[160:161]
	s_cbranch_execz .LBB126_62
	s_branch .LBB126_63
.LBB126_61:
                                        ; implicit-def: $vgpr127_vgpr128
.LBB126_62:
	ds_load_b64 v[127:128], v130
.LBB126_63:
	s_and_saveexec_b32 s4, s0
	s_cbranch_execz .LBB126_67
; %bb.64:
	v_subrev_nc_u32_e32 v160, 56, v0
	s_movk_i32 s5, 0x3c0
	s_mov_b32 s0, 0
.LBB126_65:                             ; =>This Inner Loop Header: Depth=1
	scratch_load_b64 v[161:162], v159, off
	v_dual_mov_b32 v163, s5 :: v_dual_add_nc_u32 v160, -1, v160
	v_add_nc_u32_e32 v159, 8, v159
	s_add_i32 s5, s5, 8
	ds_load_b64 v[163:164], v163
	v_cmp_eq_u32_e32 vcc_lo, 0, v160
	s_or_b32 s0, vcc_lo, s0
	s_waitcnt vmcnt(0) lgkmcnt(0)
	v_fma_f64 v[127:128], v[161:162], v[163:164], v[127:128]
	s_and_not1_b32 exec_lo, exec_lo, s0
	s_cbranch_execnz .LBB126_65
; %bb.66:
	s_or_b32 exec_lo, exec_lo, s0
.LBB126_67:
	s_delay_alu instid0(SALU_CYCLE_1)
	s_or_b32 exec_lo, exec_lo, s4
	v_mov_b32_e32 v159, 0
	ds_load_b64 v[159:160], v159 offset:440
	s_waitcnt lgkmcnt(0)
	v_mul_f64 v[127:128], v[127:128], v[159:160]
	scratch_store_b64 off, v[127:128], off offset:440
.LBB126_68:
	s_or_b32 exec_lo, exec_lo, s2
	scratch_load_b64 v[127:128], off, off offset:432
	v_cmp_lt_u32_e64 s0, 54, v0
	s_waitcnt vmcnt(0)
	ds_store_b64 v130, v[127:128]
	s_waitcnt lgkmcnt(0)
	s_waitcnt_vscnt null, 0x0
	s_barrier
	buffer_gl0_inv
	s_and_saveexec_b32 s2, s0
	s_cbranch_execz .LBB126_78
; %bb.69:
	s_and_not1_b32 vcc_lo, exec_lo, s3
	s_cbranch_vccnz .LBB126_71
; %bb.70:
	scratch_load_b64 v[127:128], v131, off
	ds_load_b64 v[159:160], v130
	s_waitcnt vmcnt(0) lgkmcnt(0)
	v_mul_f64 v[127:128], v[127:128], v[159:160]
	s_cbranch_execz .LBB126_72
	s_branch .LBB126_73
.LBB126_71:
                                        ; implicit-def: $vgpr127_vgpr128
.LBB126_72:
	ds_load_b64 v[127:128], v130
.LBB126_73:
	s_and_saveexec_b32 s4, s1
	s_cbranch_execz .LBB126_77
; %bb.74:
	v_mov_b32_e32 v159, 0
	v_subrev_nc_u32_e32 v160, 55, v0
	s_movk_i32 s5, 0x3b8
	s_mov_b32 s1, 0
	s_delay_alu instid0(VALU_DEP_2)
	v_add_nc_u32_e32 v159, 0x1b8, v159
.LBB126_75:                             ; =>This Inner Loop Header: Depth=1
	scratch_load_b64 v[161:162], v159, off
	v_dual_mov_b32 v163, s5 :: v_dual_add_nc_u32 v160, -1, v160
	v_add_nc_u32_e32 v159, 8, v159
	s_add_i32 s5, s5, 8
	ds_load_b64 v[163:164], v163
	v_cmp_eq_u32_e32 vcc_lo, 0, v160
	s_or_b32 s1, vcc_lo, s1
	s_waitcnt vmcnt(0) lgkmcnt(0)
	v_fma_f64 v[127:128], v[161:162], v[163:164], v[127:128]
	s_and_not1_b32 exec_lo, exec_lo, s1
	s_cbranch_execnz .LBB126_75
; %bb.76:
	s_or_b32 exec_lo, exec_lo, s1
.LBB126_77:
	s_delay_alu instid0(SALU_CYCLE_1)
	s_or_b32 exec_lo, exec_lo, s4
	v_mov_b32_e32 v159, 0
	ds_load_b64 v[159:160], v159 offset:432
	s_waitcnt lgkmcnt(0)
	v_mul_f64 v[127:128], v[127:128], v[159:160]
	scratch_store_b64 off, v[127:128], off offset:432
.LBB126_78:
	s_or_b32 exec_lo, exec_lo, s2
	scratch_load_b64 v[127:128], off, off offset:424
	v_cmp_lt_u32_e64 s1, 53, v0
	s_waitcnt vmcnt(0)
	ds_store_b64 v130, v[127:128]
	s_waitcnt lgkmcnt(0)
	s_waitcnt_vscnt null, 0x0
	s_barrier
	buffer_gl0_inv
	s_and_saveexec_b32 s2, s1
	s_cbranch_execz .LBB126_88
; %bb.79:
	s_and_not1_b32 vcc_lo, exec_lo, s3
	s_cbranch_vccnz .LBB126_81
; %bb.80:
	scratch_load_b64 v[127:128], v131, off
	ds_load_b64 v[159:160], v130
	s_waitcnt vmcnt(0) lgkmcnt(0)
	v_mul_f64 v[127:128], v[127:128], v[159:160]
	s_cbranch_execz .LBB126_82
	s_branch .LBB126_83
.LBB126_81:
                                        ; implicit-def: $vgpr127_vgpr128
.LBB126_82:
	ds_load_b64 v[127:128], v130
.LBB126_83:
	s_and_saveexec_b32 s4, s0
	s_cbranch_execz .LBB126_87
; %bb.84:
	v_subrev_nc_u32_e32 v159, 54, v0
	s_movk_i32 s5, 0x3b0
	s_mov_b32 s0, 0
.LBB126_85:                             ; =>This Inner Loop Header: Depth=1
	scratch_load_b64 v[160:161], v158, off
	v_dual_mov_b32 v162, s5 :: v_dual_add_nc_u32 v159, -1, v159
	v_add_nc_u32_e32 v158, 8, v158
	s_add_i32 s5, s5, 8
	ds_load_b64 v[162:163], v162
	v_cmp_eq_u32_e32 vcc_lo, 0, v159
	s_or_b32 s0, vcc_lo, s0
	s_waitcnt vmcnt(0) lgkmcnt(0)
	v_fma_f64 v[127:128], v[160:161], v[162:163], v[127:128]
	s_and_not1_b32 exec_lo, exec_lo, s0
	s_cbranch_execnz .LBB126_85
; %bb.86:
	s_or_b32 exec_lo, exec_lo, s0
.LBB126_87:
	s_delay_alu instid0(SALU_CYCLE_1)
	s_or_b32 exec_lo, exec_lo, s4
	v_mov_b32_e32 v158, 0
	ds_load_b64 v[158:159], v158 offset:424
	s_waitcnt lgkmcnt(0)
	v_mul_f64 v[127:128], v[127:128], v[158:159]
	scratch_store_b64 off, v[127:128], off offset:424
.LBB126_88:
	s_or_b32 exec_lo, exec_lo, s2
	scratch_load_b64 v[127:128], off, off offset:416
	v_cmp_lt_u32_e64 s0, 52, v0
	s_waitcnt vmcnt(0)
	ds_store_b64 v130, v[127:128]
	s_waitcnt lgkmcnt(0)
	s_waitcnt_vscnt null, 0x0
	s_barrier
	buffer_gl0_inv
	s_and_saveexec_b32 s2, s0
	s_cbranch_execz .LBB126_98
; %bb.89:
	s_and_not1_b32 vcc_lo, exec_lo, s3
	s_cbranch_vccnz .LBB126_91
; %bb.90:
	scratch_load_b64 v[127:128], v131, off
	ds_load_b64 v[158:159], v130
	s_waitcnt vmcnt(0) lgkmcnt(0)
	v_mul_f64 v[127:128], v[127:128], v[158:159]
	s_cbranch_execz .LBB126_92
	s_branch .LBB126_93
.LBB126_91:
                                        ; implicit-def: $vgpr127_vgpr128
.LBB126_92:
	ds_load_b64 v[127:128], v130
.LBB126_93:
	s_and_saveexec_b32 s4, s1
	s_cbranch_execz .LBB126_97
; %bb.94:
	v_mov_b32_e32 v158, 0
	v_subrev_nc_u32_e32 v159, 53, v0
	s_movk_i32 s5, 0x3a8
	s_mov_b32 s1, 0
	s_delay_alu instid0(VALU_DEP_2)
	v_add_nc_u32_e32 v158, 0x1a8, v158
.LBB126_95:                             ; =>This Inner Loop Header: Depth=1
	scratch_load_b64 v[160:161], v158, off
	v_dual_mov_b32 v162, s5 :: v_dual_add_nc_u32 v159, -1, v159
	v_add_nc_u32_e32 v158, 8, v158
	s_add_i32 s5, s5, 8
	ds_load_b64 v[162:163], v162
	v_cmp_eq_u32_e32 vcc_lo, 0, v159
	s_or_b32 s1, vcc_lo, s1
	s_waitcnt vmcnt(0) lgkmcnt(0)
	v_fma_f64 v[127:128], v[160:161], v[162:163], v[127:128]
	s_and_not1_b32 exec_lo, exec_lo, s1
	s_cbranch_execnz .LBB126_95
; %bb.96:
	s_or_b32 exec_lo, exec_lo, s1
.LBB126_97:
	s_delay_alu instid0(SALU_CYCLE_1)
	s_or_b32 exec_lo, exec_lo, s4
	v_mov_b32_e32 v158, 0
	ds_load_b64 v[158:159], v158 offset:416
	s_waitcnt lgkmcnt(0)
	v_mul_f64 v[127:128], v[127:128], v[158:159]
	scratch_store_b64 off, v[127:128], off offset:416
.LBB126_98:
	s_or_b32 exec_lo, exec_lo, s2
	scratch_load_b64 v[127:128], off, off offset:408
	v_cmp_lt_u32_e64 s1, 51, v0
	s_waitcnt vmcnt(0)
	ds_store_b64 v130, v[127:128]
	s_waitcnt lgkmcnt(0)
	s_waitcnt_vscnt null, 0x0
	s_barrier
	buffer_gl0_inv
	s_and_saveexec_b32 s2, s1
	s_cbranch_execz .LBB126_108
; %bb.99:
	s_and_not1_b32 vcc_lo, exec_lo, s3
	s_cbranch_vccnz .LBB126_101
; %bb.100:
	scratch_load_b64 v[127:128], v131, off
	ds_load_b64 v[158:159], v130
	s_waitcnt vmcnt(0) lgkmcnt(0)
	v_mul_f64 v[127:128], v[127:128], v[158:159]
	s_cbranch_execz .LBB126_102
	s_branch .LBB126_103
.LBB126_101:
                                        ; implicit-def: $vgpr127_vgpr128
.LBB126_102:
	ds_load_b64 v[127:128], v130
.LBB126_103:
	s_and_saveexec_b32 s4, s0
	s_cbranch_execz .LBB126_107
; %bb.104:
	v_subrev_nc_u32_e32 v158, 52, v0
	s_movk_i32 s5, 0x3a0
	s_mov_b32 s0, 0
.LBB126_105:                            ; =>This Inner Loop Header: Depth=1
	scratch_load_b64 v[159:160], v157, off
	v_dual_mov_b32 v161, s5 :: v_dual_add_nc_u32 v158, -1, v158
	v_add_nc_u32_e32 v157, 8, v157
	s_add_i32 s5, s5, 8
	ds_load_b64 v[161:162], v161
	v_cmp_eq_u32_e32 vcc_lo, 0, v158
	s_or_b32 s0, vcc_lo, s0
	s_waitcnt vmcnt(0) lgkmcnt(0)
	v_fma_f64 v[127:128], v[159:160], v[161:162], v[127:128]
	s_and_not1_b32 exec_lo, exec_lo, s0
	s_cbranch_execnz .LBB126_105
; %bb.106:
	s_or_b32 exec_lo, exec_lo, s0
.LBB126_107:
	s_delay_alu instid0(SALU_CYCLE_1)
	s_or_b32 exec_lo, exec_lo, s4
	v_mov_b32_e32 v157, 0
	ds_load_b64 v[157:158], v157 offset:408
	s_waitcnt lgkmcnt(0)
	v_mul_f64 v[127:128], v[127:128], v[157:158]
	scratch_store_b64 off, v[127:128], off offset:408
.LBB126_108:
	s_or_b32 exec_lo, exec_lo, s2
	scratch_load_b64 v[127:128], off, off offset:400
	v_cmp_lt_u32_e64 s0, 50, v0
	s_waitcnt vmcnt(0)
	ds_store_b64 v130, v[127:128]
	s_waitcnt lgkmcnt(0)
	s_waitcnt_vscnt null, 0x0
	s_barrier
	buffer_gl0_inv
	s_and_saveexec_b32 s2, s0
	s_cbranch_execz .LBB126_118
; %bb.109:
	s_and_not1_b32 vcc_lo, exec_lo, s3
	s_cbranch_vccnz .LBB126_111
; %bb.110:
	scratch_load_b64 v[127:128], v131, off
	ds_load_b64 v[157:158], v130
	s_waitcnt vmcnt(0) lgkmcnt(0)
	v_mul_f64 v[127:128], v[127:128], v[157:158]
	s_cbranch_execz .LBB126_112
	s_branch .LBB126_113
.LBB126_111:
                                        ; implicit-def: $vgpr127_vgpr128
.LBB126_112:
	ds_load_b64 v[127:128], v130
.LBB126_113:
	s_and_saveexec_b32 s4, s1
	s_cbranch_execz .LBB126_117
; %bb.114:
	v_mov_b32_e32 v157, 0
	v_subrev_nc_u32_e32 v158, 51, v0
	s_movk_i32 s5, 0x398
	s_mov_b32 s1, 0
	s_delay_alu instid0(VALU_DEP_2)
	v_add_nc_u32_e32 v157, 0x198, v157
.LBB126_115:                            ; =>This Inner Loop Header: Depth=1
	scratch_load_b64 v[159:160], v157, off
	v_dual_mov_b32 v161, s5 :: v_dual_add_nc_u32 v158, -1, v158
	v_add_nc_u32_e32 v157, 8, v157
	s_add_i32 s5, s5, 8
	ds_load_b64 v[161:162], v161
	v_cmp_eq_u32_e32 vcc_lo, 0, v158
	s_or_b32 s1, vcc_lo, s1
	s_waitcnt vmcnt(0) lgkmcnt(0)
	v_fma_f64 v[127:128], v[159:160], v[161:162], v[127:128]
	s_and_not1_b32 exec_lo, exec_lo, s1
	s_cbranch_execnz .LBB126_115
; %bb.116:
	s_or_b32 exec_lo, exec_lo, s1
.LBB126_117:
	s_delay_alu instid0(SALU_CYCLE_1)
	s_or_b32 exec_lo, exec_lo, s4
	v_mov_b32_e32 v157, 0
	ds_load_b64 v[157:158], v157 offset:400
	s_waitcnt lgkmcnt(0)
	v_mul_f64 v[127:128], v[127:128], v[157:158]
	scratch_store_b64 off, v[127:128], off offset:400
.LBB126_118:
	s_or_b32 exec_lo, exec_lo, s2
	scratch_load_b64 v[127:128], off, off offset:392
	v_cmp_lt_u32_e64 s1, 49, v0
	s_waitcnt vmcnt(0)
	ds_store_b64 v130, v[127:128]
	s_waitcnt lgkmcnt(0)
	s_waitcnt_vscnt null, 0x0
	s_barrier
	buffer_gl0_inv
	s_and_saveexec_b32 s2, s1
	s_cbranch_execz .LBB126_128
; %bb.119:
	s_and_not1_b32 vcc_lo, exec_lo, s3
	s_cbranch_vccnz .LBB126_121
; %bb.120:
	scratch_load_b64 v[127:128], v131, off
	ds_load_b64 v[157:158], v130
	s_waitcnt vmcnt(0) lgkmcnt(0)
	v_mul_f64 v[127:128], v[127:128], v[157:158]
	s_cbranch_execz .LBB126_122
	s_branch .LBB126_123
.LBB126_121:
                                        ; implicit-def: $vgpr127_vgpr128
.LBB126_122:
	ds_load_b64 v[127:128], v130
.LBB126_123:
	s_and_saveexec_b32 s4, s0
	s_cbranch_execz .LBB126_127
; %bb.124:
	v_subrev_nc_u32_e32 v157, 50, v0
	s_movk_i32 s5, 0x390
	s_mov_b32 s0, 0
.LBB126_125:                            ; =>This Inner Loop Header: Depth=1
	scratch_load_b64 v[158:159], v156, off
	v_dual_mov_b32 v160, s5 :: v_dual_add_nc_u32 v157, -1, v157
	v_add_nc_u32_e32 v156, 8, v156
	s_add_i32 s5, s5, 8
	ds_load_b64 v[160:161], v160
	v_cmp_eq_u32_e32 vcc_lo, 0, v157
	s_or_b32 s0, vcc_lo, s0
	s_waitcnt vmcnt(0) lgkmcnt(0)
	v_fma_f64 v[127:128], v[158:159], v[160:161], v[127:128]
	s_and_not1_b32 exec_lo, exec_lo, s0
	s_cbranch_execnz .LBB126_125
; %bb.126:
	s_or_b32 exec_lo, exec_lo, s0
.LBB126_127:
	s_delay_alu instid0(SALU_CYCLE_1)
	s_or_b32 exec_lo, exec_lo, s4
	v_mov_b32_e32 v156, 0
	ds_load_b64 v[156:157], v156 offset:392
	s_waitcnt lgkmcnt(0)
	v_mul_f64 v[127:128], v[127:128], v[156:157]
	scratch_store_b64 off, v[127:128], off offset:392
.LBB126_128:
	s_or_b32 exec_lo, exec_lo, s2
	scratch_load_b64 v[127:128], off, off offset:384
	v_cmp_lt_u32_e64 s0, 48, v0
	s_waitcnt vmcnt(0)
	ds_store_b64 v130, v[127:128]
	s_waitcnt lgkmcnt(0)
	s_waitcnt_vscnt null, 0x0
	s_barrier
	buffer_gl0_inv
	s_and_saveexec_b32 s2, s0
	s_cbranch_execz .LBB126_138
; %bb.129:
	s_and_not1_b32 vcc_lo, exec_lo, s3
	s_cbranch_vccnz .LBB126_131
; %bb.130:
	scratch_load_b64 v[127:128], v131, off
	ds_load_b64 v[156:157], v130
	s_waitcnt vmcnt(0) lgkmcnt(0)
	v_mul_f64 v[127:128], v[127:128], v[156:157]
	s_cbranch_execz .LBB126_132
	s_branch .LBB126_133
.LBB126_131:
                                        ; implicit-def: $vgpr127_vgpr128
.LBB126_132:
	ds_load_b64 v[127:128], v130
.LBB126_133:
	s_and_saveexec_b32 s4, s1
	s_cbranch_execz .LBB126_137
; %bb.134:
	v_mov_b32_e32 v156, 0
	v_subrev_nc_u32_e32 v157, 49, v0
	s_movk_i32 s5, 0x388
	s_mov_b32 s1, 0
	s_delay_alu instid0(VALU_DEP_2)
	v_add_nc_u32_e32 v156, 0x188, v156
.LBB126_135:                            ; =>This Inner Loop Header: Depth=1
	scratch_load_b64 v[158:159], v156, off
	v_dual_mov_b32 v160, s5 :: v_dual_add_nc_u32 v157, -1, v157
	v_add_nc_u32_e32 v156, 8, v156
	s_add_i32 s5, s5, 8
	ds_load_b64 v[160:161], v160
	v_cmp_eq_u32_e32 vcc_lo, 0, v157
	s_or_b32 s1, vcc_lo, s1
	s_waitcnt vmcnt(0) lgkmcnt(0)
	v_fma_f64 v[127:128], v[158:159], v[160:161], v[127:128]
	s_and_not1_b32 exec_lo, exec_lo, s1
	s_cbranch_execnz .LBB126_135
; %bb.136:
	s_or_b32 exec_lo, exec_lo, s1
.LBB126_137:
	s_delay_alu instid0(SALU_CYCLE_1)
	s_or_b32 exec_lo, exec_lo, s4
	v_mov_b32_e32 v156, 0
	ds_load_b64 v[156:157], v156 offset:384
	s_waitcnt lgkmcnt(0)
	v_mul_f64 v[127:128], v[127:128], v[156:157]
	scratch_store_b64 off, v[127:128], off offset:384
.LBB126_138:
	s_or_b32 exec_lo, exec_lo, s2
	scratch_load_b64 v[127:128], off, off offset:376
	v_cmp_lt_u32_e64 s1, 47, v0
	s_waitcnt vmcnt(0)
	ds_store_b64 v130, v[127:128]
	s_waitcnt lgkmcnt(0)
	s_waitcnt_vscnt null, 0x0
	s_barrier
	buffer_gl0_inv
	s_and_saveexec_b32 s2, s1
	s_cbranch_execz .LBB126_148
; %bb.139:
	s_and_not1_b32 vcc_lo, exec_lo, s3
	s_cbranch_vccnz .LBB126_141
; %bb.140:
	scratch_load_b64 v[127:128], v131, off
	ds_load_b64 v[156:157], v130
	s_waitcnt vmcnt(0) lgkmcnt(0)
	v_mul_f64 v[127:128], v[127:128], v[156:157]
	s_cbranch_execz .LBB126_142
	s_branch .LBB126_143
.LBB126_141:
                                        ; implicit-def: $vgpr127_vgpr128
.LBB126_142:
	ds_load_b64 v[127:128], v130
.LBB126_143:
	s_and_saveexec_b32 s4, s0
	s_cbranch_execz .LBB126_147
; %bb.144:
	v_subrev_nc_u32_e32 v156, 48, v0
	s_movk_i32 s5, 0x380
	s_mov_b32 s0, 0
.LBB126_145:                            ; =>This Inner Loop Header: Depth=1
	scratch_load_b64 v[157:158], v155, off
	v_dual_mov_b32 v159, s5 :: v_dual_add_nc_u32 v156, -1, v156
	v_add_nc_u32_e32 v155, 8, v155
	s_add_i32 s5, s5, 8
	ds_load_b64 v[159:160], v159
	v_cmp_eq_u32_e32 vcc_lo, 0, v156
	s_or_b32 s0, vcc_lo, s0
	s_waitcnt vmcnt(0) lgkmcnt(0)
	v_fma_f64 v[127:128], v[157:158], v[159:160], v[127:128]
	s_and_not1_b32 exec_lo, exec_lo, s0
	s_cbranch_execnz .LBB126_145
; %bb.146:
	s_or_b32 exec_lo, exec_lo, s0
.LBB126_147:
	s_delay_alu instid0(SALU_CYCLE_1)
	s_or_b32 exec_lo, exec_lo, s4
	v_mov_b32_e32 v155, 0
	ds_load_b64 v[155:156], v155 offset:376
	s_waitcnt lgkmcnt(0)
	v_mul_f64 v[127:128], v[127:128], v[155:156]
	scratch_store_b64 off, v[127:128], off offset:376
.LBB126_148:
	s_or_b32 exec_lo, exec_lo, s2
	scratch_load_b64 v[127:128], off, off offset:368
	v_cmp_lt_u32_e64 s0, 46, v0
	s_waitcnt vmcnt(0)
	ds_store_b64 v130, v[127:128]
	s_waitcnt lgkmcnt(0)
	s_waitcnt_vscnt null, 0x0
	s_barrier
	buffer_gl0_inv
	s_and_saveexec_b32 s2, s0
	s_cbranch_execz .LBB126_158
; %bb.149:
	s_and_not1_b32 vcc_lo, exec_lo, s3
	s_cbranch_vccnz .LBB126_151
; %bb.150:
	scratch_load_b64 v[127:128], v131, off
	ds_load_b64 v[155:156], v130
	s_waitcnt vmcnt(0) lgkmcnt(0)
	v_mul_f64 v[127:128], v[127:128], v[155:156]
	s_cbranch_execz .LBB126_152
	s_branch .LBB126_153
.LBB126_151:
                                        ; implicit-def: $vgpr127_vgpr128
.LBB126_152:
	ds_load_b64 v[127:128], v130
.LBB126_153:
	s_and_saveexec_b32 s4, s1
	s_cbranch_execz .LBB126_157
; %bb.154:
	v_mov_b32_e32 v155, 0
	v_subrev_nc_u32_e32 v156, 47, v0
	s_movk_i32 s5, 0x378
	s_mov_b32 s1, 0
	s_delay_alu instid0(VALU_DEP_2)
	v_add_nc_u32_e32 v155, 0x178, v155
.LBB126_155:                            ; =>This Inner Loop Header: Depth=1
	scratch_load_b64 v[157:158], v155, off
	v_dual_mov_b32 v159, s5 :: v_dual_add_nc_u32 v156, -1, v156
	v_add_nc_u32_e32 v155, 8, v155
	s_add_i32 s5, s5, 8
	ds_load_b64 v[159:160], v159
	v_cmp_eq_u32_e32 vcc_lo, 0, v156
	s_or_b32 s1, vcc_lo, s1
	s_waitcnt vmcnt(0) lgkmcnt(0)
	v_fma_f64 v[127:128], v[157:158], v[159:160], v[127:128]
	s_and_not1_b32 exec_lo, exec_lo, s1
	s_cbranch_execnz .LBB126_155
; %bb.156:
	s_or_b32 exec_lo, exec_lo, s1
.LBB126_157:
	s_delay_alu instid0(SALU_CYCLE_1)
	s_or_b32 exec_lo, exec_lo, s4
	v_mov_b32_e32 v155, 0
	ds_load_b64 v[155:156], v155 offset:368
	s_waitcnt lgkmcnt(0)
	v_mul_f64 v[127:128], v[127:128], v[155:156]
	scratch_store_b64 off, v[127:128], off offset:368
.LBB126_158:
	s_or_b32 exec_lo, exec_lo, s2
	scratch_load_b64 v[127:128], off, off offset:360
	v_cmp_lt_u32_e64 s1, 45, v0
	s_waitcnt vmcnt(0)
	ds_store_b64 v130, v[127:128]
	s_waitcnt lgkmcnt(0)
	s_waitcnt_vscnt null, 0x0
	s_barrier
	buffer_gl0_inv
	s_and_saveexec_b32 s2, s1
	s_cbranch_execz .LBB126_168
; %bb.159:
	s_and_not1_b32 vcc_lo, exec_lo, s3
	s_cbranch_vccnz .LBB126_161
; %bb.160:
	scratch_load_b64 v[127:128], v131, off
	ds_load_b64 v[155:156], v130
	s_waitcnt vmcnt(0) lgkmcnt(0)
	v_mul_f64 v[127:128], v[127:128], v[155:156]
	s_cbranch_execz .LBB126_162
	s_branch .LBB126_163
.LBB126_161:
                                        ; implicit-def: $vgpr127_vgpr128
.LBB126_162:
	ds_load_b64 v[127:128], v130
.LBB126_163:
	s_and_saveexec_b32 s4, s0
	s_cbranch_execz .LBB126_167
; %bb.164:
	v_subrev_nc_u32_e32 v155, 46, v0
	s_movk_i32 s5, 0x370
	s_mov_b32 s0, 0
.LBB126_165:                            ; =>This Inner Loop Header: Depth=1
	scratch_load_b64 v[156:157], v154, off
	v_dual_mov_b32 v158, s5 :: v_dual_add_nc_u32 v155, -1, v155
	v_add_nc_u32_e32 v154, 8, v154
	s_add_i32 s5, s5, 8
	ds_load_b64 v[158:159], v158
	v_cmp_eq_u32_e32 vcc_lo, 0, v155
	s_or_b32 s0, vcc_lo, s0
	s_waitcnt vmcnt(0) lgkmcnt(0)
	v_fma_f64 v[127:128], v[156:157], v[158:159], v[127:128]
	s_and_not1_b32 exec_lo, exec_lo, s0
	s_cbranch_execnz .LBB126_165
; %bb.166:
	s_or_b32 exec_lo, exec_lo, s0
.LBB126_167:
	s_delay_alu instid0(SALU_CYCLE_1)
	s_or_b32 exec_lo, exec_lo, s4
	v_mov_b32_e32 v154, 0
	ds_load_b64 v[154:155], v154 offset:360
	s_waitcnt lgkmcnt(0)
	v_mul_f64 v[127:128], v[127:128], v[154:155]
	scratch_store_b64 off, v[127:128], off offset:360
.LBB126_168:
	s_or_b32 exec_lo, exec_lo, s2
	scratch_load_b64 v[127:128], off, off offset:352
	v_cmp_lt_u32_e64 s0, 44, v0
	s_waitcnt vmcnt(0)
	ds_store_b64 v130, v[127:128]
	s_waitcnt lgkmcnt(0)
	s_waitcnt_vscnt null, 0x0
	s_barrier
	buffer_gl0_inv
	s_and_saveexec_b32 s2, s0
	s_cbranch_execz .LBB126_178
; %bb.169:
	s_and_not1_b32 vcc_lo, exec_lo, s3
	s_cbranch_vccnz .LBB126_171
; %bb.170:
	scratch_load_b64 v[127:128], v131, off
	ds_load_b64 v[154:155], v130
	s_waitcnt vmcnt(0) lgkmcnt(0)
	v_mul_f64 v[127:128], v[127:128], v[154:155]
	s_cbranch_execz .LBB126_172
	s_branch .LBB126_173
.LBB126_171:
                                        ; implicit-def: $vgpr127_vgpr128
.LBB126_172:
	ds_load_b64 v[127:128], v130
.LBB126_173:
	s_and_saveexec_b32 s4, s1
	s_cbranch_execz .LBB126_177
; %bb.174:
	v_mov_b32_e32 v154, 0
	v_subrev_nc_u32_e32 v155, 45, v0
	s_movk_i32 s5, 0x368
	s_mov_b32 s1, 0
	s_delay_alu instid0(VALU_DEP_2)
	v_add_nc_u32_e32 v154, 0x168, v154
.LBB126_175:                            ; =>This Inner Loop Header: Depth=1
	scratch_load_b64 v[156:157], v154, off
	v_dual_mov_b32 v158, s5 :: v_dual_add_nc_u32 v155, -1, v155
	v_add_nc_u32_e32 v154, 8, v154
	s_add_i32 s5, s5, 8
	ds_load_b64 v[158:159], v158
	v_cmp_eq_u32_e32 vcc_lo, 0, v155
	s_or_b32 s1, vcc_lo, s1
	s_waitcnt vmcnt(0) lgkmcnt(0)
	v_fma_f64 v[127:128], v[156:157], v[158:159], v[127:128]
	s_and_not1_b32 exec_lo, exec_lo, s1
	s_cbranch_execnz .LBB126_175
; %bb.176:
	s_or_b32 exec_lo, exec_lo, s1
.LBB126_177:
	s_delay_alu instid0(SALU_CYCLE_1)
	s_or_b32 exec_lo, exec_lo, s4
	v_mov_b32_e32 v154, 0
	ds_load_b64 v[154:155], v154 offset:352
	s_waitcnt lgkmcnt(0)
	v_mul_f64 v[127:128], v[127:128], v[154:155]
	scratch_store_b64 off, v[127:128], off offset:352
.LBB126_178:
	s_or_b32 exec_lo, exec_lo, s2
	scratch_load_b64 v[127:128], off, off offset:344
	v_cmp_lt_u32_e64 s1, 43, v0
	s_waitcnt vmcnt(0)
	ds_store_b64 v130, v[127:128]
	s_waitcnt lgkmcnt(0)
	s_waitcnt_vscnt null, 0x0
	s_barrier
	buffer_gl0_inv
	s_and_saveexec_b32 s2, s1
	s_cbranch_execz .LBB126_188
; %bb.179:
	s_and_not1_b32 vcc_lo, exec_lo, s3
	s_cbranch_vccnz .LBB126_181
; %bb.180:
	scratch_load_b64 v[127:128], v131, off
	ds_load_b64 v[154:155], v130
	s_waitcnt vmcnt(0) lgkmcnt(0)
	v_mul_f64 v[127:128], v[127:128], v[154:155]
	s_cbranch_execz .LBB126_182
	s_branch .LBB126_183
.LBB126_181:
                                        ; implicit-def: $vgpr127_vgpr128
.LBB126_182:
	ds_load_b64 v[127:128], v130
.LBB126_183:
	s_and_saveexec_b32 s4, s0
	s_cbranch_execz .LBB126_187
; %bb.184:
	v_subrev_nc_u32_e32 v154, 44, v0
	s_movk_i32 s5, 0x360
	s_mov_b32 s0, 0
.LBB126_185:                            ; =>This Inner Loop Header: Depth=1
	scratch_load_b64 v[155:156], v153, off
	v_dual_mov_b32 v157, s5 :: v_dual_add_nc_u32 v154, -1, v154
	v_add_nc_u32_e32 v153, 8, v153
	s_add_i32 s5, s5, 8
	ds_load_b64 v[157:158], v157
	v_cmp_eq_u32_e32 vcc_lo, 0, v154
	s_or_b32 s0, vcc_lo, s0
	s_waitcnt vmcnt(0) lgkmcnt(0)
	v_fma_f64 v[127:128], v[155:156], v[157:158], v[127:128]
	s_and_not1_b32 exec_lo, exec_lo, s0
	s_cbranch_execnz .LBB126_185
; %bb.186:
	s_or_b32 exec_lo, exec_lo, s0
.LBB126_187:
	s_delay_alu instid0(SALU_CYCLE_1)
	s_or_b32 exec_lo, exec_lo, s4
	v_mov_b32_e32 v153, 0
	ds_load_b64 v[153:154], v153 offset:344
	s_waitcnt lgkmcnt(0)
	v_mul_f64 v[127:128], v[127:128], v[153:154]
	scratch_store_b64 off, v[127:128], off offset:344
.LBB126_188:
	s_or_b32 exec_lo, exec_lo, s2
	scratch_load_b64 v[127:128], off, off offset:336
	v_cmp_lt_u32_e64 s0, 42, v0
	s_waitcnt vmcnt(0)
	ds_store_b64 v130, v[127:128]
	s_waitcnt lgkmcnt(0)
	s_waitcnt_vscnt null, 0x0
	s_barrier
	buffer_gl0_inv
	s_and_saveexec_b32 s2, s0
	s_cbranch_execz .LBB126_198
; %bb.189:
	s_and_not1_b32 vcc_lo, exec_lo, s3
	s_cbranch_vccnz .LBB126_191
; %bb.190:
	scratch_load_b64 v[127:128], v131, off
	ds_load_b64 v[153:154], v130
	s_waitcnt vmcnt(0) lgkmcnt(0)
	v_mul_f64 v[127:128], v[127:128], v[153:154]
	s_cbranch_execz .LBB126_192
	s_branch .LBB126_193
.LBB126_191:
                                        ; implicit-def: $vgpr127_vgpr128
.LBB126_192:
	ds_load_b64 v[127:128], v130
.LBB126_193:
	s_and_saveexec_b32 s4, s1
	s_cbranch_execz .LBB126_197
; %bb.194:
	v_mov_b32_e32 v153, 0
	v_subrev_nc_u32_e32 v154, 43, v0
	s_movk_i32 s5, 0x358
	s_mov_b32 s1, 0
	s_delay_alu instid0(VALU_DEP_2)
	v_add_nc_u32_e32 v153, 0x158, v153
.LBB126_195:                            ; =>This Inner Loop Header: Depth=1
	scratch_load_b64 v[155:156], v153, off
	v_dual_mov_b32 v157, s5 :: v_dual_add_nc_u32 v154, -1, v154
	v_add_nc_u32_e32 v153, 8, v153
	s_add_i32 s5, s5, 8
	ds_load_b64 v[157:158], v157
	v_cmp_eq_u32_e32 vcc_lo, 0, v154
	s_or_b32 s1, vcc_lo, s1
	s_waitcnt vmcnt(0) lgkmcnt(0)
	v_fma_f64 v[127:128], v[155:156], v[157:158], v[127:128]
	s_and_not1_b32 exec_lo, exec_lo, s1
	s_cbranch_execnz .LBB126_195
; %bb.196:
	s_or_b32 exec_lo, exec_lo, s1
.LBB126_197:
	s_delay_alu instid0(SALU_CYCLE_1)
	s_or_b32 exec_lo, exec_lo, s4
	v_mov_b32_e32 v153, 0
	ds_load_b64 v[153:154], v153 offset:336
	s_waitcnt lgkmcnt(0)
	v_mul_f64 v[127:128], v[127:128], v[153:154]
	scratch_store_b64 off, v[127:128], off offset:336
.LBB126_198:
	s_or_b32 exec_lo, exec_lo, s2
	scratch_load_b64 v[127:128], off, off offset:328
	v_cmp_lt_u32_e64 s1, 41, v0
	s_waitcnt vmcnt(0)
	ds_store_b64 v130, v[127:128]
	s_waitcnt lgkmcnt(0)
	s_waitcnt_vscnt null, 0x0
	s_barrier
	buffer_gl0_inv
	s_and_saveexec_b32 s2, s1
	s_cbranch_execz .LBB126_208
; %bb.199:
	s_and_not1_b32 vcc_lo, exec_lo, s3
	s_cbranch_vccnz .LBB126_201
; %bb.200:
	scratch_load_b64 v[127:128], v131, off
	ds_load_b64 v[153:154], v130
	s_waitcnt vmcnt(0) lgkmcnt(0)
	v_mul_f64 v[127:128], v[127:128], v[153:154]
	s_cbranch_execz .LBB126_202
	s_branch .LBB126_203
.LBB126_201:
                                        ; implicit-def: $vgpr127_vgpr128
.LBB126_202:
	ds_load_b64 v[127:128], v130
.LBB126_203:
	s_and_saveexec_b32 s4, s0
	s_cbranch_execz .LBB126_207
; %bb.204:
	v_subrev_nc_u32_e32 v153, 42, v0
	s_movk_i32 s5, 0x350
	s_mov_b32 s0, 0
.LBB126_205:                            ; =>This Inner Loop Header: Depth=1
	scratch_load_b64 v[154:155], v152, off
	v_dual_mov_b32 v156, s5 :: v_dual_add_nc_u32 v153, -1, v153
	v_add_nc_u32_e32 v152, 8, v152
	s_add_i32 s5, s5, 8
	ds_load_b64 v[156:157], v156
	v_cmp_eq_u32_e32 vcc_lo, 0, v153
	s_or_b32 s0, vcc_lo, s0
	s_waitcnt vmcnt(0) lgkmcnt(0)
	v_fma_f64 v[127:128], v[154:155], v[156:157], v[127:128]
	s_and_not1_b32 exec_lo, exec_lo, s0
	s_cbranch_execnz .LBB126_205
; %bb.206:
	s_or_b32 exec_lo, exec_lo, s0
.LBB126_207:
	s_delay_alu instid0(SALU_CYCLE_1)
	s_or_b32 exec_lo, exec_lo, s4
	v_mov_b32_e32 v152, 0
	ds_load_b64 v[152:153], v152 offset:328
	s_waitcnt lgkmcnt(0)
	v_mul_f64 v[127:128], v[127:128], v[152:153]
	scratch_store_b64 off, v[127:128], off offset:328
.LBB126_208:
	s_or_b32 exec_lo, exec_lo, s2
	scratch_load_b64 v[127:128], off, off offset:320
	v_cmp_lt_u32_e64 s0, 40, v0
	s_waitcnt vmcnt(0)
	ds_store_b64 v130, v[127:128]
	s_waitcnt lgkmcnt(0)
	s_waitcnt_vscnt null, 0x0
	s_barrier
	buffer_gl0_inv
	s_and_saveexec_b32 s2, s0
	s_cbranch_execz .LBB126_218
; %bb.209:
	s_and_not1_b32 vcc_lo, exec_lo, s3
	s_cbranch_vccnz .LBB126_211
; %bb.210:
	scratch_load_b64 v[127:128], v131, off
	ds_load_b64 v[152:153], v130
	s_waitcnt vmcnt(0) lgkmcnt(0)
	v_mul_f64 v[127:128], v[127:128], v[152:153]
	s_cbranch_execz .LBB126_212
	s_branch .LBB126_213
.LBB126_211:
                                        ; implicit-def: $vgpr127_vgpr128
.LBB126_212:
	ds_load_b64 v[127:128], v130
.LBB126_213:
	s_and_saveexec_b32 s4, s1
	s_cbranch_execz .LBB126_217
; %bb.214:
	v_mov_b32_e32 v152, 0
	v_subrev_nc_u32_e32 v153, 41, v0
	s_movk_i32 s5, 0x348
	s_mov_b32 s1, 0
	s_delay_alu instid0(VALU_DEP_2)
	v_add_nc_u32_e32 v152, 0x148, v152
.LBB126_215:                            ; =>This Inner Loop Header: Depth=1
	scratch_load_b64 v[154:155], v152, off
	v_dual_mov_b32 v156, s5 :: v_dual_add_nc_u32 v153, -1, v153
	v_add_nc_u32_e32 v152, 8, v152
	s_add_i32 s5, s5, 8
	ds_load_b64 v[156:157], v156
	v_cmp_eq_u32_e32 vcc_lo, 0, v153
	s_or_b32 s1, vcc_lo, s1
	s_waitcnt vmcnt(0) lgkmcnt(0)
	v_fma_f64 v[127:128], v[154:155], v[156:157], v[127:128]
	s_and_not1_b32 exec_lo, exec_lo, s1
	s_cbranch_execnz .LBB126_215
; %bb.216:
	s_or_b32 exec_lo, exec_lo, s1
.LBB126_217:
	s_delay_alu instid0(SALU_CYCLE_1)
	s_or_b32 exec_lo, exec_lo, s4
	v_mov_b32_e32 v152, 0
	ds_load_b64 v[152:153], v152 offset:320
	s_waitcnt lgkmcnt(0)
	v_mul_f64 v[127:128], v[127:128], v[152:153]
	scratch_store_b64 off, v[127:128], off offset:320
.LBB126_218:
	s_or_b32 exec_lo, exec_lo, s2
	scratch_load_b64 v[127:128], off, off offset:312
	v_cmp_lt_u32_e64 s1, 39, v0
	s_waitcnt vmcnt(0)
	ds_store_b64 v130, v[127:128]
	s_waitcnt lgkmcnt(0)
	s_waitcnt_vscnt null, 0x0
	s_barrier
	buffer_gl0_inv
	s_and_saveexec_b32 s2, s1
	s_cbranch_execz .LBB126_228
; %bb.219:
	s_and_not1_b32 vcc_lo, exec_lo, s3
	s_cbranch_vccnz .LBB126_221
; %bb.220:
	scratch_load_b64 v[127:128], v131, off
	ds_load_b64 v[152:153], v130
	s_waitcnt vmcnt(0) lgkmcnt(0)
	v_mul_f64 v[127:128], v[127:128], v[152:153]
	s_cbranch_execz .LBB126_222
	s_branch .LBB126_223
.LBB126_221:
                                        ; implicit-def: $vgpr127_vgpr128
.LBB126_222:
	ds_load_b64 v[127:128], v130
.LBB126_223:
	s_and_saveexec_b32 s4, s0
	s_cbranch_execz .LBB126_227
; %bb.224:
	v_subrev_nc_u32_e32 v152, 40, v0
	s_movk_i32 s5, 0x340
	s_mov_b32 s0, 0
.LBB126_225:                            ; =>This Inner Loop Header: Depth=1
	scratch_load_b64 v[153:154], v151, off
	v_dual_mov_b32 v155, s5 :: v_dual_add_nc_u32 v152, -1, v152
	v_add_nc_u32_e32 v151, 8, v151
	s_add_i32 s5, s5, 8
	ds_load_b64 v[155:156], v155
	v_cmp_eq_u32_e32 vcc_lo, 0, v152
	s_or_b32 s0, vcc_lo, s0
	s_waitcnt vmcnt(0) lgkmcnt(0)
	v_fma_f64 v[127:128], v[153:154], v[155:156], v[127:128]
	s_and_not1_b32 exec_lo, exec_lo, s0
	s_cbranch_execnz .LBB126_225
; %bb.226:
	s_or_b32 exec_lo, exec_lo, s0
.LBB126_227:
	s_delay_alu instid0(SALU_CYCLE_1)
	s_or_b32 exec_lo, exec_lo, s4
	v_mov_b32_e32 v151, 0
	ds_load_b64 v[151:152], v151 offset:312
	s_waitcnt lgkmcnt(0)
	v_mul_f64 v[127:128], v[127:128], v[151:152]
	scratch_store_b64 off, v[127:128], off offset:312
.LBB126_228:
	s_or_b32 exec_lo, exec_lo, s2
	scratch_load_b64 v[127:128], off, off offset:304
	v_cmp_lt_u32_e64 s0, 38, v0
	s_waitcnt vmcnt(0)
	ds_store_b64 v130, v[127:128]
	s_waitcnt lgkmcnt(0)
	s_waitcnt_vscnt null, 0x0
	s_barrier
	buffer_gl0_inv
	s_and_saveexec_b32 s2, s0
	s_cbranch_execz .LBB126_238
; %bb.229:
	s_and_not1_b32 vcc_lo, exec_lo, s3
	s_cbranch_vccnz .LBB126_231
; %bb.230:
	scratch_load_b64 v[127:128], v131, off
	ds_load_b64 v[151:152], v130
	s_waitcnt vmcnt(0) lgkmcnt(0)
	v_mul_f64 v[127:128], v[127:128], v[151:152]
	s_cbranch_execz .LBB126_232
	s_branch .LBB126_233
.LBB126_231:
                                        ; implicit-def: $vgpr127_vgpr128
.LBB126_232:
	ds_load_b64 v[127:128], v130
.LBB126_233:
	s_and_saveexec_b32 s4, s1
	s_cbranch_execz .LBB126_237
; %bb.234:
	v_mov_b32_e32 v151, 0
	v_subrev_nc_u32_e32 v152, 39, v0
	s_movk_i32 s5, 0x338
	s_mov_b32 s1, 0
	s_delay_alu instid0(VALU_DEP_2)
	v_add_nc_u32_e32 v151, 0x138, v151
.LBB126_235:                            ; =>This Inner Loop Header: Depth=1
	scratch_load_b64 v[153:154], v151, off
	v_dual_mov_b32 v155, s5 :: v_dual_add_nc_u32 v152, -1, v152
	v_add_nc_u32_e32 v151, 8, v151
	s_add_i32 s5, s5, 8
	ds_load_b64 v[155:156], v155
	v_cmp_eq_u32_e32 vcc_lo, 0, v152
	s_or_b32 s1, vcc_lo, s1
	s_waitcnt vmcnt(0) lgkmcnt(0)
	v_fma_f64 v[127:128], v[153:154], v[155:156], v[127:128]
	s_and_not1_b32 exec_lo, exec_lo, s1
	s_cbranch_execnz .LBB126_235
; %bb.236:
	s_or_b32 exec_lo, exec_lo, s1
.LBB126_237:
	s_delay_alu instid0(SALU_CYCLE_1)
	s_or_b32 exec_lo, exec_lo, s4
	v_mov_b32_e32 v151, 0
	ds_load_b64 v[151:152], v151 offset:304
	s_waitcnt lgkmcnt(0)
	v_mul_f64 v[127:128], v[127:128], v[151:152]
	scratch_store_b64 off, v[127:128], off offset:304
.LBB126_238:
	s_or_b32 exec_lo, exec_lo, s2
	scratch_load_b64 v[127:128], off, off offset:296
	v_cmp_lt_u32_e64 s1, 37, v0
	s_waitcnt vmcnt(0)
	ds_store_b64 v130, v[127:128]
	s_waitcnt lgkmcnt(0)
	s_waitcnt_vscnt null, 0x0
	s_barrier
	buffer_gl0_inv
	s_and_saveexec_b32 s2, s1
	s_cbranch_execz .LBB126_248
; %bb.239:
	s_and_not1_b32 vcc_lo, exec_lo, s3
	s_cbranch_vccnz .LBB126_241
; %bb.240:
	scratch_load_b64 v[127:128], v131, off
	ds_load_b64 v[151:152], v130
	s_waitcnt vmcnt(0) lgkmcnt(0)
	v_mul_f64 v[127:128], v[127:128], v[151:152]
	s_cbranch_execz .LBB126_242
	s_branch .LBB126_243
.LBB126_241:
                                        ; implicit-def: $vgpr127_vgpr128
.LBB126_242:
	ds_load_b64 v[127:128], v130
.LBB126_243:
	s_and_saveexec_b32 s4, s0
	s_cbranch_execz .LBB126_247
; %bb.244:
	v_subrev_nc_u32_e32 v151, 38, v0
	s_movk_i32 s5, 0x330
	s_mov_b32 s0, 0
.LBB126_245:                            ; =>This Inner Loop Header: Depth=1
	scratch_load_b64 v[152:153], v150, off
	v_dual_mov_b32 v154, s5 :: v_dual_add_nc_u32 v151, -1, v151
	v_add_nc_u32_e32 v150, 8, v150
	s_add_i32 s5, s5, 8
	ds_load_b64 v[154:155], v154
	v_cmp_eq_u32_e32 vcc_lo, 0, v151
	s_or_b32 s0, vcc_lo, s0
	s_waitcnt vmcnt(0) lgkmcnt(0)
	v_fma_f64 v[127:128], v[152:153], v[154:155], v[127:128]
	s_and_not1_b32 exec_lo, exec_lo, s0
	s_cbranch_execnz .LBB126_245
; %bb.246:
	s_or_b32 exec_lo, exec_lo, s0
.LBB126_247:
	s_delay_alu instid0(SALU_CYCLE_1)
	s_or_b32 exec_lo, exec_lo, s4
	v_mov_b32_e32 v150, 0
	ds_load_b64 v[150:151], v150 offset:296
	s_waitcnt lgkmcnt(0)
	v_mul_f64 v[127:128], v[127:128], v[150:151]
	scratch_store_b64 off, v[127:128], off offset:296
.LBB126_248:
	s_or_b32 exec_lo, exec_lo, s2
	scratch_load_b64 v[127:128], off, off offset:288
	v_cmp_lt_u32_e64 s0, 36, v0
	s_waitcnt vmcnt(0)
	ds_store_b64 v130, v[127:128]
	s_waitcnt lgkmcnt(0)
	s_waitcnt_vscnt null, 0x0
	s_barrier
	buffer_gl0_inv
	s_and_saveexec_b32 s2, s0
	s_cbranch_execz .LBB126_258
; %bb.249:
	s_and_not1_b32 vcc_lo, exec_lo, s3
	s_cbranch_vccnz .LBB126_251
; %bb.250:
	scratch_load_b64 v[127:128], v131, off
	ds_load_b64 v[150:151], v130
	s_waitcnt vmcnt(0) lgkmcnt(0)
	v_mul_f64 v[127:128], v[127:128], v[150:151]
	s_cbranch_execz .LBB126_252
	s_branch .LBB126_253
.LBB126_251:
                                        ; implicit-def: $vgpr127_vgpr128
.LBB126_252:
	ds_load_b64 v[127:128], v130
.LBB126_253:
	s_and_saveexec_b32 s4, s1
	s_cbranch_execz .LBB126_257
; %bb.254:
	v_mov_b32_e32 v150, 0
	v_subrev_nc_u32_e32 v151, 37, v0
	s_movk_i32 s5, 0x328
	s_mov_b32 s1, 0
	s_delay_alu instid0(VALU_DEP_2)
	v_add_nc_u32_e32 v150, 0x128, v150
.LBB126_255:                            ; =>This Inner Loop Header: Depth=1
	scratch_load_b64 v[152:153], v150, off
	v_dual_mov_b32 v154, s5 :: v_dual_add_nc_u32 v151, -1, v151
	v_add_nc_u32_e32 v150, 8, v150
	s_add_i32 s5, s5, 8
	ds_load_b64 v[154:155], v154
	v_cmp_eq_u32_e32 vcc_lo, 0, v151
	s_or_b32 s1, vcc_lo, s1
	s_waitcnt vmcnt(0) lgkmcnt(0)
	v_fma_f64 v[127:128], v[152:153], v[154:155], v[127:128]
	s_and_not1_b32 exec_lo, exec_lo, s1
	s_cbranch_execnz .LBB126_255
; %bb.256:
	s_or_b32 exec_lo, exec_lo, s1
.LBB126_257:
	s_delay_alu instid0(SALU_CYCLE_1)
	s_or_b32 exec_lo, exec_lo, s4
	v_mov_b32_e32 v150, 0
	ds_load_b64 v[150:151], v150 offset:288
	s_waitcnt lgkmcnt(0)
	v_mul_f64 v[127:128], v[127:128], v[150:151]
	scratch_store_b64 off, v[127:128], off offset:288
.LBB126_258:
	s_or_b32 exec_lo, exec_lo, s2
	scratch_load_b64 v[127:128], off, off offset:280
	v_cmp_lt_u32_e64 s1, 35, v0
	s_waitcnt vmcnt(0)
	ds_store_b64 v130, v[127:128]
	s_waitcnt lgkmcnt(0)
	s_waitcnt_vscnt null, 0x0
	s_barrier
	buffer_gl0_inv
	s_and_saveexec_b32 s2, s1
	s_cbranch_execz .LBB126_268
; %bb.259:
	s_and_not1_b32 vcc_lo, exec_lo, s3
	s_cbranch_vccnz .LBB126_261
; %bb.260:
	scratch_load_b64 v[127:128], v131, off
	ds_load_b64 v[150:151], v130
	s_waitcnt vmcnt(0) lgkmcnt(0)
	v_mul_f64 v[127:128], v[127:128], v[150:151]
	s_cbranch_execz .LBB126_262
	s_branch .LBB126_263
.LBB126_261:
                                        ; implicit-def: $vgpr127_vgpr128
.LBB126_262:
	ds_load_b64 v[127:128], v130
.LBB126_263:
	s_and_saveexec_b32 s4, s0
	s_cbranch_execz .LBB126_267
; %bb.264:
	v_subrev_nc_u32_e32 v150, 36, v0
	s_movk_i32 s5, 0x320
	s_mov_b32 s0, 0
.LBB126_265:                            ; =>This Inner Loop Header: Depth=1
	scratch_load_b64 v[151:152], v149, off
	v_dual_mov_b32 v153, s5 :: v_dual_add_nc_u32 v150, -1, v150
	v_add_nc_u32_e32 v149, 8, v149
	s_add_i32 s5, s5, 8
	ds_load_b64 v[153:154], v153
	v_cmp_eq_u32_e32 vcc_lo, 0, v150
	s_or_b32 s0, vcc_lo, s0
	s_waitcnt vmcnt(0) lgkmcnt(0)
	v_fma_f64 v[127:128], v[151:152], v[153:154], v[127:128]
	s_and_not1_b32 exec_lo, exec_lo, s0
	s_cbranch_execnz .LBB126_265
; %bb.266:
	s_or_b32 exec_lo, exec_lo, s0
.LBB126_267:
	s_delay_alu instid0(SALU_CYCLE_1)
	s_or_b32 exec_lo, exec_lo, s4
	v_mov_b32_e32 v149, 0
	ds_load_b64 v[149:150], v149 offset:280
	s_waitcnt lgkmcnt(0)
	v_mul_f64 v[127:128], v[127:128], v[149:150]
	scratch_store_b64 off, v[127:128], off offset:280
.LBB126_268:
	s_or_b32 exec_lo, exec_lo, s2
	scratch_load_b64 v[127:128], off, off offset:272
	v_cmp_lt_u32_e64 s0, 34, v0
	s_waitcnt vmcnt(0)
	ds_store_b64 v130, v[127:128]
	s_waitcnt lgkmcnt(0)
	s_waitcnt_vscnt null, 0x0
	s_barrier
	buffer_gl0_inv
	s_and_saveexec_b32 s2, s0
	s_cbranch_execz .LBB126_278
; %bb.269:
	s_and_not1_b32 vcc_lo, exec_lo, s3
	s_cbranch_vccnz .LBB126_271
; %bb.270:
	scratch_load_b64 v[127:128], v131, off
	ds_load_b64 v[149:150], v130
	s_waitcnt vmcnt(0) lgkmcnt(0)
	v_mul_f64 v[127:128], v[127:128], v[149:150]
	s_cbranch_execz .LBB126_272
	s_branch .LBB126_273
.LBB126_271:
                                        ; implicit-def: $vgpr127_vgpr128
.LBB126_272:
	ds_load_b64 v[127:128], v130
.LBB126_273:
	s_and_saveexec_b32 s4, s1
	s_cbranch_execz .LBB126_277
; %bb.274:
	v_mov_b32_e32 v149, 0
	v_subrev_nc_u32_e32 v150, 35, v0
	s_movk_i32 s5, 0x318
	s_mov_b32 s1, 0
	s_delay_alu instid0(VALU_DEP_2)
	v_add_nc_u32_e32 v149, 0x118, v149
.LBB126_275:                            ; =>This Inner Loop Header: Depth=1
	scratch_load_b64 v[151:152], v149, off
	v_dual_mov_b32 v153, s5 :: v_dual_add_nc_u32 v150, -1, v150
	v_add_nc_u32_e32 v149, 8, v149
	s_add_i32 s5, s5, 8
	ds_load_b64 v[153:154], v153
	v_cmp_eq_u32_e32 vcc_lo, 0, v150
	s_or_b32 s1, vcc_lo, s1
	s_waitcnt vmcnt(0) lgkmcnt(0)
	v_fma_f64 v[127:128], v[151:152], v[153:154], v[127:128]
	s_and_not1_b32 exec_lo, exec_lo, s1
	s_cbranch_execnz .LBB126_275
; %bb.276:
	s_or_b32 exec_lo, exec_lo, s1
.LBB126_277:
	s_delay_alu instid0(SALU_CYCLE_1)
	s_or_b32 exec_lo, exec_lo, s4
	v_mov_b32_e32 v149, 0
	ds_load_b64 v[149:150], v149 offset:272
	s_waitcnt lgkmcnt(0)
	v_mul_f64 v[127:128], v[127:128], v[149:150]
	scratch_store_b64 off, v[127:128], off offset:272
.LBB126_278:
	s_or_b32 exec_lo, exec_lo, s2
	scratch_load_b64 v[127:128], off, off offset:264
	v_cmp_lt_u32_e64 s1, 33, v0
	s_waitcnt vmcnt(0)
	ds_store_b64 v130, v[127:128]
	s_waitcnt lgkmcnt(0)
	s_waitcnt_vscnt null, 0x0
	s_barrier
	buffer_gl0_inv
	s_and_saveexec_b32 s2, s1
	s_cbranch_execz .LBB126_288
; %bb.279:
	s_and_not1_b32 vcc_lo, exec_lo, s3
	s_cbranch_vccnz .LBB126_281
; %bb.280:
	scratch_load_b64 v[127:128], v131, off
	ds_load_b64 v[149:150], v130
	s_waitcnt vmcnt(0) lgkmcnt(0)
	v_mul_f64 v[127:128], v[127:128], v[149:150]
	s_cbranch_execz .LBB126_282
	s_branch .LBB126_283
.LBB126_281:
                                        ; implicit-def: $vgpr127_vgpr128
.LBB126_282:
	ds_load_b64 v[127:128], v130
.LBB126_283:
	s_and_saveexec_b32 s4, s0
	s_cbranch_execz .LBB126_287
; %bb.284:
	v_subrev_nc_u32_e32 v149, 34, v0
	s_movk_i32 s5, 0x310
	s_mov_b32 s0, 0
.LBB126_285:                            ; =>This Inner Loop Header: Depth=1
	scratch_load_b64 v[150:151], v148, off
	v_dual_mov_b32 v152, s5 :: v_dual_add_nc_u32 v149, -1, v149
	v_add_nc_u32_e32 v148, 8, v148
	s_add_i32 s5, s5, 8
	ds_load_b64 v[152:153], v152
	v_cmp_eq_u32_e32 vcc_lo, 0, v149
	s_or_b32 s0, vcc_lo, s0
	s_waitcnt vmcnt(0) lgkmcnt(0)
	v_fma_f64 v[127:128], v[150:151], v[152:153], v[127:128]
	s_and_not1_b32 exec_lo, exec_lo, s0
	s_cbranch_execnz .LBB126_285
; %bb.286:
	s_or_b32 exec_lo, exec_lo, s0
.LBB126_287:
	s_delay_alu instid0(SALU_CYCLE_1)
	s_or_b32 exec_lo, exec_lo, s4
	v_mov_b32_e32 v148, 0
	ds_load_b64 v[148:149], v148 offset:264
	s_waitcnt lgkmcnt(0)
	v_mul_f64 v[127:128], v[127:128], v[148:149]
	scratch_store_b64 off, v[127:128], off offset:264
.LBB126_288:
	s_or_b32 exec_lo, exec_lo, s2
	scratch_load_b64 v[127:128], off, off offset:256
	v_cmp_lt_u32_e64 s0, 32, v0
	s_waitcnt vmcnt(0)
	ds_store_b64 v130, v[127:128]
	s_waitcnt lgkmcnt(0)
	s_waitcnt_vscnt null, 0x0
	s_barrier
	buffer_gl0_inv
	s_and_saveexec_b32 s2, s0
	s_cbranch_execz .LBB126_298
; %bb.289:
	s_and_not1_b32 vcc_lo, exec_lo, s3
	s_cbranch_vccnz .LBB126_291
; %bb.290:
	scratch_load_b64 v[127:128], v131, off
	ds_load_b64 v[148:149], v130
	s_waitcnt vmcnt(0) lgkmcnt(0)
	v_mul_f64 v[127:128], v[127:128], v[148:149]
	s_cbranch_execz .LBB126_292
	s_branch .LBB126_293
.LBB126_291:
                                        ; implicit-def: $vgpr127_vgpr128
.LBB126_292:
	ds_load_b64 v[127:128], v130
.LBB126_293:
	s_and_saveexec_b32 s4, s1
	s_cbranch_execz .LBB126_297
; %bb.294:
	v_mov_b32_e32 v148, 0
	v_subrev_nc_u32_e32 v149, 33, v0
	s_movk_i32 s5, 0x308
	s_mov_b32 s1, 0
	s_delay_alu instid0(VALU_DEP_2)
	v_add_nc_u32_e32 v148, 0x108, v148
.LBB126_295:                            ; =>This Inner Loop Header: Depth=1
	scratch_load_b64 v[150:151], v148, off
	v_dual_mov_b32 v152, s5 :: v_dual_add_nc_u32 v149, -1, v149
	v_add_nc_u32_e32 v148, 8, v148
	s_add_i32 s5, s5, 8
	ds_load_b64 v[152:153], v152
	v_cmp_eq_u32_e32 vcc_lo, 0, v149
	s_or_b32 s1, vcc_lo, s1
	s_waitcnt vmcnt(0) lgkmcnt(0)
	v_fma_f64 v[127:128], v[150:151], v[152:153], v[127:128]
	s_and_not1_b32 exec_lo, exec_lo, s1
	s_cbranch_execnz .LBB126_295
; %bb.296:
	s_or_b32 exec_lo, exec_lo, s1
.LBB126_297:
	s_delay_alu instid0(SALU_CYCLE_1)
	s_or_b32 exec_lo, exec_lo, s4
	v_mov_b32_e32 v148, 0
	ds_load_b64 v[148:149], v148 offset:256
	s_waitcnt lgkmcnt(0)
	v_mul_f64 v[127:128], v[127:128], v[148:149]
	scratch_store_b64 off, v[127:128], off offset:256
.LBB126_298:
	s_or_b32 exec_lo, exec_lo, s2
	scratch_load_b64 v[127:128], off, off offset:248
	v_cmp_lt_u32_e64 s1, 31, v0
	s_waitcnt vmcnt(0)
	ds_store_b64 v130, v[127:128]
	s_waitcnt lgkmcnt(0)
	s_waitcnt_vscnt null, 0x0
	s_barrier
	buffer_gl0_inv
	s_and_saveexec_b32 s2, s1
	s_cbranch_execz .LBB126_308
; %bb.299:
	s_and_not1_b32 vcc_lo, exec_lo, s3
	s_cbranch_vccnz .LBB126_301
; %bb.300:
	scratch_load_b64 v[127:128], v131, off
	ds_load_b64 v[148:149], v130
	s_waitcnt vmcnt(0) lgkmcnt(0)
	v_mul_f64 v[127:128], v[127:128], v[148:149]
	s_cbranch_execz .LBB126_302
	s_branch .LBB126_303
.LBB126_301:
                                        ; implicit-def: $vgpr127_vgpr128
.LBB126_302:
	ds_load_b64 v[127:128], v130
.LBB126_303:
	s_and_saveexec_b32 s4, s0
	s_cbranch_execz .LBB126_307
; %bb.304:
	v_subrev_nc_u32_e32 v148, 32, v0
	s_movk_i32 s5, 0x300
	s_mov_b32 s0, 0
.LBB126_305:                            ; =>This Inner Loop Header: Depth=1
	scratch_load_b64 v[149:150], v147, off
	v_dual_mov_b32 v151, s5 :: v_dual_add_nc_u32 v148, -1, v148
	v_add_nc_u32_e32 v147, 8, v147
	s_add_i32 s5, s5, 8
	ds_load_b64 v[151:152], v151
	v_cmp_eq_u32_e32 vcc_lo, 0, v148
	s_or_b32 s0, vcc_lo, s0
	s_waitcnt vmcnt(0) lgkmcnt(0)
	v_fma_f64 v[127:128], v[149:150], v[151:152], v[127:128]
	s_and_not1_b32 exec_lo, exec_lo, s0
	s_cbranch_execnz .LBB126_305
; %bb.306:
	s_or_b32 exec_lo, exec_lo, s0
.LBB126_307:
	s_delay_alu instid0(SALU_CYCLE_1)
	s_or_b32 exec_lo, exec_lo, s4
	v_mov_b32_e32 v147, 0
	ds_load_b64 v[147:148], v147 offset:248
	s_waitcnt lgkmcnt(0)
	v_mul_f64 v[127:128], v[127:128], v[147:148]
	scratch_store_b64 off, v[127:128], off offset:248
.LBB126_308:
	s_or_b32 exec_lo, exec_lo, s2
	scratch_load_b64 v[127:128], off, off offset:240
	v_cmp_lt_u32_e64 s0, 30, v0
	s_waitcnt vmcnt(0)
	ds_store_b64 v130, v[127:128]
	s_waitcnt lgkmcnt(0)
	s_waitcnt_vscnt null, 0x0
	s_barrier
	buffer_gl0_inv
	s_and_saveexec_b32 s2, s0
	s_cbranch_execz .LBB126_318
; %bb.309:
	s_and_not1_b32 vcc_lo, exec_lo, s3
	s_cbranch_vccnz .LBB126_311
; %bb.310:
	scratch_load_b64 v[127:128], v131, off
	ds_load_b64 v[147:148], v130
	s_waitcnt vmcnt(0) lgkmcnt(0)
	v_mul_f64 v[127:128], v[127:128], v[147:148]
	s_cbranch_execz .LBB126_312
	s_branch .LBB126_313
.LBB126_311:
                                        ; implicit-def: $vgpr127_vgpr128
.LBB126_312:
	ds_load_b64 v[127:128], v130
.LBB126_313:
	s_and_saveexec_b32 s4, s1
	s_cbranch_execz .LBB126_317
; %bb.314:
	v_mov_b32_e32 v147, 0
	v_subrev_nc_u32_e32 v148, 31, v0
	s_movk_i32 s5, 0x2f8
	s_mov_b32 s1, 0
	s_delay_alu instid0(VALU_DEP_2)
	v_add_nc_u32_e32 v147, 0xf8, v147
.LBB126_315:                            ; =>This Inner Loop Header: Depth=1
	scratch_load_b64 v[149:150], v147, off
	v_dual_mov_b32 v151, s5 :: v_dual_add_nc_u32 v148, -1, v148
	v_add_nc_u32_e32 v147, 8, v147
	s_add_i32 s5, s5, 8
	ds_load_b64 v[151:152], v151
	v_cmp_eq_u32_e32 vcc_lo, 0, v148
	s_or_b32 s1, vcc_lo, s1
	s_waitcnt vmcnt(0) lgkmcnt(0)
	v_fma_f64 v[127:128], v[149:150], v[151:152], v[127:128]
	s_and_not1_b32 exec_lo, exec_lo, s1
	s_cbranch_execnz .LBB126_315
; %bb.316:
	s_or_b32 exec_lo, exec_lo, s1
.LBB126_317:
	s_delay_alu instid0(SALU_CYCLE_1)
	s_or_b32 exec_lo, exec_lo, s4
	v_mov_b32_e32 v147, 0
	ds_load_b64 v[147:148], v147 offset:240
	s_waitcnt lgkmcnt(0)
	v_mul_f64 v[127:128], v[127:128], v[147:148]
	scratch_store_b64 off, v[127:128], off offset:240
.LBB126_318:
	s_or_b32 exec_lo, exec_lo, s2
	scratch_load_b64 v[127:128], off, off offset:232
	v_cmp_lt_u32_e64 s1, 29, v0
	s_waitcnt vmcnt(0)
	ds_store_b64 v130, v[127:128]
	s_waitcnt lgkmcnt(0)
	s_waitcnt_vscnt null, 0x0
	s_barrier
	buffer_gl0_inv
	s_and_saveexec_b32 s2, s1
	s_cbranch_execz .LBB126_328
; %bb.319:
	s_and_not1_b32 vcc_lo, exec_lo, s3
	s_cbranch_vccnz .LBB126_321
; %bb.320:
	scratch_load_b64 v[127:128], v131, off
	ds_load_b64 v[147:148], v130
	s_waitcnt vmcnt(0) lgkmcnt(0)
	v_mul_f64 v[127:128], v[127:128], v[147:148]
	s_cbranch_execz .LBB126_322
	s_branch .LBB126_323
.LBB126_321:
                                        ; implicit-def: $vgpr127_vgpr128
.LBB126_322:
	ds_load_b64 v[127:128], v130
.LBB126_323:
	s_and_saveexec_b32 s4, s0
	s_cbranch_execz .LBB126_327
; %bb.324:
	v_subrev_nc_u32_e32 v147, 30, v0
	s_movk_i32 s5, 0x2f0
	s_mov_b32 s0, 0
.LBB126_325:                            ; =>This Inner Loop Header: Depth=1
	scratch_load_b64 v[148:149], v146, off
	v_dual_mov_b32 v150, s5 :: v_dual_add_nc_u32 v147, -1, v147
	v_add_nc_u32_e32 v146, 8, v146
	s_add_i32 s5, s5, 8
	ds_load_b64 v[150:151], v150
	v_cmp_eq_u32_e32 vcc_lo, 0, v147
	s_or_b32 s0, vcc_lo, s0
	s_waitcnt vmcnt(0) lgkmcnt(0)
	v_fma_f64 v[127:128], v[148:149], v[150:151], v[127:128]
	s_and_not1_b32 exec_lo, exec_lo, s0
	s_cbranch_execnz .LBB126_325
; %bb.326:
	s_or_b32 exec_lo, exec_lo, s0
.LBB126_327:
	s_delay_alu instid0(SALU_CYCLE_1)
	s_or_b32 exec_lo, exec_lo, s4
	v_mov_b32_e32 v146, 0
	ds_load_b64 v[146:147], v146 offset:232
	s_waitcnt lgkmcnt(0)
	v_mul_f64 v[127:128], v[127:128], v[146:147]
	scratch_store_b64 off, v[127:128], off offset:232
.LBB126_328:
	s_or_b32 exec_lo, exec_lo, s2
	scratch_load_b64 v[127:128], off, off offset:224
	v_cmp_lt_u32_e64 s0, 28, v0
	s_waitcnt vmcnt(0)
	ds_store_b64 v130, v[127:128]
	s_waitcnt lgkmcnt(0)
	s_waitcnt_vscnt null, 0x0
	s_barrier
	buffer_gl0_inv
	s_and_saveexec_b32 s2, s0
	s_cbranch_execz .LBB126_338
; %bb.329:
	s_and_not1_b32 vcc_lo, exec_lo, s3
	s_cbranch_vccnz .LBB126_331
; %bb.330:
	scratch_load_b64 v[127:128], v131, off
	ds_load_b64 v[146:147], v130
	s_waitcnt vmcnt(0) lgkmcnt(0)
	v_mul_f64 v[127:128], v[127:128], v[146:147]
	s_cbranch_execz .LBB126_332
	s_branch .LBB126_333
.LBB126_331:
                                        ; implicit-def: $vgpr127_vgpr128
.LBB126_332:
	ds_load_b64 v[127:128], v130
.LBB126_333:
	s_and_saveexec_b32 s4, s1
	s_cbranch_execz .LBB126_337
; %bb.334:
	v_mov_b32_e32 v146, 0
	v_subrev_nc_u32_e32 v147, 29, v0
	s_movk_i32 s5, 0x2e8
	s_mov_b32 s1, 0
	s_delay_alu instid0(VALU_DEP_2)
	v_add_nc_u32_e32 v146, 0xe8, v146
.LBB126_335:                            ; =>This Inner Loop Header: Depth=1
	scratch_load_b64 v[148:149], v146, off
	v_dual_mov_b32 v150, s5 :: v_dual_add_nc_u32 v147, -1, v147
	v_add_nc_u32_e32 v146, 8, v146
	s_add_i32 s5, s5, 8
	ds_load_b64 v[150:151], v150
	v_cmp_eq_u32_e32 vcc_lo, 0, v147
	s_or_b32 s1, vcc_lo, s1
	s_waitcnt vmcnt(0) lgkmcnt(0)
	v_fma_f64 v[127:128], v[148:149], v[150:151], v[127:128]
	s_and_not1_b32 exec_lo, exec_lo, s1
	s_cbranch_execnz .LBB126_335
; %bb.336:
	s_or_b32 exec_lo, exec_lo, s1
.LBB126_337:
	s_delay_alu instid0(SALU_CYCLE_1)
	s_or_b32 exec_lo, exec_lo, s4
	v_mov_b32_e32 v146, 0
	ds_load_b64 v[146:147], v146 offset:224
	s_waitcnt lgkmcnt(0)
	v_mul_f64 v[127:128], v[127:128], v[146:147]
	scratch_store_b64 off, v[127:128], off offset:224
.LBB126_338:
	s_or_b32 exec_lo, exec_lo, s2
	scratch_load_b64 v[127:128], off, off offset:216
	v_cmp_lt_u32_e64 s1, 27, v0
	s_waitcnt vmcnt(0)
	ds_store_b64 v130, v[127:128]
	s_waitcnt lgkmcnt(0)
	s_waitcnt_vscnt null, 0x0
	s_barrier
	buffer_gl0_inv
	s_and_saveexec_b32 s2, s1
	s_cbranch_execz .LBB126_348
; %bb.339:
	s_and_not1_b32 vcc_lo, exec_lo, s3
	s_cbranch_vccnz .LBB126_341
; %bb.340:
	scratch_load_b64 v[127:128], v131, off
	ds_load_b64 v[146:147], v130
	s_waitcnt vmcnt(0) lgkmcnt(0)
	v_mul_f64 v[127:128], v[127:128], v[146:147]
	s_cbranch_execz .LBB126_342
	s_branch .LBB126_343
.LBB126_341:
                                        ; implicit-def: $vgpr127_vgpr128
.LBB126_342:
	ds_load_b64 v[127:128], v130
.LBB126_343:
	s_and_saveexec_b32 s4, s0
	s_cbranch_execz .LBB126_347
; %bb.344:
	v_subrev_nc_u32_e32 v146, 28, v0
	s_movk_i32 s5, 0x2e0
	s_mov_b32 s0, 0
.LBB126_345:                            ; =>This Inner Loop Header: Depth=1
	scratch_load_b64 v[147:148], v145, off
	v_dual_mov_b32 v149, s5 :: v_dual_add_nc_u32 v146, -1, v146
	v_add_nc_u32_e32 v145, 8, v145
	s_add_i32 s5, s5, 8
	ds_load_b64 v[149:150], v149
	v_cmp_eq_u32_e32 vcc_lo, 0, v146
	s_or_b32 s0, vcc_lo, s0
	s_waitcnt vmcnt(0) lgkmcnt(0)
	v_fma_f64 v[127:128], v[147:148], v[149:150], v[127:128]
	s_and_not1_b32 exec_lo, exec_lo, s0
	s_cbranch_execnz .LBB126_345
; %bb.346:
	s_or_b32 exec_lo, exec_lo, s0
.LBB126_347:
	s_delay_alu instid0(SALU_CYCLE_1)
	s_or_b32 exec_lo, exec_lo, s4
	v_mov_b32_e32 v145, 0
	ds_load_b64 v[145:146], v145 offset:216
	s_waitcnt lgkmcnt(0)
	v_mul_f64 v[127:128], v[127:128], v[145:146]
	scratch_store_b64 off, v[127:128], off offset:216
.LBB126_348:
	s_or_b32 exec_lo, exec_lo, s2
	scratch_load_b64 v[127:128], off, off offset:208
	v_cmp_lt_u32_e64 s0, 26, v0
	s_waitcnt vmcnt(0)
	ds_store_b64 v130, v[127:128]
	s_waitcnt lgkmcnt(0)
	s_waitcnt_vscnt null, 0x0
	s_barrier
	buffer_gl0_inv
	s_and_saveexec_b32 s2, s0
	s_cbranch_execz .LBB126_358
; %bb.349:
	s_and_not1_b32 vcc_lo, exec_lo, s3
	s_cbranch_vccnz .LBB126_351
; %bb.350:
	scratch_load_b64 v[127:128], v131, off
	ds_load_b64 v[145:146], v130
	s_waitcnt vmcnt(0) lgkmcnt(0)
	v_mul_f64 v[127:128], v[127:128], v[145:146]
	s_cbranch_execz .LBB126_352
	s_branch .LBB126_353
.LBB126_351:
                                        ; implicit-def: $vgpr127_vgpr128
.LBB126_352:
	ds_load_b64 v[127:128], v130
.LBB126_353:
	s_and_saveexec_b32 s4, s1
	s_cbranch_execz .LBB126_357
; %bb.354:
	v_mov_b32_e32 v145, 0
	v_subrev_nc_u32_e32 v146, 27, v0
	s_movk_i32 s5, 0x2d8
	s_mov_b32 s1, 0
	s_delay_alu instid0(VALU_DEP_2)
	v_add_nc_u32_e32 v145, 0xd8, v145
.LBB126_355:                            ; =>This Inner Loop Header: Depth=1
	scratch_load_b64 v[147:148], v145, off
	v_dual_mov_b32 v149, s5 :: v_dual_add_nc_u32 v146, -1, v146
	v_add_nc_u32_e32 v145, 8, v145
	s_add_i32 s5, s5, 8
	ds_load_b64 v[149:150], v149
	v_cmp_eq_u32_e32 vcc_lo, 0, v146
	s_or_b32 s1, vcc_lo, s1
	s_waitcnt vmcnt(0) lgkmcnt(0)
	v_fma_f64 v[127:128], v[147:148], v[149:150], v[127:128]
	s_and_not1_b32 exec_lo, exec_lo, s1
	s_cbranch_execnz .LBB126_355
; %bb.356:
	s_or_b32 exec_lo, exec_lo, s1
.LBB126_357:
	s_delay_alu instid0(SALU_CYCLE_1)
	s_or_b32 exec_lo, exec_lo, s4
	v_mov_b32_e32 v145, 0
	ds_load_b64 v[145:146], v145 offset:208
	s_waitcnt lgkmcnt(0)
	v_mul_f64 v[127:128], v[127:128], v[145:146]
	scratch_store_b64 off, v[127:128], off offset:208
.LBB126_358:
	s_or_b32 exec_lo, exec_lo, s2
	scratch_load_b64 v[127:128], off, off offset:200
	v_cmp_lt_u32_e64 s1, 25, v0
	s_waitcnt vmcnt(0)
	ds_store_b64 v130, v[127:128]
	s_waitcnt lgkmcnt(0)
	s_waitcnt_vscnt null, 0x0
	s_barrier
	buffer_gl0_inv
	s_and_saveexec_b32 s2, s1
	s_cbranch_execz .LBB126_368
; %bb.359:
	s_and_not1_b32 vcc_lo, exec_lo, s3
	s_cbranch_vccnz .LBB126_361
; %bb.360:
	scratch_load_b64 v[127:128], v131, off
	ds_load_b64 v[145:146], v130
	s_waitcnt vmcnt(0) lgkmcnt(0)
	v_mul_f64 v[127:128], v[127:128], v[145:146]
	s_cbranch_execz .LBB126_362
	s_branch .LBB126_363
.LBB126_361:
                                        ; implicit-def: $vgpr127_vgpr128
.LBB126_362:
	ds_load_b64 v[127:128], v130
.LBB126_363:
	s_and_saveexec_b32 s4, s0
	s_cbranch_execz .LBB126_367
; %bb.364:
	v_subrev_nc_u32_e32 v145, 26, v0
	s_movk_i32 s5, 0x2d0
	s_mov_b32 s0, 0
.LBB126_365:                            ; =>This Inner Loop Header: Depth=1
	scratch_load_b64 v[146:147], v144, off
	v_dual_mov_b32 v148, s5 :: v_dual_add_nc_u32 v145, -1, v145
	v_add_nc_u32_e32 v144, 8, v144
	s_add_i32 s5, s5, 8
	ds_load_b64 v[148:149], v148
	v_cmp_eq_u32_e32 vcc_lo, 0, v145
	s_or_b32 s0, vcc_lo, s0
	s_waitcnt vmcnt(0) lgkmcnt(0)
	v_fma_f64 v[127:128], v[146:147], v[148:149], v[127:128]
	s_and_not1_b32 exec_lo, exec_lo, s0
	s_cbranch_execnz .LBB126_365
; %bb.366:
	s_or_b32 exec_lo, exec_lo, s0
.LBB126_367:
	s_delay_alu instid0(SALU_CYCLE_1)
	s_or_b32 exec_lo, exec_lo, s4
	v_mov_b32_e32 v144, 0
	ds_load_b64 v[144:145], v144 offset:200
	s_waitcnt lgkmcnt(0)
	v_mul_f64 v[127:128], v[127:128], v[144:145]
	scratch_store_b64 off, v[127:128], off offset:200
.LBB126_368:
	s_or_b32 exec_lo, exec_lo, s2
	scratch_load_b64 v[127:128], off, off offset:192
	v_cmp_lt_u32_e64 s0, 24, v0
	s_waitcnt vmcnt(0)
	ds_store_b64 v130, v[127:128]
	s_waitcnt lgkmcnt(0)
	s_waitcnt_vscnt null, 0x0
	s_barrier
	buffer_gl0_inv
	s_and_saveexec_b32 s2, s0
	s_cbranch_execz .LBB126_378
; %bb.369:
	s_and_not1_b32 vcc_lo, exec_lo, s3
	s_cbranch_vccnz .LBB126_371
; %bb.370:
	scratch_load_b64 v[127:128], v131, off
	ds_load_b64 v[144:145], v130
	s_waitcnt vmcnt(0) lgkmcnt(0)
	v_mul_f64 v[127:128], v[127:128], v[144:145]
	s_cbranch_execz .LBB126_372
	s_branch .LBB126_373
.LBB126_371:
                                        ; implicit-def: $vgpr127_vgpr128
.LBB126_372:
	ds_load_b64 v[127:128], v130
.LBB126_373:
	s_and_saveexec_b32 s4, s1
	s_cbranch_execz .LBB126_377
; %bb.374:
	v_mov_b32_e32 v144, 0
	v_subrev_nc_u32_e32 v145, 25, v0
	s_movk_i32 s5, 0x2c8
	s_mov_b32 s1, 0
	s_delay_alu instid0(VALU_DEP_2)
	v_add_nc_u32_e32 v144, 0xc8, v144
.LBB126_375:                            ; =>This Inner Loop Header: Depth=1
	scratch_load_b64 v[146:147], v144, off
	v_dual_mov_b32 v148, s5 :: v_dual_add_nc_u32 v145, -1, v145
	v_add_nc_u32_e32 v144, 8, v144
	s_add_i32 s5, s5, 8
	ds_load_b64 v[148:149], v148
	v_cmp_eq_u32_e32 vcc_lo, 0, v145
	s_or_b32 s1, vcc_lo, s1
	s_waitcnt vmcnt(0) lgkmcnt(0)
	v_fma_f64 v[127:128], v[146:147], v[148:149], v[127:128]
	s_and_not1_b32 exec_lo, exec_lo, s1
	s_cbranch_execnz .LBB126_375
; %bb.376:
	s_or_b32 exec_lo, exec_lo, s1
.LBB126_377:
	s_delay_alu instid0(SALU_CYCLE_1)
	s_or_b32 exec_lo, exec_lo, s4
	v_mov_b32_e32 v144, 0
	ds_load_b64 v[144:145], v144 offset:192
	s_waitcnt lgkmcnt(0)
	v_mul_f64 v[127:128], v[127:128], v[144:145]
	scratch_store_b64 off, v[127:128], off offset:192
.LBB126_378:
	s_or_b32 exec_lo, exec_lo, s2
	scratch_load_b64 v[127:128], off, off offset:184
	v_cmp_lt_u32_e64 s1, 23, v0
	s_waitcnt vmcnt(0)
	ds_store_b64 v130, v[127:128]
	s_waitcnt lgkmcnt(0)
	s_waitcnt_vscnt null, 0x0
	s_barrier
	buffer_gl0_inv
	s_and_saveexec_b32 s2, s1
	s_cbranch_execz .LBB126_388
; %bb.379:
	s_and_not1_b32 vcc_lo, exec_lo, s3
	s_cbranch_vccnz .LBB126_381
; %bb.380:
	scratch_load_b64 v[127:128], v131, off
	ds_load_b64 v[144:145], v130
	s_waitcnt vmcnt(0) lgkmcnt(0)
	v_mul_f64 v[127:128], v[127:128], v[144:145]
	s_cbranch_execz .LBB126_382
	s_branch .LBB126_383
.LBB126_381:
                                        ; implicit-def: $vgpr127_vgpr128
.LBB126_382:
	ds_load_b64 v[127:128], v130
.LBB126_383:
	s_and_saveexec_b32 s4, s0
	s_cbranch_execz .LBB126_387
; %bb.384:
	v_subrev_nc_u32_e32 v144, 24, v0
	s_movk_i32 s5, 0x2c0
	s_mov_b32 s0, 0
.LBB126_385:                            ; =>This Inner Loop Header: Depth=1
	scratch_load_b64 v[145:146], v143, off
	v_dual_mov_b32 v147, s5 :: v_dual_add_nc_u32 v144, -1, v144
	v_add_nc_u32_e32 v143, 8, v143
	s_add_i32 s5, s5, 8
	ds_load_b64 v[147:148], v147
	v_cmp_eq_u32_e32 vcc_lo, 0, v144
	s_or_b32 s0, vcc_lo, s0
	s_waitcnt vmcnt(0) lgkmcnt(0)
	v_fma_f64 v[127:128], v[145:146], v[147:148], v[127:128]
	s_and_not1_b32 exec_lo, exec_lo, s0
	s_cbranch_execnz .LBB126_385
; %bb.386:
	s_or_b32 exec_lo, exec_lo, s0
.LBB126_387:
	s_delay_alu instid0(SALU_CYCLE_1)
	s_or_b32 exec_lo, exec_lo, s4
	v_mov_b32_e32 v143, 0
	ds_load_b64 v[143:144], v143 offset:184
	s_waitcnt lgkmcnt(0)
	v_mul_f64 v[127:128], v[127:128], v[143:144]
	scratch_store_b64 off, v[127:128], off offset:184
.LBB126_388:
	s_or_b32 exec_lo, exec_lo, s2
	scratch_load_b64 v[127:128], off, off offset:176
	v_cmp_lt_u32_e64 s0, 22, v0
	s_waitcnt vmcnt(0)
	ds_store_b64 v130, v[127:128]
	s_waitcnt lgkmcnt(0)
	s_waitcnt_vscnt null, 0x0
	s_barrier
	buffer_gl0_inv
	s_and_saveexec_b32 s2, s0
	s_cbranch_execz .LBB126_398
; %bb.389:
	s_and_not1_b32 vcc_lo, exec_lo, s3
	s_cbranch_vccnz .LBB126_391
; %bb.390:
	scratch_load_b64 v[127:128], v131, off
	ds_load_b64 v[143:144], v130
	s_waitcnt vmcnt(0) lgkmcnt(0)
	v_mul_f64 v[127:128], v[127:128], v[143:144]
	s_cbranch_execz .LBB126_392
	s_branch .LBB126_393
.LBB126_391:
                                        ; implicit-def: $vgpr127_vgpr128
.LBB126_392:
	ds_load_b64 v[127:128], v130
.LBB126_393:
	s_and_saveexec_b32 s4, s1
	s_cbranch_execz .LBB126_397
; %bb.394:
	v_mov_b32_e32 v143, 0
	v_subrev_nc_u32_e32 v144, 23, v0
	s_movk_i32 s5, 0x2b8
	s_mov_b32 s1, 0
	s_delay_alu instid0(VALU_DEP_2)
	v_add_nc_u32_e32 v143, 0xb8, v143
.LBB126_395:                            ; =>This Inner Loop Header: Depth=1
	scratch_load_b64 v[145:146], v143, off
	v_dual_mov_b32 v147, s5 :: v_dual_add_nc_u32 v144, -1, v144
	v_add_nc_u32_e32 v143, 8, v143
	s_add_i32 s5, s5, 8
	ds_load_b64 v[147:148], v147
	v_cmp_eq_u32_e32 vcc_lo, 0, v144
	s_or_b32 s1, vcc_lo, s1
	s_waitcnt vmcnt(0) lgkmcnt(0)
	v_fma_f64 v[127:128], v[145:146], v[147:148], v[127:128]
	s_and_not1_b32 exec_lo, exec_lo, s1
	s_cbranch_execnz .LBB126_395
; %bb.396:
	s_or_b32 exec_lo, exec_lo, s1
.LBB126_397:
	s_delay_alu instid0(SALU_CYCLE_1)
	s_or_b32 exec_lo, exec_lo, s4
	v_mov_b32_e32 v143, 0
	ds_load_b64 v[143:144], v143 offset:176
	s_waitcnt lgkmcnt(0)
	v_mul_f64 v[127:128], v[127:128], v[143:144]
	scratch_store_b64 off, v[127:128], off offset:176
.LBB126_398:
	s_or_b32 exec_lo, exec_lo, s2
	scratch_load_b64 v[127:128], off, off offset:168
	v_cmp_lt_u32_e64 s1, 21, v0
	s_waitcnt vmcnt(0)
	ds_store_b64 v130, v[127:128]
	s_waitcnt lgkmcnt(0)
	s_waitcnt_vscnt null, 0x0
	s_barrier
	buffer_gl0_inv
	s_and_saveexec_b32 s2, s1
	s_cbranch_execz .LBB126_408
; %bb.399:
	s_and_not1_b32 vcc_lo, exec_lo, s3
	s_cbranch_vccnz .LBB126_401
; %bb.400:
	scratch_load_b64 v[127:128], v131, off
	ds_load_b64 v[143:144], v130
	s_waitcnt vmcnt(0) lgkmcnt(0)
	v_mul_f64 v[127:128], v[127:128], v[143:144]
	s_cbranch_execz .LBB126_402
	s_branch .LBB126_403
.LBB126_401:
                                        ; implicit-def: $vgpr127_vgpr128
.LBB126_402:
	ds_load_b64 v[127:128], v130
.LBB126_403:
	s_and_saveexec_b32 s4, s0
	s_cbranch_execz .LBB126_407
; %bb.404:
	v_subrev_nc_u32_e32 v143, 22, v0
	s_movk_i32 s5, 0x2b0
	s_mov_b32 s0, 0
.LBB126_405:                            ; =>This Inner Loop Header: Depth=1
	scratch_load_b64 v[144:145], v142, off
	v_dual_mov_b32 v146, s5 :: v_dual_add_nc_u32 v143, -1, v143
	v_add_nc_u32_e32 v142, 8, v142
	s_add_i32 s5, s5, 8
	ds_load_b64 v[146:147], v146
	v_cmp_eq_u32_e32 vcc_lo, 0, v143
	s_or_b32 s0, vcc_lo, s0
	s_waitcnt vmcnt(0) lgkmcnt(0)
	v_fma_f64 v[127:128], v[144:145], v[146:147], v[127:128]
	s_and_not1_b32 exec_lo, exec_lo, s0
	s_cbranch_execnz .LBB126_405
; %bb.406:
	s_or_b32 exec_lo, exec_lo, s0
.LBB126_407:
	s_delay_alu instid0(SALU_CYCLE_1)
	s_or_b32 exec_lo, exec_lo, s4
	v_mov_b32_e32 v142, 0
	ds_load_b64 v[142:143], v142 offset:168
	s_waitcnt lgkmcnt(0)
	v_mul_f64 v[127:128], v[127:128], v[142:143]
	scratch_store_b64 off, v[127:128], off offset:168
.LBB126_408:
	s_or_b32 exec_lo, exec_lo, s2
	scratch_load_b64 v[127:128], off, off offset:160
	v_cmp_lt_u32_e64 s0, 20, v0
	s_waitcnt vmcnt(0)
	ds_store_b64 v130, v[127:128]
	s_waitcnt lgkmcnt(0)
	s_waitcnt_vscnt null, 0x0
	s_barrier
	buffer_gl0_inv
	s_and_saveexec_b32 s2, s0
	s_cbranch_execz .LBB126_418
; %bb.409:
	s_and_not1_b32 vcc_lo, exec_lo, s3
	s_cbranch_vccnz .LBB126_411
; %bb.410:
	scratch_load_b64 v[127:128], v131, off
	ds_load_b64 v[142:143], v130
	s_waitcnt vmcnt(0) lgkmcnt(0)
	v_mul_f64 v[127:128], v[127:128], v[142:143]
	s_cbranch_execz .LBB126_412
	s_branch .LBB126_413
.LBB126_411:
                                        ; implicit-def: $vgpr127_vgpr128
.LBB126_412:
	ds_load_b64 v[127:128], v130
.LBB126_413:
	s_and_saveexec_b32 s4, s1
	s_cbranch_execz .LBB126_417
; %bb.414:
	v_mov_b32_e32 v142, 0
	v_subrev_nc_u32_e32 v143, 21, v0
	s_movk_i32 s5, 0x2a8
	s_mov_b32 s1, 0
	s_delay_alu instid0(VALU_DEP_2)
	v_add_nc_u32_e32 v142, 0xa8, v142
.LBB126_415:                            ; =>This Inner Loop Header: Depth=1
	scratch_load_b64 v[144:145], v142, off
	v_dual_mov_b32 v146, s5 :: v_dual_add_nc_u32 v143, -1, v143
	v_add_nc_u32_e32 v142, 8, v142
	s_add_i32 s5, s5, 8
	ds_load_b64 v[146:147], v146
	v_cmp_eq_u32_e32 vcc_lo, 0, v143
	s_or_b32 s1, vcc_lo, s1
	s_waitcnt vmcnt(0) lgkmcnt(0)
	v_fma_f64 v[127:128], v[144:145], v[146:147], v[127:128]
	s_and_not1_b32 exec_lo, exec_lo, s1
	s_cbranch_execnz .LBB126_415
; %bb.416:
	s_or_b32 exec_lo, exec_lo, s1
.LBB126_417:
	s_delay_alu instid0(SALU_CYCLE_1)
	s_or_b32 exec_lo, exec_lo, s4
	v_mov_b32_e32 v142, 0
	ds_load_b64 v[142:143], v142 offset:160
	s_waitcnt lgkmcnt(0)
	v_mul_f64 v[127:128], v[127:128], v[142:143]
	scratch_store_b64 off, v[127:128], off offset:160
.LBB126_418:
	s_or_b32 exec_lo, exec_lo, s2
	scratch_load_b64 v[127:128], off, off offset:152
	v_cmp_lt_u32_e64 s1, 19, v0
	s_waitcnt vmcnt(0)
	ds_store_b64 v130, v[127:128]
	s_waitcnt lgkmcnt(0)
	s_waitcnt_vscnt null, 0x0
	s_barrier
	buffer_gl0_inv
	s_and_saveexec_b32 s2, s1
	s_cbranch_execz .LBB126_428
; %bb.419:
	s_and_not1_b32 vcc_lo, exec_lo, s3
	s_cbranch_vccnz .LBB126_421
; %bb.420:
	scratch_load_b64 v[127:128], v131, off
	ds_load_b64 v[142:143], v130
	s_waitcnt vmcnt(0) lgkmcnt(0)
	v_mul_f64 v[127:128], v[127:128], v[142:143]
	s_cbranch_execz .LBB126_422
	s_branch .LBB126_423
.LBB126_421:
                                        ; implicit-def: $vgpr127_vgpr128
.LBB126_422:
	ds_load_b64 v[127:128], v130
.LBB126_423:
	s_and_saveexec_b32 s4, s0
	s_cbranch_execz .LBB126_427
; %bb.424:
	v_subrev_nc_u32_e32 v142, 20, v0
	s_movk_i32 s5, 0x2a0
	s_mov_b32 s0, 0
.LBB126_425:                            ; =>This Inner Loop Header: Depth=1
	scratch_load_b64 v[143:144], v141, off
	v_dual_mov_b32 v145, s5 :: v_dual_add_nc_u32 v142, -1, v142
	v_add_nc_u32_e32 v141, 8, v141
	s_add_i32 s5, s5, 8
	ds_load_b64 v[145:146], v145
	v_cmp_eq_u32_e32 vcc_lo, 0, v142
	s_or_b32 s0, vcc_lo, s0
	s_waitcnt vmcnt(0) lgkmcnt(0)
	v_fma_f64 v[127:128], v[143:144], v[145:146], v[127:128]
	s_and_not1_b32 exec_lo, exec_lo, s0
	s_cbranch_execnz .LBB126_425
; %bb.426:
	s_or_b32 exec_lo, exec_lo, s0
.LBB126_427:
	s_delay_alu instid0(SALU_CYCLE_1)
	s_or_b32 exec_lo, exec_lo, s4
	v_mov_b32_e32 v141, 0
	ds_load_b64 v[141:142], v141 offset:152
	s_waitcnt lgkmcnt(0)
	v_mul_f64 v[127:128], v[127:128], v[141:142]
	scratch_store_b64 off, v[127:128], off offset:152
.LBB126_428:
	s_or_b32 exec_lo, exec_lo, s2
	scratch_load_b64 v[127:128], off, off offset:144
	v_cmp_lt_u32_e64 s0, 18, v0
	s_waitcnt vmcnt(0)
	ds_store_b64 v130, v[127:128]
	s_waitcnt lgkmcnt(0)
	s_waitcnt_vscnt null, 0x0
	s_barrier
	buffer_gl0_inv
	s_and_saveexec_b32 s2, s0
	s_cbranch_execz .LBB126_438
; %bb.429:
	s_and_not1_b32 vcc_lo, exec_lo, s3
	s_cbranch_vccnz .LBB126_431
; %bb.430:
	scratch_load_b64 v[127:128], v131, off
	ds_load_b64 v[141:142], v130
	s_waitcnt vmcnt(0) lgkmcnt(0)
	v_mul_f64 v[127:128], v[127:128], v[141:142]
	s_cbranch_execz .LBB126_432
	s_branch .LBB126_433
.LBB126_431:
                                        ; implicit-def: $vgpr127_vgpr128
.LBB126_432:
	ds_load_b64 v[127:128], v130
.LBB126_433:
	s_and_saveexec_b32 s4, s1
	s_cbranch_execz .LBB126_437
; %bb.434:
	v_mov_b32_e32 v141, 0
	v_subrev_nc_u32_e32 v142, 19, v0
	s_movk_i32 s5, 0x298
	s_mov_b32 s1, 0
	s_delay_alu instid0(VALU_DEP_2)
	v_add_nc_u32_e32 v141, 0x98, v141
.LBB126_435:                            ; =>This Inner Loop Header: Depth=1
	scratch_load_b64 v[143:144], v141, off
	v_dual_mov_b32 v145, s5 :: v_dual_add_nc_u32 v142, -1, v142
	v_add_nc_u32_e32 v141, 8, v141
	s_add_i32 s5, s5, 8
	ds_load_b64 v[145:146], v145
	v_cmp_eq_u32_e32 vcc_lo, 0, v142
	s_or_b32 s1, vcc_lo, s1
	s_waitcnt vmcnt(0) lgkmcnt(0)
	v_fma_f64 v[127:128], v[143:144], v[145:146], v[127:128]
	s_and_not1_b32 exec_lo, exec_lo, s1
	s_cbranch_execnz .LBB126_435
; %bb.436:
	s_or_b32 exec_lo, exec_lo, s1
.LBB126_437:
	s_delay_alu instid0(SALU_CYCLE_1)
	s_or_b32 exec_lo, exec_lo, s4
	v_mov_b32_e32 v141, 0
	ds_load_b64 v[141:142], v141 offset:144
	s_waitcnt lgkmcnt(0)
	v_mul_f64 v[127:128], v[127:128], v[141:142]
	scratch_store_b64 off, v[127:128], off offset:144
.LBB126_438:
	s_or_b32 exec_lo, exec_lo, s2
	scratch_load_b64 v[127:128], off, off offset:136
	v_cmp_lt_u32_e64 s1, 17, v0
	s_waitcnt vmcnt(0)
	ds_store_b64 v130, v[127:128]
	s_waitcnt lgkmcnt(0)
	s_waitcnt_vscnt null, 0x0
	s_barrier
	buffer_gl0_inv
	s_and_saveexec_b32 s2, s1
	s_cbranch_execz .LBB126_448
; %bb.439:
	s_and_not1_b32 vcc_lo, exec_lo, s3
	s_cbranch_vccnz .LBB126_441
; %bb.440:
	scratch_load_b64 v[127:128], v131, off
	ds_load_b64 v[141:142], v130
	s_waitcnt vmcnt(0) lgkmcnt(0)
	v_mul_f64 v[127:128], v[127:128], v[141:142]
	s_cbranch_execz .LBB126_442
	s_branch .LBB126_443
.LBB126_441:
                                        ; implicit-def: $vgpr127_vgpr128
.LBB126_442:
	ds_load_b64 v[127:128], v130
.LBB126_443:
	s_and_saveexec_b32 s4, s0
	s_cbranch_execz .LBB126_447
; %bb.444:
	v_subrev_nc_u32_e32 v141, 18, v0
	s_movk_i32 s5, 0x290
	s_mov_b32 s0, 0
.LBB126_445:                            ; =>This Inner Loop Header: Depth=1
	scratch_load_b64 v[142:143], v140, off
	v_dual_mov_b32 v144, s5 :: v_dual_add_nc_u32 v141, -1, v141
	v_add_nc_u32_e32 v140, 8, v140
	s_add_i32 s5, s5, 8
	ds_load_b64 v[144:145], v144
	v_cmp_eq_u32_e32 vcc_lo, 0, v141
	s_or_b32 s0, vcc_lo, s0
	s_waitcnt vmcnt(0) lgkmcnt(0)
	v_fma_f64 v[127:128], v[142:143], v[144:145], v[127:128]
	s_and_not1_b32 exec_lo, exec_lo, s0
	s_cbranch_execnz .LBB126_445
; %bb.446:
	s_or_b32 exec_lo, exec_lo, s0
.LBB126_447:
	s_delay_alu instid0(SALU_CYCLE_1)
	s_or_b32 exec_lo, exec_lo, s4
	v_mov_b32_e32 v140, 0
	ds_load_b64 v[140:141], v140 offset:136
	s_waitcnt lgkmcnt(0)
	v_mul_f64 v[127:128], v[127:128], v[140:141]
	scratch_store_b64 off, v[127:128], off offset:136
.LBB126_448:
	s_or_b32 exec_lo, exec_lo, s2
	scratch_load_b64 v[127:128], off, off offset:128
	v_cmp_lt_u32_e64 s0, 16, v0
	s_waitcnt vmcnt(0)
	ds_store_b64 v130, v[127:128]
	s_waitcnt lgkmcnt(0)
	s_waitcnt_vscnt null, 0x0
	s_barrier
	buffer_gl0_inv
	s_and_saveexec_b32 s2, s0
	s_cbranch_execz .LBB126_458
; %bb.449:
	s_and_not1_b32 vcc_lo, exec_lo, s3
	s_cbranch_vccnz .LBB126_451
; %bb.450:
	scratch_load_b64 v[127:128], v131, off
	ds_load_b64 v[140:141], v130
	s_waitcnt vmcnt(0) lgkmcnt(0)
	v_mul_f64 v[127:128], v[127:128], v[140:141]
	s_cbranch_execz .LBB126_452
	s_branch .LBB126_453
.LBB126_451:
                                        ; implicit-def: $vgpr127_vgpr128
.LBB126_452:
	ds_load_b64 v[127:128], v130
.LBB126_453:
	s_and_saveexec_b32 s4, s1
	s_cbranch_execz .LBB126_457
; %bb.454:
	v_mov_b32_e32 v140, 0
	v_subrev_nc_u32_e32 v141, 17, v0
	s_movk_i32 s5, 0x288
	s_mov_b32 s1, 0
	s_delay_alu instid0(VALU_DEP_2)
	v_add_nc_u32_e32 v140, 0x88, v140
.LBB126_455:                            ; =>This Inner Loop Header: Depth=1
	scratch_load_b64 v[142:143], v140, off
	v_dual_mov_b32 v144, s5 :: v_dual_add_nc_u32 v141, -1, v141
	v_add_nc_u32_e32 v140, 8, v140
	s_add_i32 s5, s5, 8
	ds_load_b64 v[144:145], v144
	v_cmp_eq_u32_e32 vcc_lo, 0, v141
	s_or_b32 s1, vcc_lo, s1
	s_waitcnt vmcnt(0) lgkmcnt(0)
	v_fma_f64 v[127:128], v[142:143], v[144:145], v[127:128]
	s_and_not1_b32 exec_lo, exec_lo, s1
	s_cbranch_execnz .LBB126_455
; %bb.456:
	s_or_b32 exec_lo, exec_lo, s1
.LBB126_457:
	s_delay_alu instid0(SALU_CYCLE_1)
	s_or_b32 exec_lo, exec_lo, s4
	v_mov_b32_e32 v140, 0
	ds_load_b64 v[140:141], v140 offset:128
	s_waitcnt lgkmcnt(0)
	v_mul_f64 v[127:128], v[127:128], v[140:141]
	scratch_store_b64 off, v[127:128], off offset:128
.LBB126_458:
	s_or_b32 exec_lo, exec_lo, s2
	scratch_load_b64 v[127:128], off, off offset:120
	v_cmp_lt_u32_e64 s1, 15, v0
	s_waitcnt vmcnt(0)
	ds_store_b64 v130, v[127:128]
	s_waitcnt lgkmcnt(0)
	s_waitcnt_vscnt null, 0x0
	s_barrier
	buffer_gl0_inv
	s_and_saveexec_b32 s2, s1
	s_cbranch_execz .LBB126_468
; %bb.459:
	s_and_not1_b32 vcc_lo, exec_lo, s3
	s_cbranch_vccnz .LBB126_461
; %bb.460:
	scratch_load_b64 v[127:128], v131, off
	ds_load_b64 v[140:141], v130
	s_waitcnt vmcnt(0) lgkmcnt(0)
	v_mul_f64 v[127:128], v[127:128], v[140:141]
	s_cbranch_execz .LBB126_462
	s_branch .LBB126_463
.LBB126_461:
                                        ; implicit-def: $vgpr127_vgpr128
.LBB126_462:
	ds_load_b64 v[127:128], v130
.LBB126_463:
	s_and_saveexec_b32 s4, s0
	s_cbranch_execz .LBB126_467
; %bb.464:
	v_add_nc_u32_e32 v140, -16, v0
	s_movk_i32 s5, 0x280
	s_mov_b32 s0, 0
.LBB126_465:                            ; =>This Inner Loop Header: Depth=1
	scratch_load_b64 v[141:142], v139, off
	v_dual_mov_b32 v143, s5 :: v_dual_add_nc_u32 v140, -1, v140
	v_add_nc_u32_e32 v139, 8, v139
	s_add_i32 s5, s5, 8
	ds_load_b64 v[143:144], v143
	v_cmp_eq_u32_e32 vcc_lo, 0, v140
	s_or_b32 s0, vcc_lo, s0
	s_waitcnt vmcnt(0) lgkmcnt(0)
	v_fma_f64 v[127:128], v[141:142], v[143:144], v[127:128]
	s_and_not1_b32 exec_lo, exec_lo, s0
	s_cbranch_execnz .LBB126_465
; %bb.466:
	s_or_b32 exec_lo, exec_lo, s0
.LBB126_467:
	s_delay_alu instid0(SALU_CYCLE_1)
	s_or_b32 exec_lo, exec_lo, s4
	v_mov_b32_e32 v139, 0
	ds_load_b64 v[139:140], v139 offset:120
	s_waitcnt lgkmcnt(0)
	v_mul_f64 v[127:128], v[127:128], v[139:140]
	scratch_store_b64 off, v[127:128], off offset:120
.LBB126_468:
	s_or_b32 exec_lo, exec_lo, s2
	scratch_load_b64 v[127:128], off, off offset:112
	v_cmp_lt_u32_e64 s0, 14, v0
	s_waitcnt vmcnt(0)
	ds_store_b64 v130, v[127:128]
	s_waitcnt lgkmcnt(0)
	s_waitcnt_vscnt null, 0x0
	s_barrier
	buffer_gl0_inv
	s_and_saveexec_b32 s2, s0
	s_cbranch_execz .LBB126_478
; %bb.469:
	s_and_not1_b32 vcc_lo, exec_lo, s3
	s_cbranch_vccnz .LBB126_471
; %bb.470:
	scratch_load_b64 v[127:128], v131, off
	ds_load_b64 v[139:140], v130
	s_waitcnt vmcnt(0) lgkmcnt(0)
	v_mul_f64 v[127:128], v[127:128], v[139:140]
	s_cbranch_execz .LBB126_472
	s_branch .LBB126_473
.LBB126_471:
                                        ; implicit-def: $vgpr127_vgpr128
.LBB126_472:
	ds_load_b64 v[127:128], v130
.LBB126_473:
	s_and_saveexec_b32 s4, s1
	s_cbranch_execz .LBB126_477
; %bb.474:
	v_dual_mov_b32 v139, 0 :: v_dual_add_nc_u32 v140, -15, v0
	s_movk_i32 s5, 0x278
	s_mov_b32 s1, 0
	s_delay_alu instid0(VALU_DEP_1)
	v_add_nc_u32_e32 v139, 0x78, v139
.LBB126_475:                            ; =>This Inner Loop Header: Depth=1
	scratch_load_b64 v[141:142], v139, off
	v_dual_mov_b32 v143, s5 :: v_dual_add_nc_u32 v140, -1, v140
	v_add_nc_u32_e32 v139, 8, v139
	s_add_i32 s5, s5, 8
	ds_load_b64 v[143:144], v143
	v_cmp_eq_u32_e32 vcc_lo, 0, v140
	s_or_b32 s1, vcc_lo, s1
	s_waitcnt vmcnt(0) lgkmcnt(0)
	v_fma_f64 v[127:128], v[141:142], v[143:144], v[127:128]
	s_and_not1_b32 exec_lo, exec_lo, s1
	s_cbranch_execnz .LBB126_475
; %bb.476:
	s_or_b32 exec_lo, exec_lo, s1
.LBB126_477:
	s_delay_alu instid0(SALU_CYCLE_1)
	s_or_b32 exec_lo, exec_lo, s4
	v_mov_b32_e32 v139, 0
	ds_load_b64 v[139:140], v139 offset:112
	s_waitcnt lgkmcnt(0)
	v_mul_f64 v[127:128], v[127:128], v[139:140]
	scratch_store_b64 off, v[127:128], off offset:112
.LBB126_478:
	s_or_b32 exec_lo, exec_lo, s2
	scratch_load_b64 v[127:128], off, off offset:104
	v_cmp_lt_u32_e64 s1, 13, v0
	s_waitcnt vmcnt(0)
	ds_store_b64 v130, v[127:128]
	s_waitcnt lgkmcnt(0)
	s_waitcnt_vscnt null, 0x0
	s_barrier
	buffer_gl0_inv
	s_and_saveexec_b32 s2, s1
	s_cbranch_execz .LBB126_488
; %bb.479:
	s_and_not1_b32 vcc_lo, exec_lo, s3
	s_cbranch_vccnz .LBB126_481
; %bb.480:
	scratch_load_b64 v[127:128], v131, off
	ds_load_b64 v[139:140], v130
	s_waitcnt vmcnt(0) lgkmcnt(0)
	v_mul_f64 v[127:128], v[127:128], v[139:140]
	s_cbranch_execz .LBB126_482
	s_branch .LBB126_483
.LBB126_481:
                                        ; implicit-def: $vgpr127_vgpr128
.LBB126_482:
	ds_load_b64 v[127:128], v130
.LBB126_483:
	s_and_saveexec_b32 s4, s0
	s_cbranch_execz .LBB126_487
; %bb.484:
	v_add_nc_u32_e32 v139, -14, v0
	s_movk_i32 s5, 0x270
	s_mov_b32 s0, 0
.LBB126_485:                            ; =>This Inner Loop Header: Depth=1
	scratch_load_b64 v[140:141], v138, off
	v_dual_mov_b32 v142, s5 :: v_dual_add_nc_u32 v139, -1, v139
	v_add_nc_u32_e32 v138, 8, v138
	s_add_i32 s5, s5, 8
	ds_load_b64 v[142:143], v142
	v_cmp_eq_u32_e32 vcc_lo, 0, v139
	s_or_b32 s0, vcc_lo, s0
	s_waitcnt vmcnt(0) lgkmcnt(0)
	v_fma_f64 v[127:128], v[140:141], v[142:143], v[127:128]
	s_and_not1_b32 exec_lo, exec_lo, s0
	s_cbranch_execnz .LBB126_485
; %bb.486:
	s_or_b32 exec_lo, exec_lo, s0
.LBB126_487:
	s_delay_alu instid0(SALU_CYCLE_1)
	s_or_b32 exec_lo, exec_lo, s4
	v_mov_b32_e32 v138, 0
	ds_load_b64 v[138:139], v138 offset:104
	s_waitcnt lgkmcnt(0)
	v_mul_f64 v[127:128], v[127:128], v[138:139]
	scratch_store_b64 off, v[127:128], off offset:104
.LBB126_488:
	s_or_b32 exec_lo, exec_lo, s2
	scratch_load_b64 v[127:128], off, off offset:96
	v_cmp_lt_u32_e64 s0, 12, v0
	s_waitcnt vmcnt(0)
	ds_store_b64 v130, v[127:128]
	s_waitcnt lgkmcnt(0)
	s_waitcnt_vscnt null, 0x0
	s_barrier
	buffer_gl0_inv
	s_and_saveexec_b32 s2, s0
	s_cbranch_execz .LBB126_498
; %bb.489:
	s_and_not1_b32 vcc_lo, exec_lo, s3
	s_cbranch_vccnz .LBB126_491
; %bb.490:
	scratch_load_b64 v[127:128], v131, off
	ds_load_b64 v[138:139], v130
	s_waitcnt vmcnt(0) lgkmcnt(0)
	v_mul_f64 v[127:128], v[127:128], v[138:139]
	s_cbranch_execz .LBB126_492
	s_branch .LBB126_493
.LBB126_491:
                                        ; implicit-def: $vgpr127_vgpr128
.LBB126_492:
	ds_load_b64 v[127:128], v130
.LBB126_493:
	s_and_saveexec_b32 s4, s1
	s_cbranch_execz .LBB126_497
; %bb.494:
	v_dual_mov_b32 v138, 0 :: v_dual_add_nc_u32 v139, -13, v0
	s_movk_i32 s5, 0x268
	s_mov_b32 s1, 0
	s_delay_alu instid0(VALU_DEP_1)
	v_add_nc_u32_e32 v138, 0x68, v138
.LBB126_495:                            ; =>This Inner Loop Header: Depth=1
	scratch_load_b64 v[140:141], v138, off
	v_dual_mov_b32 v142, s5 :: v_dual_add_nc_u32 v139, -1, v139
	v_add_nc_u32_e32 v138, 8, v138
	s_add_i32 s5, s5, 8
	ds_load_b64 v[142:143], v142
	v_cmp_eq_u32_e32 vcc_lo, 0, v139
	s_or_b32 s1, vcc_lo, s1
	s_waitcnt vmcnt(0) lgkmcnt(0)
	v_fma_f64 v[127:128], v[140:141], v[142:143], v[127:128]
	s_and_not1_b32 exec_lo, exec_lo, s1
	s_cbranch_execnz .LBB126_495
; %bb.496:
	s_or_b32 exec_lo, exec_lo, s1
.LBB126_497:
	s_delay_alu instid0(SALU_CYCLE_1)
	s_or_b32 exec_lo, exec_lo, s4
	v_mov_b32_e32 v138, 0
	ds_load_b64 v[138:139], v138 offset:96
	s_waitcnt lgkmcnt(0)
	v_mul_f64 v[127:128], v[127:128], v[138:139]
	scratch_store_b64 off, v[127:128], off offset:96
.LBB126_498:
	s_or_b32 exec_lo, exec_lo, s2
	scratch_load_b64 v[127:128], off, off offset:88
	v_cmp_lt_u32_e64 s1, 11, v0
	s_waitcnt vmcnt(0)
	ds_store_b64 v130, v[127:128]
	s_waitcnt lgkmcnt(0)
	s_waitcnt_vscnt null, 0x0
	s_barrier
	buffer_gl0_inv
	s_and_saveexec_b32 s2, s1
	s_cbranch_execz .LBB126_508
; %bb.499:
	s_and_not1_b32 vcc_lo, exec_lo, s3
	s_cbranch_vccnz .LBB126_501
; %bb.500:
	scratch_load_b64 v[127:128], v131, off
	ds_load_b64 v[138:139], v130
	s_waitcnt vmcnt(0) lgkmcnt(0)
	v_mul_f64 v[127:128], v[127:128], v[138:139]
	s_cbranch_execz .LBB126_502
	s_branch .LBB126_503
.LBB126_501:
                                        ; implicit-def: $vgpr127_vgpr128
.LBB126_502:
	ds_load_b64 v[127:128], v130
.LBB126_503:
	s_and_saveexec_b32 s4, s0
	s_cbranch_execz .LBB126_507
; %bb.504:
	v_add_nc_u32_e32 v138, -12, v0
	s_movk_i32 s5, 0x260
	s_mov_b32 s0, 0
.LBB126_505:                            ; =>This Inner Loop Header: Depth=1
	scratch_load_b64 v[139:140], v137, off
	v_dual_mov_b32 v141, s5 :: v_dual_add_nc_u32 v138, -1, v138
	v_add_nc_u32_e32 v137, 8, v137
	s_add_i32 s5, s5, 8
	ds_load_b64 v[141:142], v141
	v_cmp_eq_u32_e32 vcc_lo, 0, v138
	s_or_b32 s0, vcc_lo, s0
	s_waitcnt vmcnt(0) lgkmcnt(0)
	v_fma_f64 v[127:128], v[139:140], v[141:142], v[127:128]
	s_and_not1_b32 exec_lo, exec_lo, s0
	s_cbranch_execnz .LBB126_505
; %bb.506:
	s_or_b32 exec_lo, exec_lo, s0
.LBB126_507:
	s_delay_alu instid0(SALU_CYCLE_1)
	s_or_b32 exec_lo, exec_lo, s4
	v_mov_b32_e32 v137, 0
	ds_load_b64 v[137:138], v137 offset:88
	s_waitcnt lgkmcnt(0)
	v_mul_f64 v[127:128], v[127:128], v[137:138]
	scratch_store_b64 off, v[127:128], off offset:88
.LBB126_508:
	s_or_b32 exec_lo, exec_lo, s2
	scratch_load_b64 v[127:128], off, off offset:80
	v_cmp_lt_u32_e64 s0, 10, v0
	s_waitcnt vmcnt(0)
	ds_store_b64 v130, v[127:128]
	s_waitcnt lgkmcnt(0)
	s_waitcnt_vscnt null, 0x0
	s_barrier
	buffer_gl0_inv
	s_and_saveexec_b32 s2, s0
	s_cbranch_execz .LBB126_518
; %bb.509:
	s_and_not1_b32 vcc_lo, exec_lo, s3
	s_cbranch_vccnz .LBB126_511
; %bb.510:
	scratch_load_b64 v[127:128], v131, off
	ds_load_b64 v[137:138], v130
	s_waitcnt vmcnt(0) lgkmcnt(0)
	v_mul_f64 v[127:128], v[127:128], v[137:138]
	s_cbranch_execz .LBB126_512
	s_branch .LBB126_513
.LBB126_511:
                                        ; implicit-def: $vgpr127_vgpr128
.LBB126_512:
	ds_load_b64 v[127:128], v130
.LBB126_513:
	s_and_saveexec_b32 s4, s1
	s_cbranch_execz .LBB126_517
; %bb.514:
	v_dual_mov_b32 v137, 0 :: v_dual_add_nc_u32 v138, -11, v0
	s_movk_i32 s5, 0x258
	s_mov_b32 s1, 0
	s_delay_alu instid0(VALU_DEP_1)
	v_add_nc_u32_e32 v137, 0x58, v137
.LBB126_515:                            ; =>This Inner Loop Header: Depth=1
	scratch_load_b64 v[139:140], v137, off
	v_dual_mov_b32 v141, s5 :: v_dual_add_nc_u32 v138, -1, v138
	v_add_nc_u32_e32 v137, 8, v137
	s_add_i32 s5, s5, 8
	ds_load_b64 v[141:142], v141
	v_cmp_eq_u32_e32 vcc_lo, 0, v138
	s_or_b32 s1, vcc_lo, s1
	s_waitcnt vmcnt(0) lgkmcnt(0)
	v_fma_f64 v[127:128], v[139:140], v[141:142], v[127:128]
	s_and_not1_b32 exec_lo, exec_lo, s1
	s_cbranch_execnz .LBB126_515
; %bb.516:
	s_or_b32 exec_lo, exec_lo, s1
.LBB126_517:
	s_delay_alu instid0(SALU_CYCLE_1)
	s_or_b32 exec_lo, exec_lo, s4
	v_mov_b32_e32 v137, 0
	ds_load_b64 v[137:138], v137 offset:80
	s_waitcnt lgkmcnt(0)
	v_mul_f64 v[127:128], v[127:128], v[137:138]
	scratch_store_b64 off, v[127:128], off offset:80
.LBB126_518:
	s_or_b32 exec_lo, exec_lo, s2
	scratch_load_b64 v[127:128], off, off offset:72
	v_cmp_lt_u32_e64 s1, 9, v0
	s_waitcnt vmcnt(0)
	ds_store_b64 v130, v[127:128]
	s_waitcnt lgkmcnt(0)
	s_waitcnt_vscnt null, 0x0
	s_barrier
	buffer_gl0_inv
	s_and_saveexec_b32 s2, s1
	s_cbranch_execz .LBB126_528
; %bb.519:
	s_and_not1_b32 vcc_lo, exec_lo, s3
	s_cbranch_vccnz .LBB126_521
; %bb.520:
	scratch_load_b64 v[127:128], v131, off
	ds_load_b64 v[137:138], v130
	s_waitcnt vmcnt(0) lgkmcnt(0)
	v_mul_f64 v[127:128], v[127:128], v[137:138]
	s_cbranch_execz .LBB126_522
	s_branch .LBB126_523
.LBB126_521:
                                        ; implicit-def: $vgpr127_vgpr128
.LBB126_522:
	ds_load_b64 v[127:128], v130
.LBB126_523:
	s_and_saveexec_b32 s4, s0
	s_cbranch_execz .LBB126_527
; %bb.524:
	v_add_nc_u32_e32 v137, -10, v0
	s_movk_i32 s5, 0x250
	s_mov_b32 s0, 0
.LBB126_525:                            ; =>This Inner Loop Header: Depth=1
	scratch_load_b64 v[138:139], v136, off
	v_dual_mov_b32 v140, s5 :: v_dual_add_nc_u32 v137, -1, v137
	v_add_nc_u32_e32 v136, 8, v136
	s_add_i32 s5, s5, 8
	ds_load_b64 v[140:141], v140
	v_cmp_eq_u32_e32 vcc_lo, 0, v137
	s_or_b32 s0, vcc_lo, s0
	s_waitcnt vmcnt(0) lgkmcnt(0)
	v_fma_f64 v[127:128], v[138:139], v[140:141], v[127:128]
	s_and_not1_b32 exec_lo, exec_lo, s0
	s_cbranch_execnz .LBB126_525
; %bb.526:
	s_or_b32 exec_lo, exec_lo, s0
.LBB126_527:
	s_delay_alu instid0(SALU_CYCLE_1)
	s_or_b32 exec_lo, exec_lo, s4
	v_mov_b32_e32 v136, 0
	ds_load_b64 v[136:137], v136 offset:72
	s_waitcnt lgkmcnt(0)
	v_mul_f64 v[127:128], v[127:128], v[136:137]
	scratch_store_b64 off, v[127:128], off offset:72
.LBB126_528:
	s_or_b32 exec_lo, exec_lo, s2
	scratch_load_b64 v[127:128], off, off offset:64
	v_cmp_lt_u32_e64 s0, 8, v0
	s_waitcnt vmcnt(0)
	ds_store_b64 v130, v[127:128]
	s_waitcnt lgkmcnt(0)
	s_waitcnt_vscnt null, 0x0
	s_barrier
	buffer_gl0_inv
	s_and_saveexec_b32 s2, s0
	s_cbranch_execz .LBB126_538
; %bb.529:
	s_and_not1_b32 vcc_lo, exec_lo, s3
	s_cbranch_vccnz .LBB126_531
; %bb.530:
	scratch_load_b64 v[127:128], v131, off
	ds_load_b64 v[136:137], v130
	s_waitcnt vmcnt(0) lgkmcnt(0)
	v_mul_f64 v[127:128], v[127:128], v[136:137]
	s_cbranch_execz .LBB126_532
	s_branch .LBB126_533
.LBB126_531:
                                        ; implicit-def: $vgpr127_vgpr128
.LBB126_532:
	ds_load_b64 v[127:128], v130
.LBB126_533:
	s_and_saveexec_b32 s4, s1
	s_cbranch_execz .LBB126_537
; %bb.534:
	v_dual_mov_b32 v136, 0 :: v_dual_add_nc_u32 v137, -9, v0
	s_movk_i32 s5, 0x248
	s_mov_b32 s1, 0
	s_delay_alu instid0(VALU_DEP_1)
	v_add_nc_u32_e32 v136, 0x48, v136
.LBB126_535:                            ; =>This Inner Loop Header: Depth=1
	scratch_load_b64 v[138:139], v136, off
	v_dual_mov_b32 v140, s5 :: v_dual_add_nc_u32 v137, -1, v137
	v_add_nc_u32_e32 v136, 8, v136
	s_add_i32 s5, s5, 8
	ds_load_b64 v[140:141], v140
	v_cmp_eq_u32_e32 vcc_lo, 0, v137
	s_or_b32 s1, vcc_lo, s1
	s_waitcnt vmcnt(0) lgkmcnt(0)
	v_fma_f64 v[127:128], v[138:139], v[140:141], v[127:128]
	s_and_not1_b32 exec_lo, exec_lo, s1
	s_cbranch_execnz .LBB126_535
; %bb.536:
	s_or_b32 exec_lo, exec_lo, s1
.LBB126_537:
	s_delay_alu instid0(SALU_CYCLE_1)
	s_or_b32 exec_lo, exec_lo, s4
	v_mov_b32_e32 v136, 0
	ds_load_b64 v[136:137], v136 offset:64
	s_waitcnt lgkmcnt(0)
	v_mul_f64 v[127:128], v[127:128], v[136:137]
	scratch_store_b64 off, v[127:128], off offset:64
.LBB126_538:
	s_or_b32 exec_lo, exec_lo, s2
	scratch_load_b64 v[127:128], off, off offset:56
	v_cmp_lt_u32_e64 s1, 7, v0
	s_waitcnt vmcnt(0)
	ds_store_b64 v130, v[127:128]
	s_waitcnt lgkmcnt(0)
	s_waitcnt_vscnt null, 0x0
	s_barrier
	buffer_gl0_inv
	s_and_saveexec_b32 s2, s1
	s_cbranch_execz .LBB126_548
; %bb.539:
	s_and_not1_b32 vcc_lo, exec_lo, s3
	s_cbranch_vccnz .LBB126_541
; %bb.540:
	scratch_load_b64 v[127:128], v131, off
	ds_load_b64 v[136:137], v130
	s_waitcnt vmcnt(0) lgkmcnt(0)
	v_mul_f64 v[127:128], v[127:128], v[136:137]
	s_cbranch_execz .LBB126_542
	s_branch .LBB126_543
.LBB126_541:
                                        ; implicit-def: $vgpr127_vgpr128
.LBB126_542:
	ds_load_b64 v[127:128], v130
.LBB126_543:
	s_and_saveexec_b32 s4, s0
	s_cbranch_execz .LBB126_547
; %bb.544:
	v_add_nc_u32_e32 v136, -8, v0
	s_movk_i32 s5, 0x240
	s_mov_b32 s0, 0
.LBB126_545:                            ; =>This Inner Loop Header: Depth=1
	scratch_load_b64 v[137:138], v135, off
	v_dual_mov_b32 v139, s5 :: v_dual_add_nc_u32 v136, -1, v136
	v_add_nc_u32_e32 v135, 8, v135
	s_add_i32 s5, s5, 8
	ds_load_b64 v[139:140], v139
	v_cmp_eq_u32_e32 vcc_lo, 0, v136
	s_or_b32 s0, vcc_lo, s0
	s_waitcnt vmcnt(0) lgkmcnt(0)
	v_fma_f64 v[127:128], v[137:138], v[139:140], v[127:128]
	s_and_not1_b32 exec_lo, exec_lo, s0
	s_cbranch_execnz .LBB126_545
; %bb.546:
	s_or_b32 exec_lo, exec_lo, s0
.LBB126_547:
	s_delay_alu instid0(SALU_CYCLE_1)
	s_or_b32 exec_lo, exec_lo, s4
	v_mov_b32_e32 v135, 0
	ds_load_b64 v[135:136], v135 offset:56
	s_waitcnt lgkmcnt(0)
	v_mul_f64 v[127:128], v[127:128], v[135:136]
	scratch_store_b64 off, v[127:128], off offset:56
.LBB126_548:
	s_or_b32 exec_lo, exec_lo, s2
	scratch_load_b64 v[127:128], off, off offset:48
	v_cmp_lt_u32_e64 s0, 6, v0
	s_waitcnt vmcnt(0)
	ds_store_b64 v130, v[127:128]
	s_waitcnt lgkmcnt(0)
	s_waitcnt_vscnt null, 0x0
	s_barrier
	buffer_gl0_inv
	s_and_saveexec_b32 s2, s0
	s_cbranch_execz .LBB126_558
; %bb.549:
	s_and_not1_b32 vcc_lo, exec_lo, s3
	s_cbranch_vccnz .LBB126_551
; %bb.550:
	scratch_load_b64 v[127:128], v131, off
	ds_load_b64 v[135:136], v130
	s_waitcnt vmcnt(0) lgkmcnt(0)
	v_mul_f64 v[127:128], v[127:128], v[135:136]
	s_cbranch_execz .LBB126_552
	s_branch .LBB126_553
.LBB126_551:
                                        ; implicit-def: $vgpr127_vgpr128
.LBB126_552:
	ds_load_b64 v[127:128], v130
.LBB126_553:
	s_and_saveexec_b32 s4, s1
	s_cbranch_execz .LBB126_557
; %bb.554:
	v_add_nc_u32_e64 v135, 0, 56
	v_add_nc_u32_e32 v136, -7, v0
	s_movk_i32 s5, 0x238
	s_mov_b32 s1, 0
.LBB126_555:                            ; =>This Inner Loop Header: Depth=1
	scratch_load_b64 v[137:138], v135, off
	v_dual_mov_b32 v139, s5 :: v_dual_add_nc_u32 v136, -1, v136
	v_add_nc_u32_e32 v135, 8, v135
	s_add_i32 s5, s5, 8
	ds_load_b64 v[139:140], v139
	v_cmp_eq_u32_e32 vcc_lo, 0, v136
	s_or_b32 s1, vcc_lo, s1
	s_waitcnt vmcnt(0) lgkmcnt(0)
	v_fma_f64 v[127:128], v[137:138], v[139:140], v[127:128]
	s_and_not1_b32 exec_lo, exec_lo, s1
	s_cbranch_execnz .LBB126_555
; %bb.556:
	s_or_b32 exec_lo, exec_lo, s1
.LBB126_557:
	s_delay_alu instid0(SALU_CYCLE_1)
	s_or_b32 exec_lo, exec_lo, s4
	v_mov_b32_e32 v135, 0
	ds_load_b64 v[135:136], v135 offset:48
	s_waitcnt lgkmcnt(0)
	v_mul_f64 v[127:128], v[127:128], v[135:136]
	scratch_store_b64 off, v[127:128], off offset:48
.LBB126_558:
	s_or_b32 exec_lo, exec_lo, s2
	scratch_load_b64 v[127:128], off, off offset:40
	v_cmp_lt_u32_e64 s1, 5, v0
	s_waitcnt vmcnt(0)
	ds_store_b64 v130, v[127:128]
	s_waitcnt lgkmcnt(0)
	s_waitcnt_vscnt null, 0x0
	s_barrier
	buffer_gl0_inv
	s_and_saveexec_b32 s2, s1
	s_cbranch_execz .LBB126_568
; %bb.559:
	s_and_not1_b32 vcc_lo, exec_lo, s3
	s_cbranch_vccnz .LBB126_561
; %bb.560:
	scratch_load_b64 v[127:128], v131, off
	ds_load_b64 v[135:136], v130
	s_waitcnt vmcnt(0) lgkmcnt(0)
	v_mul_f64 v[127:128], v[127:128], v[135:136]
	s_cbranch_execz .LBB126_562
	s_branch .LBB126_563
.LBB126_561:
                                        ; implicit-def: $vgpr127_vgpr128
.LBB126_562:
	ds_load_b64 v[127:128], v130
.LBB126_563:
	s_and_saveexec_b32 s4, s0
	s_cbranch_execz .LBB126_567
; %bb.564:
	v_add_nc_u32_e32 v135, -6, v0
	s_movk_i32 s5, 0x230
	s_mov_b32 s0, 0
.LBB126_565:                            ; =>This Inner Loop Header: Depth=1
	scratch_load_b64 v[136:137], v134, off
	v_dual_mov_b32 v138, s5 :: v_dual_add_nc_u32 v135, -1, v135
	v_add_nc_u32_e32 v134, 8, v134
	s_add_i32 s5, s5, 8
	ds_load_b64 v[138:139], v138
	v_cmp_eq_u32_e32 vcc_lo, 0, v135
	s_or_b32 s0, vcc_lo, s0
	s_waitcnt vmcnt(0) lgkmcnt(0)
	v_fma_f64 v[127:128], v[136:137], v[138:139], v[127:128]
	s_and_not1_b32 exec_lo, exec_lo, s0
	s_cbranch_execnz .LBB126_565
; %bb.566:
	s_or_b32 exec_lo, exec_lo, s0
.LBB126_567:
	s_delay_alu instid0(SALU_CYCLE_1)
	s_or_b32 exec_lo, exec_lo, s4
	v_mov_b32_e32 v134, 0
	ds_load_b64 v[134:135], v134 offset:40
	s_waitcnt lgkmcnt(0)
	v_mul_f64 v[127:128], v[127:128], v[134:135]
	scratch_store_b64 off, v[127:128], off offset:40
.LBB126_568:
	s_or_b32 exec_lo, exec_lo, s2
	scratch_load_b64 v[127:128], off, off offset:32
	v_cmp_lt_u32_e64 s0, 4, v0
	s_waitcnt vmcnt(0)
	ds_store_b64 v130, v[127:128]
	s_waitcnt lgkmcnt(0)
	s_waitcnt_vscnt null, 0x0
	s_barrier
	buffer_gl0_inv
	s_and_saveexec_b32 s2, s0
	s_cbranch_execz .LBB126_578
; %bb.569:
	s_and_not1_b32 vcc_lo, exec_lo, s3
	s_cbranch_vccnz .LBB126_571
; %bb.570:
	scratch_load_b64 v[127:128], v131, off
	ds_load_b64 v[134:135], v130
	s_waitcnt vmcnt(0) lgkmcnt(0)
	v_mul_f64 v[127:128], v[127:128], v[134:135]
	s_cbranch_execz .LBB126_572
	s_branch .LBB126_573
.LBB126_571:
                                        ; implicit-def: $vgpr127_vgpr128
.LBB126_572:
	ds_load_b64 v[127:128], v130
.LBB126_573:
	s_and_saveexec_b32 s4, s1
	s_cbranch_execz .LBB126_577
; %bb.574:
	v_add_nc_u32_e64 v134, 0, 40
	v_add_nc_u32_e32 v135, -5, v0
	s_movk_i32 s5, 0x228
	s_mov_b32 s1, 0
.LBB126_575:                            ; =>This Inner Loop Header: Depth=1
	scratch_load_b64 v[136:137], v134, off
	v_dual_mov_b32 v138, s5 :: v_dual_add_nc_u32 v135, -1, v135
	v_add_nc_u32_e32 v134, 8, v134
	s_add_i32 s5, s5, 8
	ds_load_b64 v[138:139], v138
	v_cmp_eq_u32_e32 vcc_lo, 0, v135
	s_or_b32 s1, vcc_lo, s1
	s_waitcnt vmcnt(0) lgkmcnt(0)
	v_fma_f64 v[127:128], v[136:137], v[138:139], v[127:128]
	s_and_not1_b32 exec_lo, exec_lo, s1
	s_cbranch_execnz .LBB126_575
; %bb.576:
	s_or_b32 exec_lo, exec_lo, s1
.LBB126_577:
	s_delay_alu instid0(SALU_CYCLE_1)
	s_or_b32 exec_lo, exec_lo, s4
	v_mov_b32_e32 v134, 0
	ds_load_b64 v[134:135], v134 offset:32
	s_waitcnt lgkmcnt(0)
	v_mul_f64 v[127:128], v[127:128], v[134:135]
	scratch_store_b64 off, v[127:128], off offset:32
.LBB126_578:
	s_or_b32 exec_lo, exec_lo, s2
	scratch_load_b64 v[127:128], off, off offset:24
	v_cmp_lt_u32_e64 s1, 3, v0
	s_waitcnt vmcnt(0)
	ds_store_b64 v130, v[127:128]
	s_waitcnt lgkmcnt(0)
	s_waitcnt_vscnt null, 0x0
	s_barrier
	buffer_gl0_inv
	s_and_saveexec_b32 s2, s1
	s_cbranch_execz .LBB126_588
; %bb.579:
	s_and_not1_b32 vcc_lo, exec_lo, s3
	s_cbranch_vccnz .LBB126_581
; %bb.580:
	scratch_load_b64 v[127:128], v131, off
	ds_load_b64 v[134:135], v130
	s_waitcnt vmcnt(0) lgkmcnt(0)
	v_mul_f64 v[127:128], v[127:128], v[134:135]
	s_cbranch_execz .LBB126_582
	s_branch .LBB126_583
.LBB126_581:
                                        ; implicit-def: $vgpr127_vgpr128
.LBB126_582:
	ds_load_b64 v[127:128], v130
.LBB126_583:
	s_and_saveexec_b32 s4, s0
	s_cbranch_execz .LBB126_587
; %bb.584:
	v_add_nc_u32_e32 v134, -4, v0
	s_movk_i32 s5, 0x220
	s_mov_b32 s0, 0
.LBB126_585:                            ; =>This Inner Loop Header: Depth=1
	scratch_load_b64 v[135:136], v133, off
	v_dual_mov_b32 v137, s5 :: v_dual_add_nc_u32 v134, -1, v134
	v_add_nc_u32_e32 v133, 8, v133
	s_add_i32 s5, s5, 8
	ds_load_b64 v[137:138], v137
	v_cmp_eq_u32_e32 vcc_lo, 0, v134
	s_or_b32 s0, vcc_lo, s0
	s_waitcnt vmcnt(0) lgkmcnt(0)
	v_fma_f64 v[127:128], v[135:136], v[137:138], v[127:128]
	s_and_not1_b32 exec_lo, exec_lo, s0
	s_cbranch_execnz .LBB126_585
; %bb.586:
	s_or_b32 exec_lo, exec_lo, s0
.LBB126_587:
	s_delay_alu instid0(SALU_CYCLE_1)
	s_or_b32 exec_lo, exec_lo, s4
	v_mov_b32_e32 v133, 0
	ds_load_b64 v[133:134], v133 offset:24
	s_waitcnt lgkmcnt(0)
	v_mul_f64 v[127:128], v[127:128], v[133:134]
	scratch_store_b64 off, v[127:128], off offset:24
.LBB126_588:
	s_or_b32 exec_lo, exec_lo, s2
	scratch_load_b64 v[127:128], off, off offset:16
	v_cmp_lt_u32_e64 s0, 2, v0
	s_waitcnt vmcnt(0)
	ds_store_b64 v130, v[127:128]
	s_waitcnt lgkmcnt(0)
	s_waitcnt_vscnt null, 0x0
	s_barrier
	buffer_gl0_inv
	s_and_saveexec_b32 s2, s0
	s_cbranch_execz .LBB126_598
; %bb.589:
	s_and_not1_b32 vcc_lo, exec_lo, s3
	s_cbranch_vccnz .LBB126_591
; %bb.590:
	scratch_load_b64 v[127:128], v131, off
	ds_load_b64 v[133:134], v130
	s_waitcnt vmcnt(0) lgkmcnt(0)
	v_mul_f64 v[127:128], v[127:128], v[133:134]
	s_cbranch_execz .LBB126_592
	s_branch .LBB126_593
.LBB126_591:
                                        ; implicit-def: $vgpr127_vgpr128
.LBB126_592:
	ds_load_b64 v[127:128], v130
.LBB126_593:
	s_and_saveexec_b32 s4, s1
	s_cbranch_execz .LBB126_597
; %bb.594:
	v_add_nc_u32_e64 v133, 0, 24
	v_add_nc_u32_e32 v134, -3, v0
	s_movk_i32 s5, 0x218
	s_mov_b32 s1, 0
.LBB126_595:                            ; =>This Inner Loop Header: Depth=1
	scratch_load_b64 v[135:136], v133, off
	v_dual_mov_b32 v137, s5 :: v_dual_add_nc_u32 v134, -1, v134
	v_add_nc_u32_e32 v133, 8, v133
	s_add_i32 s5, s5, 8
	ds_load_b64 v[137:138], v137
	v_cmp_eq_u32_e32 vcc_lo, 0, v134
	s_or_b32 s1, vcc_lo, s1
	s_waitcnt vmcnt(0) lgkmcnt(0)
	v_fma_f64 v[127:128], v[135:136], v[137:138], v[127:128]
	s_and_not1_b32 exec_lo, exec_lo, s1
	s_cbranch_execnz .LBB126_595
; %bb.596:
	s_or_b32 exec_lo, exec_lo, s1
.LBB126_597:
	s_delay_alu instid0(SALU_CYCLE_1)
	s_or_b32 exec_lo, exec_lo, s4
	v_mov_b32_e32 v133, 0
	ds_load_b64 v[133:134], v133 offset:16
	s_waitcnt lgkmcnt(0)
	v_mul_f64 v[127:128], v[127:128], v[133:134]
	scratch_store_b64 off, v[127:128], off offset:16
.LBB126_598:
	s_or_b32 exec_lo, exec_lo, s2
	scratch_load_b64 v[127:128], off, off offset:8
	v_cmp_lt_u32_e64 s1, 1, v0
	s_waitcnt vmcnt(0)
	ds_store_b64 v130, v[127:128]
	s_waitcnt lgkmcnt(0)
	s_waitcnt_vscnt null, 0x0
	s_barrier
	buffer_gl0_inv
	s_and_saveexec_b32 s2, s1
	s_cbranch_execz .LBB126_608
; %bb.599:
	s_and_not1_b32 vcc_lo, exec_lo, s3
	s_cbranch_vccnz .LBB126_601
; %bb.600:
	scratch_load_b64 v[127:128], v131, off
	ds_load_b64 v[133:134], v130
	s_waitcnt vmcnt(0) lgkmcnt(0)
	v_mul_f64 v[127:128], v[127:128], v[133:134]
	s_cbranch_execz .LBB126_602
	s_branch .LBB126_603
.LBB126_601:
                                        ; implicit-def: $vgpr127_vgpr128
.LBB126_602:
	ds_load_b64 v[127:128], v130
.LBB126_603:
	s_and_saveexec_b32 s4, s0
	s_cbranch_execz .LBB126_607
; %bb.604:
	v_add_nc_u32_e32 v133, -2, v0
	s_movk_i32 s5, 0x210
	s_mov_b32 s0, 0
.LBB126_605:                            ; =>This Inner Loop Header: Depth=1
	scratch_load_b64 v[134:135], v132, off
	v_dual_mov_b32 v136, s5 :: v_dual_add_nc_u32 v133, -1, v133
	v_add_nc_u32_e32 v132, 8, v132
	s_add_i32 s5, s5, 8
	ds_load_b64 v[136:137], v136
	v_cmp_eq_u32_e32 vcc_lo, 0, v133
	s_or_b32 s0, vcc_lo, s0
	s_waitcnt vmcnt(0) lgkmcnt(0)
	v_fma_f64 v[127:128], v[134:135], v[136:137], v[127:128]
	s_and_not1_b32 exec_lo, exec_lo, s0
	s_cbranch_execnz .LBB126_605
; %bb.606:
	s_or_b32 exec_lo, exec_lo, s0
.LBB126_607:
	s_delay_alu instid0(SALU_CYCLE_1)
	s_or_b32 exec_lo, exec_lo, s4
	v_mov_b32_e32 v132, 0
	ds_load_b64 v[132:133], v132 offset:8
	s_waitcnt lgkmcnt(0)
	v_mul_f64 v[127:128], v[127:128], v[132:133]
	scratch_store_b64 off, v[127:128], off offset:8
.LBB126_608:
	s_or_b32 exec_lo, exec_lo, s2
	scratch_load_b64 v[127:128], off, off
	s_mov_b32 s0, 0
	s_mov_b32 s2, exec_lo
	s_waitcnt vmcnt(0)
	ds_store_b64 v130, v[127:128]
	s_waitcnt lgkmcnt(0)
	s_waitcnt_vscnt null, 0x0
	s_barrier
	buffer_gl0_inv
	v_cmpx_ne_u32_e32 0, v0
	s_cbranch_execz .LBB126_618
; %bb.609:
	s_and_not1_b32 vcc_lo, exec_lo, s3
	s_cbranch_vccnz .LBB126_611
; %bb.610:
	scratch_load_b64 v[127:128], v131, off
	ds_load_b64 v[132:133], v130
	s_waitcnt vmcnt(0) lgkmcnt(0)
	v_mul_f64 v[127:128], v[127:128], v[132:133]
	s_cbranch_execz .LBB126_612
	s_branch .LBB126_613
.LBB126_611:
                                        ; implicit-def: $vgpr127_vgpr128
.LBB126_612:
	ds_load_b64 v[127:128], v130
.LBB126_613:
	s_and_saveexec_b32 s4, s1
	s_cbranch_execz .LBB126_617
; %bb.614:
	v_or_b32_e64 v132, 0, 8
	v_add_nc_u32_e32 v133, -1, v0
	s_movk_i32 s5, 0x208
	s_mov_b32 s1, 0
.LBB126_615:                            ; =>This Inner Loop Header: Depth=1
	scratch_load_b64 v[134:135], v132, off
	v_dual_mov_b32 v136, s5 :: v_dual_add_nc_u32 v133, -1, v133
	v_add_nc_u32_e32 v132, 8, v132
	s_add_i32 s5, s5, 8
	ds_load_b64 v[136:137], v136
	v_cmp_eq_u32_e32 vcc_lo, 0, v133
	s_or_b32 s1, vcc_lo, s1
	s_waitcnt vmcnt(0) lgkmcnt(0)
	v_fma_f64 v[127:128], v[134:135], v[136:137], v[127:128]
	s_and_not1_b32 exec_lo, exec_lo, s1
	s_cbranch_execnz .LBB126_615
; %bb.616:
	s_or_b32 exec_lo, exec_lo, s1
.LBB126_617:
	s_delay_alu instid0(SALU_CYCLE_1)
	s_or_b32 exec_lo, exec_lo, s4
	v_mov_b32_e32 v132, 0
	ds_load_b64 v[132:133], v132
	s_waitcnt lgkmcnt(0)
	v_mul_f64 v[127:128], v[127:128], v[132:133]
	scratch_store_b64 off, v[127:128], off
.LBB126_618:
	s_or_b32 exec_lo, exec_lo, s2
.LBB126_619:
	s_delay_alu instid0(SALU_CYCLE_1)
	s_and_b32 vcc_lo, exec_lo, s0
	s_cbranch_vccz .LBB126_1235
; %bb.620:
	scratch_load_b64 v[127:128], off, off offset:8
	v_cmp_eq_u32_e64 s0, 0, v0
	s_waitcnt vmcnt(0)
	ds_store_b64 v130, v[127:128]
	s_waitcnt lgkmcnt(0)
	s_waitcnt_vscnt null, 0x0
	s_barrier
	buffer_gl0_inv
	s_and_saveexec_b32 s1, s0
	s_cbranch_execz .LBB126_626
; %bb.621:
	s_and_b32 vcc_lo, exec_lo, s3
	s_cbranch_vccz .LBB126_623
; %bb.622:
	scratch_load_b64 v[127:128], v131, off
	ds_load_b64 v[132:133], v130
	s_waitcnt vmcnt(0) lgkmcnt(0)
	v_mul_f64 v[127:128], v[127:128], v[132:133]
	s_cbranch_execz .LBB126_624
	s_branch .LBB126_625
.LBB126_623:
                                        ; implicit-def: $vgpr127_vgpr128
.LBB126_624:
	ds_load_b64 v[127:128], v130
.LBB126_625:
	v_mov_b32_e32 v132, 0
	ds_load_b64 v[132:133], v132 offset:8
	s_waitcnt lgkmcnt(0)
	v_mul_f64 v[127:128], v[127:128], v[132:133]
	scratch_store_b64 off, v[127:128], off offset:8
.LBB126_626:
	s_or_b32 exec_lo, exec_lo, s1
	scratch_load_b64 v[127:128], off, off offset:16
	v_cndmask_b32_e64 v132, 0, 1, s3
	s_mov_b32 s1, exec_lo
	s_waitcnt vmcnt(0)
	ds_store_b64 v130, v[127:128]
	s_waitcnt lgkmcnt(0)
	s_waitcnt_vscnt null, 0x0
	s_barrier
	buffer_gl0_inv
	v_cmpx_gt_u32_e32 2, v0
	s_cbranch_execz .LBB126_634
; %bb.627:
	s_and_not1_b32 vcc_lo, exec_lo, s3
	s_cbranch_vccnz .LBB126_629
; %bb.628:
	scratch_load_b64 v[127:128], v131, off
	ds_load_b64 v[133:134], v130
	s_waitcnt vmcnt(0) lgkmcnt(0)
	v_mul_f64 v[127:128], v[127:128], v[133:134]
	s_cbranch_execz .LBB126_630
	s_branch .LBB126_631
.LBB126_629:
                                        ; implicit-def: $vgpr127_vgpr128
.LBB126_630:
	ds_load_b64 v[127:128], v130
.LBB126_631:
	s_and_saveexec_b32 s2, s0
	s_cbranch_execz .LBB126_633
; %bb.632:
	scratch_load_b64 v[133:134], v131, off offset:8
	ds_load_b64 v[135:136], v130 offset:8
	s_waitcnt vmcnt(0) lgkmcnt(0)
	v_fma_f64 v[127:128], v[133:134], v[135:136], v[127:128]
.LBB126_633:
	s_or_b32 exec_lo, exec_lo, s2
	v_mov_b32_e32 v133, 0
	ds_load_b64 v[133:134], v133 offset:16
	s_waitcnt lgkmcnt(0)
	v_mul_f64 v[127:128], v[127:128], v[133:134]
	scratch_store_b64 off, v[127:128], off offset:16
.LBB126_634:
	s_or_b32 exec_lo, exec_lo, s1
	scratch_load_b64 v[127:128], off, off offset:24
	s_mov_b32 s1, exec_lo
	s_waitcnt vmcnt(0)
	ds_store_b64 v130, v[127:128]
	s_waitcnt lgkmcnt(0)
	s_waitcnt_vscnt null, 0x0
	s_barrier
	buffer_gl0_inv
	v_cmpx_gt_u32_e32 3, v0
	s_cbranch_execz .LBB126_644
; %bb.635:
	v_cmp_ne_u32_e32 vcc_lo, 1, v132
	s_cbranch_vccnz .LBB126_637
; %bb.636:
	scratch_load_b64 v[127:128], v131, off
	ds_load_b64 v[133:134], v130
	s_waitcnt vmcnt(0) lgkmcnt(0)
	v_mul_f64 v[127:128], v[127:128], v[133:134]
	s_cbranch_execz .LBB126_638
	s_branch .LBB126_639
.LBB126_637:
                                        ; implicit-def: $vgpr127_vgpr128
.LBB126_638:
	ds_load_b64 v[127:128], v130
.LBB126_639:
	s_mov_b32 s2, exec_lo
	v_cmpx_ne_u32_e32 2, v0
	s_cbranch_execz .LBB126_643
; %bb.640:
	scratch_load_b64 v[133:134], v131, off offset:8
	ds_load_b64 v[135:136], v130 offset:8
	s_waitcnt vmcnt(0) lgkmcnt(0)
	v_fma_f64 v[127:128], v[133:134], v[135:136], v[127:128]
	s_and_saveexec_b32 s3, s0
	s_cbranch_execz .LBB126_642
; %bb.641:
	scratch_load_b64 v[133:134], off, off offset:16
	v_mov_b32_e32 v135, 0
	ds_load_b64 v[135:136], v135 offset:528
	s_waitcnt vmcnt(0) lgkmcnt(0)
	v_fma_f64 v[127:128], v[133:134], v[135:136], v[127:128]
.LBB126_642:
	s_or_b32 exec_lo, exec_lo, s3
.LBB126_643:
	s_delay_alu instid0(SALU_CYCLE_1)
	s_or_b32 exec_lo, exec_lo, s2
	v_mov_b32_e32 v133, 0
	ds_load_b64 v[133:134], v133 offset:24
	s_waitcnt lgkmcnt(0)
	v_mul_f64 v[127:128], v[127:128], v[133:134]
	scratch_store_b64 off, v[127:128], off offset:24
.LBB126_644:
	s_or_b32 exec_lo, exec_lo, s1
	scratch_load_b64 v[127:128], off, off offset:32
	s_mov_b32 s0, exec_lo
	s_waitcnt vmcnt(0)
	ds_store_b64 v130, v[127:128]
	s_waitcnt lgkmcnt(0)
	s_waitcnt_vscnt null, 0x0
	s_barrier
	buffer_gl0_inv
	v_cmpx_gt_u32_e32 4, v0
	s_cbranch_execz .LBB126_654
; %bb.645:
	v_cmp_ne_u32_e32 vcc_lo, 1, v132
	s_cbranch_vccnz .LBB126_647
; %bb.646:
	scratch_load_b64 v[127:128], v131, off
	ds_load_b64 v[133:134], v130
	s_waitcnt vmcnt(0) lgkmcnt(0)
	v_mul_f64 v[127:128], v[127:128], v[133:134]
	s_cbranch_execz .LBB126_648
	s_branch .LBB126_649
.LBB126_647:
                                        ; implicit-def: $vgpr127_vgpr128
.LBB126_648:
	ds_load_b64 v[127:128], v130
.LBB126_649:
	s_mov_b32 s1, exec_lo
	v_cmpx_ne_u32_e32 3, v0
	s_cbranch_execz .LBB126_653
; %bb.650:
	v_add_nc_u32_e32 v133, 0x208, v129
	v_add3_u32 v134, 0, v129, 8
	v_mov_b32_e32 v135, v0
	s_mov_b32 s2, 0
.LBB126_651:                            ; =>This Inner Loop Header: Depth=1
	scratch_load_b64 v[136:137], v134, off
	ds_load_b64 v[138:139], v133
	v_add_nc_u32_e32 v135, 1, v135
	v_add_nc_u32_e32 v133, 8, v133
	v_add_nc_u32_e32 v134, 8, v134
	s_delay_alu instid0(VALU_DEP_3)
	v_cmp_lt_u32_e32 vcc_lo, 2, v135
	s_or_b32 s2, vcc_lo, s2
	s_waitcnt vmcnt(0) lgkmcnt(0)
	v_fma_f64 v[127:128], v[136:137], v[138:139], v[127:128]
	s_and_not1_b32 exec_lo, exec_lo, s2
	s_cbranch_execnz .LBB126_651
; %bb.652:
	s_or_b32 exec_lo, exec_lo, s2
.LBB126_653:
	s_delay_alu instid0(SALU_CYCLE_1)
	s_or_b32 exec_lo, exec_lo, s1
	v_mov_b32_e32 v133, 0
	ds_load_b64 v[133:134], v133 offset:32
	s_waitcnt lgkmcnt(0)
	v_mul_f64 v[127:128], v[127:128], v[133:134]
	scratch_store_b64 off, v[127:128], off offset:32
.LBB126_654:
	s_or_b32 exec_lo, exec_lo, s0
	scratch_load_b64 v[127:128], off, off offset:40
	s_mov_b32 s0, exec_lo
	s_waitcnt vmcnt(0)
	ds_store_b64 v130, v[127:128]
	s_waitcnt lgkmcnt(0)
	s_waitcnt_vscnt null, 0x0
	s_barrier
	buffer_gl0_inv
	v_cmpx_gt_u32_e32 5, v0
	s_cbranch_execz .LBB126_664
; %bb.655:
	v_cmp_ne_u32_e32 vcc_lo, 1, v132
	s_cbranch_vccnz .LBB126_657
; %bb.656:
	scratch_load_b64 v[127:128], v131, off
	ds_load_b64 v[133:134], v130
	s_waitcnt vmcnt(0) lgkmcnt(0)
	v_mul_f64 v[127:128], v[127:128], v[133:134]
	s_cbranch_execz .LBB126_658
	s_branch .LBB126_659
.LBB126_657:
                                        ; implicit-def: $vgpr127_vgpr128
.LBB126_658:
	ds_load_b64 v[127:128], v130
.LBB126_659:
	s_mov_b32 s1, exec_lo
	v_cmpx_ne_u32_e32 4, v0
	s_cbranch_execz .LBB126_663
; %bb.660:
	v_add_nc_u32_e32 v133, 0x208, v129
	v_add3_u32 v134, 0, v129, 8
	v_mov_b32_e32 v135, v0
	s_mov_b32 s2, 0
.LBB126_661:                            ; =>This Inner Loop Header: Depth=1
	scratch_load_b64 v[136:137], v134, off
	ds_load_b64 v[138:139], v133
	v_add_nc_u32_e32 v135, 1, v135
	v_add_nc_u32_e32 v133, 8, v133
	v_add_nc_u32_e32 v134, 8, v134
	s_delay_alu instid0(VALU_DEP_3)
	v_cmp_lt_u32_e32 vcc_lo, 3, v135
	s_or_b32 s2, vcc_lo, s2
	s_waitcnt vmcnt(0) lgkmcnt(0)
	v_fma_f64 v[127:128], v[136:137], v[138:139], v[127:128]
	s_and_not1_b32 exec_lo, exec_lo, s2
	s_cbranch_execnz .LBB126_661
; %bb.662:
	s_or_b32 exec_lo, exec_lo, s2
.LBB126_663:
	s_delay_alu instid0(SALU_CYCLE_1)
	s_or_b32 exec_lo, exec_lo, s1
	v_mov_b32_e32 v133, 0
	ds_load_b64 v[133:134], v133 offset:40
	s_waitcnt lgkmcnt(0)
	v_mul_f64 v[127:128], v[127:128], v[133:134]
	scratch_store_b64 off, v[127:128], off offset:40
.LBB126_664:
	;; [unrolled: 58-line block ×35, first 2 shown]
	s_or_b32 exec_lo, exec_lo, s0
	scratch_load_b64 v[127:128], off, off offset:312
	s_mov_b32 s0, exec_lo
	s_waitcnt vmcnt(0)
	ds_store_b64 v130, v[127:128]
	s_waitcnt lgkmcnt(0)
	s_waitcnt_vscnt null, 0x0
	s_barrier
	buffer_gl0_inv
	v_cmpx_gt_u32_e32 39, v0
	s_cbranch_execz .LBB126_1004
; %bb.995:
	v_cmp_ne_u32_e32 vcc_lo, 1, v132
	s_cbranch_vccnz .LBB126_997
; %bb.996:
	scratch_load_b64 v[127:128], v131, off
	ds_load_b64 v[133:134], v130
	s_waitcnt vmcnt(0) lgkmcnt(0)
	v_mul_f64 v[127:128], v[127:128], v[133:134]
	s_cbranch_execz .LBB126_998
	s_branch .LBB126_999
.LBB126_997:
                                        ; implicit-def: $vgpr127_vgpr128
.LBB126_998:
	ds_load_b64 v[127:128], v130
.LBB126_999:
	s_mov_b32 s1, exec_lo
	v_cmpx_ne_u32_e32 38, v0
	s_cbranch_execz .LBB126_1003
; %bb.1000:
	v_add_nc_u32_e32 v133, 0x208, v129
	v_add3_u32 v134, 0, v129, 8
	v_mov_b32_e32 v135, v0
	s_mov_b32 s2, 0
.LBB126_1001:                           ; =>This Inner Loop Header: Depth=1
	scratch_load_b64 v[136:137], v134, off
	ds_load_b64 v[138:139], v133
	v_add_nc_u32_e32 v135, 1, v135
	v_add_nc_u32_e32 v133, 8, v133
	v_add_nc_u32_e32 v134, 8, v134
	s_delay_alu instid0(VALU_DEP_3)
	v_cmp_lt_u32_e32 vcc_lo, 37, v135
	s_or_b32 s2, vcc_lo, s2
	s_waitcnt vmcnt(0) lgkmcnt(0)
	v_fma_f64 v[127:128], v[136:137], v[138:139], v[127:128]
	s_and_not1_b32 exec_lo, exec_lo, s2
	s_cbranch_execnz .LBB126_1001
; %bb.1002:
	s_or_b32 exec_lo, exec_lo, s2
.LBB126_1003:
	s_delay_alu instid0(SALU_CYCLE_1)
	s_or_b32 exec_lo, exec_lo, s1
	v_mov_b32_e32 v133, 0
	ds_load_b64 v[133:134], v133 offset:312
	s_waitcnt lgkmcnt(0)
	v_mul_f64 v[127:128], v[127:128], v[133:134]
	scratch_store_b64 off, v[127:128], off offset:312
.LBB126_1004:
	s_or_b32 exec_lo, exec_lo, s0
	scratch_load_b64 v[127:128], off, off offset:320
	s_mov_b32 s0, exec_lo
	s_waitcnt vmcnt(0)
	ds_store_b64 v130, v[127:128]
	s_waitcnt lgkmcnt(0)
	s_waitcnt_vscnt null, 0x0
	s_barrier
	buffer_gl0_inv
	v_cmpx_gt_u32_e32 40, v0
	s_cbranch_execz .LBB126_1014
; %bb.1005:
	v_cmp_ne_u32_e32 vcc_lo, 1, v132
	s_cbranch_vccnz .LBB126_1007
; %bb.1006:
	scratch_load_b64 v[127:128], v131, off
	ds_load_b64 v[133:134], v130
	s_waitcnt vmcnt(0) lgkmcnt(0)
	v_mul_f64 v[127:128], v[127:128], v[133:134]
	s_cbranch_execz .LBB126_1008
	s_branch .LBB126_1009
.LBB126_1007:
                                        ; implicit-def: $vgpr127_vgpr128
.LBB126_1008:
	ds_load_b64 v[127:128], v130
.LBB126_1009:
	s_mov_b32 s1, exec_lo
	v_cmpx_ne_u32_e32 39, v0
	s_cbranch_execz .LBB126_1013
; %bb.1010:
	v_add_nc_u32_e32 v133, 0x208, v129
	v_add3_u32 v134, 0, v129, 8
	v_mov_b32_e32 v135, v0
	s_mov_b32 s2, 0
.LBB126_1011:                           ; =>This Inner Loop Header: Depth=1
	scratch_load_b64 v[136:137], v134, off
	ds_load_b64 v[138:139], v133
	v_add_nc_u32_e32 v135, 1, v135
	v_add_nc_u32_e32 v133, 8, v133
	v_add_nc_u32_e32 v134, 8, v134
	s_delay_alu instid0(VALU_DEP_3)
	v_cmp_lt_u32_e32 vcc_lo, 38, v135
	s_or_b32 s2, vcc_lo, s2
	s_waitcnt vmcnt(0) lgkmcnt(0)
	v_fma_f64 v[127:128], v[136:137], v[138:139], v[127:128]
	s_and_not1_b32 exec_lo, exec_lo, s2
	s_cbranch_execnz .LBB126_1011
; %bb.1012:
	s_or_b32 exec_lo, exec_lo, s2
.LBB126_1013:
	s_delay_alu instid0(SALU_CYCLE_1)
	s_or_b32 exec_lo, exec_lo, s1
	v_mov_b32_e32 v133, 0
	ds_load_b64 v[133:134], v133 offset:320
	s_waitcnt lgkmcnt(0)
	v_mul_f64 v[127:128], v[127:128], v[133:134]
	scratch_store_b64 off, v[127:128], off offset:320
.LBB126_1014:
	;; [unrolled: 58-line block ×22, first 2 shown]
	s_or_b32 exec_lo, exec_lo, s0
	scratch_load_b64 v[127:128], off, off offset:488
	v_cmp_gt_u32_e64 s0, 61, v0
	s_waitcnt vmcnt(0)
	ds_store_b64 v130, v[127:128]
	s_waitcnt lgkmcnt(0)
	s_waitcnt_vscnt null, 0x0
	s_barrier
	buffer_gl0_inv
	s_and_saveexec_b32 s1, s0
	s_cbranch_execz .LBB126_1224
; %bb.1215:
	v_cmp_ne_u32_e32 vcc_lo, 1, v132
	s_cbranch_vccnz .LBB126_1217
; %bb.1216:
	scratch_load_b64 v[127:128], v131, off
	ds_load_b64 v[133:134], v130
	s_waitcnt vmcnt(0) lgkmcnt(0)
	v_mul_f64 v[127:128], v[127:128], v[133:134]
	s_cbranch_execz .LBB126_1218
	s_branch .LBB126_1219
.LBB126_1217:
                                        ; implicit-def: $vgpr127_vgpr128
.LBB126_1218:
	ds_load_b64 v[127:128], v130
.LBB126_1219:
	s_mov_b32 s2, exec_lo
	v_cmpx_ne_u32_e32 60, v0
	s_cbranch_execz .LBB126_1223
; %bb.1220:
	v_add_nc_u32_e32 v133, 0x208, v129
	v_add3_u32 v134, 0, v129, 8
	v_mov_b32_e32 v135, v0
	s_mov_b32 s3, 0
.LBB126_1221:                           ; =>This Inner Loop Header: Depth=1
	scratch_load_b64 v[136:137], v134, off
	ds_load_b64 v[138:139], v133
	v_add_nc_u32_e32 v135, 1, v135
	v_add_nc_u32_e32 v133, 8, v133
	;; [unrolled: 1-line block ×3, first 2 shown]
	s_delay_alu instid0(VALU_DEP_3)
	v_cmp_lt_u32_e32 vcc_lo, 59, v135
	s_or_b32 s3, vcc_lo, s3
	s_waitcnt vmcnt(0) lgkmcnt(0)
	v_fma_f64 v[127:128], v[136:137], v[138:139], v[127:128]
	s_and_not1_b32 exec_lo, exec_lo, s3
	s_cbranch_execnz .LBB126_1221
; %bb.1222:
	s_or_b32 exec_lo, exec_lo, s3
.LBB126_1223:
	s_delay_alu instid0(SALU_CYCLE_1)
	s_or_b32 exec_lo, exec_lo, s2
	v_mov_b32_e32 v133, 0
	ds_load_b64 v[133:134], v133 offset:488
	s_waitcnt lgkmcnt(0)
	v_mul_f64 v[127:128], v[127:128], v[133:134]
	scratch_store_b64 off, v[127:128], off offset:488
.LBB126_1224:
	s_or_b32 exec_lo, exec_lo, s1
	scratch_load_b64 v[127:128], off, off offset:496
	s_mov_b32 s1, exec_lo
	s_waitcnt vmcnt(0)
	ds_store_b64 v130, v[127:128]
	s_waitcnt lgkmcnt(0)
	s_waitcnt_vscnt null, 0x0
	s_barrier
	buffer_gl0_inv
	v_cmpx_ne_u32_e32 62, v0
	s_cbranch_execz .LBB126_1234
; %bb.1225:
	v_cmp_ne_u32_e32 vcc_lo, 1, v132
	s_cbranch_vccnz .LBB126_1227
; %bb.1226:
	scratch_load_b64 v[127:128], v131, off
	ds_load_b64 v[131:132], v130
	s_waitcnt vmcnt(0) lgkmcnt(0)
	v_mul_f64 v[127:128], v[127:128], v[131:132]
	s_cbranch_execz .LBB126_1228
	s_branch .LBB126_1229
.LBB126_1227:
                                        ; implicit-def: $vgpr127_vgpr128
.LBB126_1228:
	ds_load_b64 v[127:128], v130
.LBB126_1229:
	s_and_saveexec_b32 s2, s0
	s_cbranch_execz .LBB126_1233
; %bb.1230:
	v_add_nc_u32_e32 v130, 0x208, v129
	v_add3_u32 v129, 0, v129, 8
	s_mov_b32 s0, 0
.LBB126_1231:                           ; =>This Inner Loop Header: Depth=1
	scratch_load_b64 v[131:132], v129, off
	ds_load_b64 v[133:134], v130
	v_add_nc_u32_e32 v0, 1, v0
	v_add_nc_u32_e32 v130, 8, v130
	;; [unrolled: 1-line block ×3, first 2 shown]
	s_delay_alu instid0(VALU_DEP_3)
	v_cmp_lt_u32_e32 vcc_lo, 60, v0
	s_or_b32 s0, vcc_lo, s0
	s_waitcnt vmcnt(0) lgkmcnt(0)
	v_fma_f64 v[127:128], v[131:132], v[133:134], v[127:128]
	s_and_not1_b32 exec_lo, exec_lo, s0
	s_cbranch_execnz .LBB126_1231
; %bb.1232:
	s_or_b32 exec_lo, exec_lo, s0
.LBB126_1233:
	s_delay_alu instid0(SALU_CYCLE_1)
	s_or_b32 exec_lo, exec_lo, s2
	v_mov_b32_e32 v0, 0
	ds_load_b64 v[129:130], v0 offset:496
	s_waitcnt lgkmcnt(0)
	v_mul_f64 v[127:128], v[127:128], v[129:130]
	scratch_store_b64 off, v[127:128], off offset:496
.LBB126_1234:
	s_or_b32 exec_lo, exec_lo, s1
.LBB126_1235:
	s_clause 0xb
	scratch_load_b128 v[127:130], off, off
	scratch_load_b128 v[131:134], off, off offset:16
	scratch_load_b128 v[135:138], off, off offset:32
	scratch_load_b128 v[139:142], off, off offset:48
	scratch_load_b128 v[143:146], off, off offset:64
	scratch_load_b128 v[147:150], off, off offset:80
	scratch_load_b128 v[151:154], off, off offset:96
	scratch_load_b128 v[155:158], off, off offset:112
	scratch_load_b128 v[159:162], off, off offset:128
	scratch_load_b128 v[163:166], off, off offset:144
	scratch_load_b128 v[167:170], off, off offset:176
	scratch_load_b128 v[171:174], off, off offset:208
	s_waitcnt vmcnt(11)
	s_clause 0x1
	global_store_b64 v[53:54], v[127:128], off
	global_store_b64 v[47:48], v[129:130], off
	scratch_load_b128 v[127:130], off, off offset:160
	s_waitcnt vmcnt(11)
	s_clause 0x1
	global_store_b64 v[41:42], v[131:132], off
	global_store_b64 v[29:30], v[133:134], off
	s_waitcnt vmcnt(10)
	s_clause 0x1
	global_store_b64 v[23:24], v[135:136], off
	global_store_b64 v[15:16], v[137:138], off
	scratch_load_b128 v[135:138], off, off offset:224
	s_waitcnt vmcnt(10)
	s_clause 0x1
	global_store_b64 v[21:22], v[139:140], off
	global_store_b64 v[17:18], v[141:142], off
	s_waitcnt vmcnt(9)
	s_clause 0x1
	global_store_b64 v[11:12], v[143:144], off
	global_store_b64 v[7:8], v[145:146], off
	;; [unrolled: 4-line block ×7, first 2 shown]
	s_clause 0xe
	scratch_load_b128 v[131:134], off, off offset:192
	scratch_load_b128 v[21:24], off, off offset:240
	;; [unrolled: 1-line block ×15, first 2 shown]
	s_waitcnt vmcnt(16)
	s_clause 0x1
	global_store_b64 v[31:32], v[127:128], off
	global_store_b64 v[25:26], v[129:130], off
	s_clause 0x2
	scratch_load_b128 v[29:32], off, off offset:464
	scratch_load_b128 v[127:130], off, off offset:480
	scratch_load_b64 v[25:26], off, off offset:496
	s_clause 0x1
	global_store_b64 v[19:20], v[167:168], off
	global_store_b64 v[27:28], v[169:170], off
	s_waitcnt vmcnt(17)
	s_clause 0x5
	global_store_b64 v[33:34], v[131:132], off
	global_store_b64 v[39:40], v[133:134], off
	;; [unrolled: 1-line block ×6, first 2 shown]
	s_waitcnt vmcnt(16)
	s_clause 0x1
	global_store_b64 v[63:64], v[21:22], off
	global_store_b64 v[65:66], v[23:24], off
	s_waitcnt vmcnt(15)
	s_clause 0x1
	global_store_b64 v[67:68], v[15:16], off
	global_store_b64 v[69:70], v[17:18], off
	;; [unrolled: 4-line block ×16, first 2 shown]
	s_waitcnt vmcnt(0)
	global_store_b64 v[1:2], v[25:26], off
.LBB126_1236:
	s_endpgm
	.section	.rodata,"a",@progbits
	.p2align	6, 0x0
	.amdhsa_kernel _ZN9rocsolver6v33100L18trti2_kernel_smallILi63EdPKPdEEv13rocblas_fill_17rocblas_diagonal_T1_iil
		.amdhsa_group_segment_fixed_size 1016
		.amdhsa_private_segment_fixed_size 512
		.amdhsa_kernarg_size 32
		.amdhsa_user_sgpr_count 15
		.amdhsa_user_sgpr_dispatch_ptr 0
		.amdhsa_user_sgpr_queue_ptr 0
		.amdhsa_user_sgpr_kernarg_segment_ptr 1
		.amdhsa_user_sgpr_dispatch_id 0
		.amdhsa_user_sgpr_private_segment_size 0
		.amdhsa_wavefront_size32 1
		.amdhsa_uses_dynamic_stack 0
		.amdhsa_enable_private_segment 1
		.amdhsa_system_sgpr_workgroup_id_x 1
		.amdhsa_system_sgpr_workgroup_id_y 0
		.amdhsa_system_sgpr_workgroup_id_z 0
		.amdhsa_system_sgpr_workgroup_info 0
		.amdhsa_system_vgpr_workitem_id 0
		.amdhsa_next_free_vgpr 180
		.amdhsa_next_free_sgpr 29
		.amdhsa_reserve_vcc 1
		.amdhsa_float_round_mode_32 0
		.amdhsa_float_round_mode_16_64 0
		.amdhsa_float_denorm_mode_32 3
		.amdhsa_float_denorm_mode_16_64 3
		.amdhsa_dx10_clamp 1
		.amdhsa_ieee_mode 1
		.amdhsa_fp16_overflow 0
		.amdhsa_workgroup_processor_mode 1
		.amdhsa_memory_ordered 1
		.amdhsa_forward_progress 0
		.amdhsa_shared_vgpr_count 0
		.amdhsa_exception_fp_ieee_invalid_op 0
		.amdhsa_exception_fp_denorm_src 0
		.amdhsa_exception_fp_ieee_div_zero 0
		.amdhsa_exception_fp_ieee_overflow 0
		.amdhsa_exception_fp_ieee_underflow 0
		.amdhsa_exception_fp_ieee_inexact 0
		.amdhsa_exception_int_div_zero 0
	.end_amdhsa_kernel
	.section	.text._ZN9rocsolver6v33100L18trti2_kernel_smallILi63EdPKPdEEv13rocblas_fill_17rocblas_diagonal_T1_iil,"axG",@progbits,_ZN9rocsolver6v33100L18trti2_kernel_smallILi63EdPKPdEEv13rocblas_fill_17rocblas_diagonal_T1_iil,comdat
.Lfunc_end126:
	.size	_ZN9rocsolver6v33100L18trti2_kernel_smallILi63EdPKPdEEv13rocblas_fill_17rocblas_diagonal_T1_iil, .Lfunc_end126-_ZN9rocsolver6v33100L18trti2_kernel_smallILi63EdPKPdEEv13rocblas_fill_17rocblas_diagonal_T1_iil
                                        ; -- End function
	.section	.AMDGPU.csdata,"",@progbits
; Kernel info:
; codeLenInByte = 34632
; NumSgprs: 31
; NumVgprs: 180
; ScratchSize: 512
; MemoryBound: 0
; FloatMode: 240
; IeeeMode: 1
; LDSByteSize: 1016 bytes/workgroup (compile time only)
; SGPRBlocks: 3
; VGPRBlocks: 22
; NumSGPRsForWavesPerEU: 31
; NumVGPRsForWavesPerEU: 180
; Occupancy: 8
; WaveLimiterHint : 1
; COMPUTE_PGM_RSRC2:SCRATCH_EN: 1
; COMPUTE_PGM_RSRC2:USER_SGPR: 15
; COMPUTE_PGM_RSRC2:TRAP_HANDLER: 0
; COMPUTE_PGM_RSRC2:TGID_X_EN: 1
; COMPUTE_PGM_RSRC2:TGID_Y_EN: 0
; COMPUTE_PGM_RSRC2:TGID_Z_EN: 0
; COMPUTE_PGM_RSRC2:TIDIG_COMP_CNT: 0
	.section	.text._ZN9rocsolver6v33100L18trti2_kernel_smallILi64EdPKPdEEv13rocblas_fill_17rocblas_diagonal_T1_iil,"axG",@progbits,_ZN9rocsolver6v33100L18trti2_kernel_smallILi64EdPKPdEEv13rocblas_fill_17rocblas_diagonal_T1_iil,comdat
	.globl	_ZN9rocsolver6v33100L18trti2_kernel_smallILi64EdPKPdEEv13rocblas_fill_17rocblas_diagonal_T1_iil ; -- Begin function _ZN9rocsolver6v33100L18trti2_kernel_smallILi64EdPKPdEEv13rocblas_fill_17rocblas_diagonal_T1_iil
	.p2align	8
	.type	_ZN9rocsolver6v33100L18trti2_kernel_smallILi64EdPKPdEEv13rocblas_fill_17rocblas_diagonal_T1_iil,@function
_ZN9rocsolver6v33100L18trti2_kernel_smallILi64EdPKPdEEv13rocblas_fill_17rocblas_diagonal_T1_iil: ; @_ZN9rocsolver6v33100L18trti2_kernel_smallILi64EdPKPdEEv13rocblas_fill_17rocblas_diagonal_T1_iil
; %bb.0:
	s_mov_b32 s2, exec_lo
	v_cmpx_gt_u32_e32 64, v0
	s_cbranch_execz .LBB127_1256
; %bb.1:
	s_clause 0x1
	s_load_b64 s[4:5], s[0:1], 0x10
	s_load_b128 s[0:3], s[0:1], 0x0
	s_mov_b32 s6, s15
	s_ashr_i32 s7, s15, 31
	v_lshlrev_b32_e32 v131, 3, v0
	s_lshl_b64 s[8:9], s[6:7], 3
	s_waitcnt lgkmcnt(0)
	s_ashr_i32 s7, s4, 31
	s_add_u32 s2, s2, s8
	s_addc_u32 s3, s3, s9
	v_add3_u32 v1, s5, s5, v0
	s_load_b64 s[2:3], s[2:3], 0x0
	s_mov_b32 s6, s4
	s_mov_b32 s8, s5
	s_lshl_b64 s[6:7], s[6:7], 3
	v_add_nc_u32_e32 v3, s5, v1
	v_ashrrev_i32_e32 v2, 31, v1
	s_delay_alu instid0(VALU_DEP_2) | instskip(SKIP_1) | instid1(VALU_DEP_3)
	v_add_nc_u32_e32 v5, s5, v3
	v_ashrrev_i32_e32 v4, 31, v3
	v_lshlrev_b64 v[1:2], 3, v[1:2]
	s_delay_alu instid0(VALU_DEP_3) | instskip(NEXT) | instid1(VALU_DEP_3)
	v_add_nc_u32_e32 v7, s5, v5
	v_lshlrev_b64 v[3:4], 3, v[3:4]
	v_ashrrev_i32_e32 v6, 31, v5
	s_delay_alu instid0(VALU_DEP_3)
	v_ashrrev_i32_e32 v8, 31, v7
	s_waitcnt lgkmcnt(0)
	s_add_u32 s2, s2, s6
	s_addc_u32 s3, s3, s7
	v_add_co_u32 v39, s4, s2, v131
	s_ashr_i32 s9, s5, 31
	v_add_co_ci_u32_e64 v40, null, s3, 0, s4
	s_lshl_b64 s[6:7], s[8:9], 3
	v_add_nc_u32_e32 v9, s5, v7
	v_add_co_u32 v25, vcc_lo, v39, s6
	s_delay_alu instid0(VALU_DEP_3)
	v_add_co_ci_u32_e32 v26, vcc_lo, s7, v40, vcc_lo
	v_add_co_u32 v35, vcc_lo, s2, v1
	v_add_co_ci_u32_e32 v36, vcc_lo, s3, v2, vcc_lo
	v_lshlrev_b64 v[1:2], 3, v[7:8]
	s_clause 0x1
	global_load_b64 v[59:60], v131, s[2:3]
	global_load_b64 v[61:62], v[25:26], off
	v_add_co_u32 v19, vcc_lo, s2, v3
	v_lshlrev_b64 v[5:6], 3, v[5:6]
	v_add_nc_u32_e32 v11, s5, v9
	v_add_co_ci_u32_e32 v20, vcc_lo, s3, v4, vcc_lo
	v_ashrrev_i32_e32 v10, 31, v9
	v_add_co_u32 v3, vcc_lo, s2, v1
	v_add_co_ci_u32_e32 v4, vcc_lo, s3, v2, vcc_lo
	s_clause 0x1
	global_load_b64 v[63:64], v[35:36], off
	global_load_b64 v[65:66], v[19:20], off
	v_add_co_u32 v27, vcc_lo, s2, v5
	v_ashrrev_i32_e32 v12, 31, v11
	v_add_co_ci_u32_e32 v28, vcc_lo, s3, v6, vcc_lo
	v_lshlrev_b64 v[1:2], 3, v[9:10]
	v_add_nc_u32_e32 v13, s5, v11
	s_delay_alu instid0(VALU_DEP_4)
	v_lshlrev_b64 v[5:6], 3, v[11:12]
	s_clause 0x1
	global_load_b64 v[69:70], v[3:4], off
	global_load_b64 v[67:68], v[27:28], off
	s_cmpk_lg_i32 s1, 0x84
	v_add_co_u32 v15, vcc_lo, s2, v1
	v_add_nc_u32_e32 v17, s5, v13
	v_add_co_ci_u32_e32 v16, vcc_lo, s3, v2, vcc_lo
	v_add_co_u32 v5, vcc_lo, s2, v5
	v_ashrrev_i32_e32 v14, 31, v13
	v_add_co_ci_u32_e32 v6, vcc_lo, s3, v6, vcc_lo
	v_ashrrev_i32_e32 v18, 31, v17
	s_clause 0x1
	global_load_b64 v[71:72], v[15:16], off
	global_load_b64 v[73:74], v[5:6], off
	v_lshlrev_b64 v[1:2], 3, v[13:14]
	v_add_nc_u32_e32 v21, s5, v17
	v_lshlrev_b64 v[10:11], 3, v[17:18]
	s_delay_alu instid0(VALU_DEP_3) | instskip(NEXT) | instid1(VALU_DEP_4)
	v_add_co_u32 v7, vcc_lo, s2, v1
	v_add_co_ci_u32_e32 v8, vcc_lo, s3, v2, vcc_lo
	s_delay_alu instid0(VALU_DEP_3) | instskip(NEXT) | instid1(VALU_DEP_4)
	v_add_co_u32 v1, vcc_lo, s2, v10
	v_add_co_ci_u32_e32 v2, vcc_lo, s3, v11, vcc_lo
	s_clause 0x1
	global_load_b64 v[75:76], v[7:8], off
	global_load_b64 v[77:78], v[1:2], off
	v_add_nc_u32_e32 v23, s5, v21
	v_ashrrev_i32_e32 v22, 31, v21
	s_delay_alu instid0(VALU_DEP_2) | instskip(SKIP_1) | instid1(VALU_DEP_3)
	v_add_nc_u32_e32 v29, s5, v23
	v_ashrrev_i32_e32 v24, 31, v23
	v_lshlrev_b64 v[10:11], 3, v[21:22]
	s_delay_alu instid0(VALU_DEP_3) | instskip(NEXT) | instid1(VALU_DEP_3)
	v_add_nc_u32_e32 v31, s5, v29
	v_lshlrev_b64 v[12:13], 3, v[23:24]
	v_ashrrev_i32_e32 v30, 31, v29
	s_delay_alu instid0(VALU_DEP_4) | instskip(NEXT) | instid1(VALU_DEP_4)
	v_add_co_u32 v41, vcc_lo, s2, v10
	v_add_nc_u32_e32 v33, s5, v31
	v_ashrrev_i32_e32 v32, 31, v31
	v_add_co_ci_u32_e32 v42, vcc_lo, s3, v11, vcc_lo
	v_lshlrev_b64 v[10:11], 3, v[29:30]
	s_delay_alu instid0(VALU_DEP_4) | instskip(SKIP_2) | instid1(VALU_DEP_3)
	v_add_nc_u32_e32 v43, s5, v33
	v_add_co_u32 v37, vcc_lo, s2, v12
	v_add_co_ci_u32_e32 v38, vcc_lo, s3, v13, vcc_lo
	v_add_nc_u32_e32 v45, s5, v43
	v_lshlrev_b64 v[12:13], 3, v[31:32]
	v_ashrrev_i32_e32 v34, 31, v33
	v_add_co_u32 v31, vcc_lo, s2, v10
	s_delay_alu instid0(VALU_DEP_4) | instskip(SKIP_3) | instid1(VALU_DEP_4)
	v_add_nc_u32_e32 v9, s5, v45
	v_ashrrev_i32_e32 v44, 31, v43
	v_add_co_ci_u32_e32 v32, vcc_lo, s3, v11, vcc_lo
	v_lshlrev_b64 v[10:11], 3, v[33:34]
	v_add_nc_u32_e32 v47, s5, v9
	v_add_co_u32 v29, vcc_lo, s2, v12
	v_ashrrev_i32_e32 v46, 31, v45
	v_add_co_ci_u32_e32 v30, vcc_lo, s3, v13, vcc_lo
	s_delay_alu instid0(VALU_DEP_4) | instskip(SKIP_3) | instid1(VALU_DEP_4)
	v_add_nc_u32_e32 v49, s5, v47
	v_lshlrev_b64 v[12:13], 3, v[43:44]
	v_add_co_u32 v17, vcc_lo, s2, v10
	v_lshlrev_b64 v[23:24], 3, v[45:46]
	v_add_nc_u32_e32 v51, s5, v49
	v_ashrrev_i32_e32 v10, 31, v9
	v_add_co_ci_u32_e32 v18, vcc_lo, s3, v11, vcc_lo
	v_add_co_u32 v21, vcc_lo, s2, v12
	s_delay_alu instid0(VALU_DEP_4) | instskip(SKIP_3) | instid1(VALU_DEP_4)
	v_add_nc_u32_e32 v53, s5, v51
	v_ashrrev_i32_e32 v48, 31, v47
	v_add_co_ci_u32_e32 v22, vcc_lo, s3, v13, vcc_lo
	v_lshlrev_b64 v[9:10], 3, v[9:10]
	v_add_nc_u32_e32 v55, s5, v53
	v_add_co_u32 v11, vcc_lo, s2, v23
	v_ashrrev_i32_e32 v50, 31, v49
	v_add_co_ci_u32_e32 v12, vcc_lo, s3, v24, vcc_lo
	s_delay_alu instid0(VALU_DEP_4) | instskip(SKIP_3) | instid1(VALU_DEP_4)
	v_add_nc_u32_e32 v57, s5, v55
	v_lshlrev_b64 v[23:24], 3, v[47:48]
	v_ashrrev_i32_e32 v52, 31, v51
	v_add_co_u32 v13, vcc_lo, s2, v9
	v_add_nc_u32_e32 v83, s5, v57
	v_lshlrev_b64 v[33:34], 3, v[49:50]
	v_ashrrev_i32_e32 v54, 31, v53
	v_add_co_ci_u32_e32 v14, vcc_lo, s3, v10, vcc_lo
	s_delay_alu instid0(VALU_DEP_4)
	v_add_nc_u32_e32 v103, s5, v83
	s_clause 0x2
	global_load_b64 v[79:80], v[41:42], off
	global_load_b64 v[81:82], v[37:38], off
	;; [unrolled: 1-line block ×3, first 2 shown]
	v_add_co_u32 v9, vcc_lo, s2, v23
	v_lshlrev_b64 v[43:44], 3, v[51:52]
	v_add_nc_u32_e32 v109, s5, v103
	v_ashrrev_i32_e32 v56, 31, v55
	v_add_co_ci_u32_e32 v10, vcc_lo, s3, v24, vcc_lo
	v_add_co_u32 v23, vcc_lo, s2, v33
	s_delay_alu instid0(VALU_DEP_4) | instskip(SKIP_3) | instid1(VALU_DEP_4)
	v_add_nc_u32_e32 v111, s5, v109
	v_lshlrev_b64 v[45:46], 3, v[53:54]
	v_add_co_ci_u32_e32 v24, vcc_lo, s3, v34, vcc_lo
	v_add_co_u32 v33, vcc_lo, s2, v43
	v_add_nc_u32_e32 v113, s5, v111
	v_lshlrev_b64 v[47:48], 3, v[55:56]
	v_ashrrev_i32_e32 v58, 31, v57
	v_add_co_ci_u32_e32 v34, vcc_lo, s3, v44, vcc_lo
	s_delay_alu instid0(VALU_DEP_4) | instskip(SKIP_3) | instid1(VALU_DEP_4)
	v_add_nc_u32_e32 v117, s5, v113
	v_add_co_u32 v43, vcc_lo, s2, v45
	v_ashrrev_i32_e32 v84, 31, v83
	v_add_co_ci_u32_e32 v44, vcc_lo, s3, v46, vcc_lo
	v_add_nc_u32_e32 v119, s5, v117
	v_lshlrev_b64 v[49:50], 3, v[57:58]
	s_clause 0x3
	global_load_b64 v[87:88], v[29:30], off
	global_load_b64 v[89:90], v[17:18], off
	;; [unrolled: 1-line block ×4, first 2 shown]
	v_add_co_u32 v45, vcc_lo, s2, v47
	v_add_nc_u32_e32 v121, s5, v119
	v_add_co_ci_u32_e32 v46, vcc_lo, s3, v48, vcc_lo
	v_lshlrev_b64 v[47:48], 3, v[83:84]
	v_add_co_u32 v49, vcc_lo, s2, v49
	s_delay_alu instid0(VALU_DEP_4) | instskip(SKIP_3) | instid1(VALU_DEP_4)
	v_add_nc_u32_e32 v123, s5, v121
	v_ashrrev_i32_e32 v104, 31, v103
	v_add_co_ci_u32_e32 v50, vcc_lo, s3, v50, vcc_lo
	v_add_co_u32 v51, vcc_lo, s2, v47
	v_add_nc_u32_e32 v125, s5, v123
	v_ashrrev_i32_e32 v110, 31, v109
	s_clause 0x3
	global_load_b64 v[95:96], v[13:14], off
	global_load_b64 v[97:98], v[9:10], off
	;; [unrolled: 1-line block ×4, first 2 shown]
	v_lshlrev_b64 v[53:54], 3, v[103:104]
	v_add_co_ci_u32_e32 v52, vcc_lo, s3, v48, vcc_lo
	v_add_nc_u32_e32 v129, s5, v125
	v_lshlrev_b64 v[55:56], 3, v[109:110]
	v_ashrrev_i32_e32 v112, 31, v111
	v_add_co_u32 v53, vcc_lo, s2, v53
	s_delay_alu instid0(VALU_DEP_4) | instskip(SKIP_3) | instid1(VALU_DEP_4)
	v_add_nc_u32_e32 v132, s5, v129
	v_ashrrev_i32_e32 v114, 31, v113
	v_add_co_ci_u32_e32 v54, vcc_lo, s3, v54, vcc_lo
	v_lshlrev_b64 v[57:58], 3, v[111:112]
	v_add_nc_u32_e32 v140, s5, v132
	v_add_co_u32 v55, vcc_lo, s2, v55
	s_clause 0x2
	global_load_b64 v[103:104], v[43:44], off
	global_load_b64 v[105:106], v[45:46], off
	global_load_b64 v[107:108], v[49:50], off
	v_add_co_ci_u32_e32 v56, vcc_lo, s3, v56, vcc_lo
	v_add_nc_u32_e32 v142, s5, v140
	v_lshlrev_b64 v[83:84], 3, v[113:114]
	v_ashrrev_i32_e32 v118, 31, v117
	v_ashrrev_i32_e32 v120, 31, v119
	;; [unrolled: 1-line block ×3, first 2 shown]
	v_add_nc_u32_e32 v144, s5, v142
	global_load_b64 v[109:110], v[51:52], off
	v_ashrrev_i32_e32 v124, 31, v123
	v_ashrrev_i32_e32 v126, 31, v125
	;; [unrolled: 1-line block ×3, first 2 shown]
	v_add_nc_u32_e32 v146, s5, v144
	v_ashrrev_i32_e32 v133, 31, v132
	v_ashrrev_i32_e32 v141, 31, v140
	;; [unrolled: 1-line block ×4, first 2 shown]
	v_add_nc_u32_e32 v148, s5, v146
	v_ashrrev_i32_e32 v147, 31, v146
	s_delay_alu instid0(VALU_DEP_2) | instskip(SKIP_1) | instid1(VALU_DEP_2)
	v_add_nc_u32_e32 v150, s5, v148
	v_ashrrev_i32_e32 v149, 31, v148
	v_add_nc_u32_e32 v152, s5, v150
	v_ashrrev_i32_e32 v151, 31, v150
	s_delay_alu instid0(VALU_DEP_2) | instskip(SKIP_1) | instid1(VALU_DEP_2)
	v_add_nc_u32_e32 v154, s5, v152
	v_ashrrev_i32_e32 v153, 31, v152
	;; [unrolled: 5-line block ×11, first 2 shown]
	v_add_nc_u32_e32 v192, s5, v190
	s_waitcnt vmcnt(23)
	scratch_store_b128 off, v[59:62], off
	v_lshlrev_b64 v[61:62], 3, v[117:118]
	v_ashrrev_i32_e32 v191, 31, v190
	v_add_nc_u32_e32 v47, s5, v192
	v_ashrrev_i32_e32 v193, 31, v192
	s_delay_alu instid0(VALU_DEP_2) | instskip(NEXT) | instid1(VALU_DEP_1)
	v_ashrrev_i32_e32 v48, 31, v47
	v_lshlrev_b64 v[47:48], 3, v[47:48]
	s_delay_alu instid0(VALU_DEP_1) | instskip(NEXT) | instid1(VALU_DEP_2)
	v_add_co_u32 v47, vcc_lo, s2, v47
	v_add_co_ci_u32_e32 v48, vcc_lo, s3, v48, vcc_lo
	v_add_co_u32 v57, vcc_lo, s2, v57
	v_add_co_ci_u32_e32 v58, vcc_lo, s3, v58, vcc_lo
	global_load_b64 v[134:135], v[47:48], off
	v_add_co_u32 v59, vcc_lo, s2, v83
	v_add_co_ci_u32_e32 v60, vcc_lo, s3, v84, vcc_lo
	v_lshlrev_b64 v[83:84], 3, v[119:120]
	s_clause 0x2
	global_load_b64 v[111:112], v[53:54], off
	global_load_b64 v[113:114], v[55:56], off
	;; [unrolled: 1-line block ×3, first 2 shown]
	v_add_co_u32 v61, vcc_lo, s2, v61
	s_waitcnt vmcnt(25)
	scratch_store_b128 off, v[63:66], off offset:16
	s_waitcnt vmcnt(23)
	scratch_store_b128 off, v[67:70], off offset:32
	v_lshlrev_b64 v[65:66], 3, v[121:122]
	v_add_co_ci_u32_e32 v62, vcc_lo, s3, v62, vcc_lo
	v_add_co_u32 v63, vcc_lo, s2, v83
	v_add_co_ci_u32_e32 v64, vcc_lo, s3, v84, vcc_lo
	v_lshlrev_b64 v[83:84], 3, v[123:124]
	v_add_co_u32 v65, vcc_lo, s2, v65
	v_lshlrev_b64 v[69:70], 3, v[125:126]
	v_add_co_ci_u32_e32 v66, vcc_lo, s3, v66, vcc_lo
	s_delay_alu instid0(VALU_DEP_4)
	v_add_co_u32 v67, vcc_lo, s2, v83
	s_clause 0x3
	global_load_b64 v[117:118], v[59:60], off
	global_load_b64 v[119:120], v[61:62], off
	;; [unrolled: 1-line block ×4, first 2 shown]
	v_add_co_ci_u32_e32 v68, vcc_lo, s3, v84, vcc_lo
	v_add_co_u32 v69, vcc_lo, s2, v69
	v_add_co_ci_u32_e32 v70, vcc_lo, s3, v70, vcc_lo
	s_waitcnt vmcnt(25)
	scratch_store_b128 off, v[71:74], off offset:48
	v_lshlrev_b64 v[71:72], 3, v[129:130]
	s_clause 0x1
	global_load_b64 v[125:126], v[67:68], off
	global_load_b64 v[127:128], v[69:70], off
	v_lshlrev_b64 v[73:74], 3, v[132:133]
	s_waitcnt vmcnt(25)
	scratch_store_b128 off, v[75:78], off offset:64
	v_lshlrev_b64 v[75:76], 3, v[140:141]
	v_lshlrev_b64 v[77:78], 3, v[142:143]
	v_add_co_u32 v71, vcc_lo, s2, v71
	v_add_co_ci_u32_e32 v72, vcc_lo, s3, v72, vcc_lo
	v_add_co_u32 v73, vcc_lo, s2, v73
	v_add_co_ci_u32_e32 v74, vcc_lo, s3, v74, vcc_lo
	s_clause 0x1
	global_load_b64 v[136:137], v[71:72], off
	global_load_b64 v[138:139], v[73:74], off
	v_add_co_u32 v75, vcc_lo, s2, v75
	v_lshlrev_b64 v[83:84], 3, v[144:145]
	v_add_co_ci_u32_e32 v76, vcc_lo, s3, v76, vcc_lo
	v_add_co_u32 v77, vcc_lo, s2, v77
	v_add_co_ci_u32_e32 v78, vcc_lo, s3, v78, vcc_lo
	v_lshlrev_b64 v[129:130], 3, v[150:151]
	v_lshlrev_b64 v[132:133], 3, v[152:153]
	global_load_b64 v[140:141], v[75:76], off
	s_waitcnt vmcnt(26)
	scratch_store_b128 off, v[79:82], off offset:80
	v_lshlrev_b64 v[81:82], 3, v[146:147]
	v_add_co_u32 v79, vcc_lo, s2, v83
	v_add_co_ci_u32_e32 v80, vcc_lo, s3, v84, vcc_lo
	v_lshlrev_b64 v[83:84], 3, v[148:149]
	s_delay_alu instid0(VALU_DEP_4)
	v_add_co_u32 v81, vcc_lo, s2, v81
	v_add_co_ci_u32_e32 v82, vcc_lo, s3, v82, vcc_lo
	s_waitcnt vmcnt(24)
	scratch_store_b128 off, v[85:88], off offset:96
	s_waitcnt vmcnt(22)
	scratch_store_b128 off, v[89:92], off offset:112
	v_add_co_u32 v83, vcc_lo, s2, v83
	v_add_co_ci_u32_e32 v84, vcc_lo, s3, v84, vcc_lo
	v_add_co_u32 v85, vcc_lo, s2, v129
	v_lshlrev_b64 v[89:90], 3, v[154:155]
	v_add_co_ci_u32_e32 v86, vcc_lo, s3, v130, vcc_lo
	v_add_co_u32 v87, vcc_lo, s2, v132
	v_lshlrev_b64 v[91:92], 3, v[156:157]
	;; [unrolled: 3-line block ×4, first 2 shown]
	v_add_co_ci_u32_e32 v92, vcc_lo, s3, v92, vcc_lo
	s_clause 0x3
	global_load_b64 v[142:143], v[77:78], off
	global_load_b64 v[144:145], v[79:80], off
	global_load_b64 v[146:147], v[81:82], off
	global_load_b64 v[148:149], v[83:84], off
	s_waitcnt vmcnt(24)
	scratch_store_b128 off, v[93:96], off offset:128
	s_waitcnt vmcnt(22)
	scratch_store_b128 off, v[97:100], off offset:144
	v_add_co_u32 v93, vcc_lo, s2, v129
	v_lshlrev_b64 v[97:98], 3, v[162:163]
	v_add_co_ci_u32_e32 v94, vcc_lo, s3, v130, vcc_lo
	v_add_co_u32 v95, vcc_lo, s2, v132
	v_lshlrev_b64 v[99:100], 3, v[164:165]
	v_add_co_ci_u32_e32 v96, vcc_lo, s3, v133, vcc_lo
	v_add_co_u32 v97, vcc_lo, s2, v97
	v_lshlrev_b64 v[129:130], 3, v[166:167]
	v_add_co_ci_u32_e32 v98, vcc_lo, s3, v98, vcc_lo
	v_add_co_u32 v99, vcc_lo, s2, v99
	v_lshlrev_b64 v[132:133], 3, v[168:169]
	v_add_co_ci_u32_e32 v100, vcc_lo, s3, v100, vcc_lo
	s_clause 0x3
	global_load_b64 v[150:151], v[85:86], off
	global_load_b64 v[152:153], v[87:88], off
	global_load_b64 v[154:155], v[89:90], off
	global_load_b64 v[156:157], v[91:92], off
	s_waitcnt vmcnt(24)
	scratch_store_b128 off, v[101:104], off offset:160
	s_waitcnt vmcnt(22)
	scratch_store_b128 off, v[105:108], off offset:176
	v_add_co_u32 v101, vcc_lo, s2, v129
	v_lshlrev_b64 v[105:106], 3, v[170:171]
	v_add_co_ci_u32_e32 v102, vcc_lo, s3, v130, vcc_lo
	v_add_co_u32 v103, vcc_lo, s2, v132
	v_lshlrev_b64 v[107:108], 3, v[172:173]
	v_add_co_ci_u32_e32 v104, vcc_lo, s3, v133, vcc_lo
	v_add_co_u32 v105, vcc_lo, s2, v105
	v_lshlrev_b64 v[129:130], 3, v[174:175]
	v_add_co_ci_u32_e32 v106, vcc_lo, s3, v106, vcc_lo
	v_add_co_u32 v107, vcc_lo, s2, v107
	v_lshlrev_b64 v[132:133], 3, v[176:177]
	v_add_co_ci_u32_e32 v108, vcc_lo, s3, v108, vcc_lo
	s_clause 0x3
	global_load_b64 v[158:159], v[93:94], off
	global_load_b64 v[160:161], v[95:96], off
	global_load_b64 v[162:163], v[97:98], off
	global_load_b64 v[164:165], v[99:100], off
	s_waitcnt vmcnt(23)
	scratch_store_b128 off, v[109:112], off offset:192
	s_waitcnt vmcnt(21)
	scratch_store_b128 off, v[113:116], off offset:208
	v_add_co_u32 v109, vcc_lo, s2, v129
	v_lshlrev_b64 v[113:114], 3, v[178:179]
	v_add_co_ci_u32_e32 v110, vcc_lo, s3, v130, vcc_lo
	v_add_co_u32 v111, vcc_lo, s2, v132
	v_lshlrev_b64 v[115:116], 3, v[180:181]
	v_add_co_ci_u32_e32 v112, vcc_lo, s3, v133, vcc_lo
	v_add_co_u32 v113, vcc_lo, s2, v113
	v_lshlrev_b64 v[129:130], 3, v[182:183]
	v_add_co_ci_u32_e32 v114, vcc_lo, s3, v114, vcc_lo
	v_add_co_u32 v115, vcc_lo, s2, v115
	v_lshlrev_b64 v[132:133], 3, v[184:185]
	v_add_co_ci_u32_e32 v116, vcc_lo, s3, v116, vcc_lo
	s_clause 0x3
	global_load_b64 v[166:167], v[101:102], off
	global_load_b64 v[168:169], v[103:104], off
	;; [unrolled: 1-line block ×4, first 2 shown]
	s_waitcnt vmcnt(23)
	scratch_store_b128 off, v[117:120], off offset:224
	s_waitcnt vmcnt(21)
	scratch_store_b128 off, v[121:124], off offset:240
	v_add_co_u32 v117, vcc_lo, s2, v129
	v_lshlrev_b64 v[121:122], 3, v[186:187]
	v_add_co_ci_u32_e32 v118, vcc_lo, s3, v130, vcc_lo
	v_add_co_u32 v119, vcc_lo, s2, v132
	v_lshlrev_b64 v[123:124], 3, v[188:189]
	v_add_co_ci_u32_e32 v120, vcc_lo, s3, v133, vcc_lo
	v_add_co_u32 v121, vcc_lo, s2, v121
	s_clause 0x3
	global_load_b64 v[174:175], v[109:110], off
	global_load_b64 v[176:177], v[111:112], off
	global_load_b64 v[178:179], v[113:114], off
	global_load_b64 v[180:181], v[115:116], off
	s_waitcnt vmcnt(23)
	scratch_store_b128 off, v[125:128], off offset:256
	v_add_co_ci_u32_e32 v122, vcc_lo, s3, v122, vcc_lo
	v_lshlrev_b64 v[127:128], 3, v[190:191]
	v_add_co_u32 v125, vcc_lo, s2, v123
	v_add_co_ci_u32_e32 v126, vcc_lo, s3, v124, vcc_lo
	v_lshlrev_b64 v[123:124], 3, v[192:193]
	s_delay_alu instid0(VALU_DEP_4)
	v_add_co_u32 v127, vcc_lo, s2, v127
	v_add_co_ci_u32_e32 v128, vcc_lo, s3, v128, vcc_lo
	s_clause 0x2
	global_load_b64 v[182:183], v[117:118], off
	global_load_b64 v[184:185], v[119:120], off
	;; [unrolled: 1-line block ×3, first 2 shown]
	v_add_co_u32 v123, vcc_lo, s2, v123
	v_add_co_ci_u32_e32 v124, vcc_lo, s3, v124, vcc_lo
	s_waitcnt vmcnt(24)
	scratch_store_b128 off, v[136:139], off offset:272
	s_clause 0x2
	global_load_b64 v[136:137], v[125:126], off
	global_load_b64 v[138:139], v[127:128], off
	;; [unrolled: 1-line block ×3, first 2 shown]
	v_mov_b32_e32 v129, 0
	v_mov_b32_e32 v130, 0xbff00000
	s_cselect_b32 s2, -1, 0
	s_cmpk_eq_i32 s1, 0x84
	s_waitcnt vmcnt(25)
	scratch_store_b128 off, v[140:143], off offset:288
	s_waitcnt vmcnt(23)
	scratch_store_b128 off, v[144:147], off offset:304
	;; [unrolled: 2-line block ×14, first 2 shown]
	s_cbranch_scc1 .LBB127_3
; %bb.2:
	scratch_load_b64 v[129:130], v131, off
	s_waitcnt vmcnt(0)
	v_div_scale_f64 v[132:133], null, v[129:130], v[129:130], 1.0
	v_div_scale_f64 v[138:139], vcc_lo, 1.0, v[129:130], 1.0
	s_delay_alu instid0(VALU_DEP_2) | instskip(SKIP_2) | instid1(VALU_DEP_1)
	v_rcp_f64_e32 v[134:135], v[132:133]
	s_waitcnt_depctr 0xfff
	v_fma_f64 v[136:137], -v[132:133], v[134:135], 1.0
	v_fma_f64 v[134:135], v[134:135], v[136:137], v[134:135]
	s_delay_alu instid0(VALU_DEP_1) | instskip(NEXT) | instid1(VALU_DEP_1)
	v_fma_f64 v[136:137], -v[132:133], v[134:135], 1.0
	v_fma_f64 v[134:135], v[134:135], v[136:137], v[134:135]
	s_delay_alu instid0(VALU_DEP_1) | instskip(NEXT) | instid1(VALU_DEP_1)
	v_mul_f64 v[136:137], v[138:139], v[134:135]
	v_fma_f64 v[132:133], -v[132:133], v[136:137], v[138:139]
	s_delay_alu instid0(VALU_DEP_1) | instskip(NEXT) | instid1(VALU_DEP_1)
	v_div_fmas_f64 v[132:133], v[132:133], v[134:135], v[136:137]
	v_div_fixup_f64 v[129:130], v[132:133], v[129:130], 1.0
	scratch_store_b64 v131, v[129:130], off
	v_xor_b32_e32 v130, 0x80000000, v130
.LBB127_3:
	v_or_b32_e32 v132, 0x200, v131
	v_add_nc_u32_e32 v133, 0, v131
	s_cmpk_eq_i32 s0, 0x79
	s_mov_b32 s0, -1
	ds_store_b64 v131, v[129:130]
	s_cbranch_scc1 .LBB127_629
; %bb.4:
	scratch_load_b64 v[129:130], off, off offset:496
	v_cmp_eq_u32_e64 s0, 63, v0
	s_movk_i32 s1, 0x50
	s_movk_i32 s3, 0x60
	;; [unrolled: 1-line block ×26, first 2 shown]
	s_waitcnt vmcnt(0)
	ds_store_b64 v132, v[129:130]
	s_waitcnt lgkmcnt(0)
	s_waitcnt_vscnt null, 0x0
	s_barrier
	buffer_gl0_inv
	s_and_saveexec_b32 s28, s0
	s_cbranch_execz .LBB127_10
; %bb.5:
	s_and_b32 vcc_lo, exec_lo, s2
	s_cbranch_vccz .LBB127_7
; %bb.6:
	scratch_load_b64 v[129:130], v133, off
	ds_load_b64 v[134:135], v132
	s_waitcnt vmcnt(0) lgkmcnt(0)
	v_mul_f64 v[129:130], v[129:130], v[134:135]
	s_cbranch_execz .LBB127_8
	s_branch .LBB127_9
.LBB127_7:
                                        ; implicit-def: $vgpr129_vgpr130
.LBB127_8:
	ds_load_b64 v[129:130], v132
.LBB127_9:
	v_mov_b32_e32 v134, 0
	ds_load_b64 v[134:135], v134 offset:496
	s_waitcnt lgkmcnt(0)
	v_mul_f64 v[129:130], v[129:130], v[134:135]
	scratch_store_b64 off, v[129:130], off offset:496
.LBB127_10:
	s_or_b32 exec_lo, exec_lo, s28
	scratch_load_b64 v[129:130], off, off offset:488
	v_add_nc_u32_e64 v134, 0, 16
	v_add_nc_u32_e64 v135, 0, 32
	;; [unrolled: 1-line block ×30, first 2 shown]
	v_cmp_lt_u32_e64 s1, 61, v0
	s_waitcnt vmcnt(0)
	ds_store_b64 v132, v[129:130]
	s_waitcnt lgkmcnt(0)
	s_waitcnt_vscnt null, 0x0
	s_barrier
	buffer_gl0_inv
	s_and_saveexec_b32 s3, s1
	s_cbranch_execz .LBB127_18
; %bb.11:
	s_and_not1_b32 vcc_lo, exec_lo, s2
	s_cbranch_vccnz .LBB127_13
; %bb.12:
	scratch_load_b64 v[129:130], v133, off
	ds_load_b64 v[164:165], v132
	s_waitcnt vmcnt(0) lgkmcnt(0)
	v_mul_f64 v[129:130], v[129:130], v[164:165]
	s_cbranch_execz .LBB127_14
	s_branch .LBB127_15
.LBB127_13:
                                        ; implicit-def: $vgpr129_vgpr130
.LBB127_14:
	ds_load_b64 v[129:130], v132
.LBB127_15:
	s_and_saveexec_b32 s4, s0
	s_cbranch_execz .LBB127_17
; %bb.16:
	scratch_load_b64 v[164:165], off, off offset:496
	v_mov_b32_e32 v166, 0
	ds_load_b64 v[166:167], v166 offset:1008
	s_waitcnt vmcnt(0) lgkmcnt(0)
	v_fma_f64 v[129:130], v[164:165], v[166:167], v[129:130]
.LBB127_17:
	s_or_b32 exec_lo, exec_lo, s4
	v_mov_b32_e32 v164, 0
	ds_load_b64 v[164:165], v164 offset:488
	s_waitcnt lgkmcnt(0)
	v_mul_f64 v[129:130], v[129:130], v[164:165]
	scratch_store_b64 off, v[129:130], off offset:488
.LBB127_18:
	s_or_b32 exec_lo, exec_lo, s3
	scratch_load_b64 v[129:130], off, off offset:480
	v_cmp_lt_u32_e64 s0, 60, v0
	s_waitcnt vmcnt(0)
	ds_store_b64 v132, v[129:130]
	s_waitcnt lgkmcnt(0)
	s_waitcnt_vscnt null, 0x0
	s_barrier
	buffer_gl0_inv
	s_and_saveexec_b32 s3, s0
	s_cbranch_execz .LBB127_28
; %bb.19:
	s_and_not1_b32 vcc_lo, exec_lo, s2
	s_cbranch_vccnz .LBB127_21
; %bb.20:
	scratch_load_b64 v[129:130], v133, off
	ds_load_b64 v[164:165], v132
	s_waitcnt vmcnt(0) lgkmcnt(0)
	v_mul_f64 v[129:130], v[129:130], v[164:165]
	s_cbranch_execz .LBB127_22
	s_branch .LBB127_23
.LBB127_21:
                                        ; implicit-def: $vgpr129_vgpr130
.LBB127_22:
	ds_load_b64 v[129:130], v132
.LBB127_23:
	s_and_saveexec_b32 s4, s1
	s_cbranch_execz .LBB127_27
; %bb.24:
	v_mov_b32_e32 v164, 0
	v_subrev_nc_u32_e32 v165, 61, v0
	s_movk_i32 s5, 0x3e8
	s_mov_b32 s1, 0
	s_delay_alu instid0(VALU_DEP_2)
	v_add_nc_u32_e32 v164, 0x1e8, v164
.LBB127_25:                             ; =>This Inner Loop Header: Depth=1
	scratch_load_b64 v[166:167], v164, off
	v_dual_mov_b32 v168, s5 :: v_dual_add_nc_u32 v165, -1, v165
	v_add_nc_u32_e32 v164, 8, v164
	s_add_i32 s5, s5, 8
	ds_load_b64 v[168:169], v168
	v_cmp_eq_u32_e32 vcc_lo, 0, v165
	s_or_b32 s1, vcc_lo, s1
	s_waitcnt vmcnt(0) lgkmcnt(0)
	v_fma_f64 v[129:130], v[166:167], v[168:169], v[129:130]
	s_and_not1_b32 exec_lo, exec_lo, s1
	s_cbranch_execnz .LBB127_25
; %bb.26:
	s_or_b32 exec_lo, exec_lo, s1
.LBB127_27:
	s_delay_alu instid0(SALU_CYCLE_1)
	s_or_b32 exec_lo, exec_lo, s4
	v_mov_b32_e32 v164, 0
	ds_load_b64 v[164:165], v164 offset:480
	s_waitcnt lgkmcnt(0)
	v_mul_f64 v[129:130], v[129:130], v[164:165]
	scratch_store_b64 off, v[129:130], off offset:480
.LBB127_28:
	s_or_b32 exec_lo, exec_lo, s3
	scratch_load_b64 v[129:130], off, off offset:472
	v_cmp_lt_u32_e64 s1, 59, v0
	s_waitcnt vmcnt(0)
	ds_store_b64 v132, v[129:130]
	s_waitcnt lgkmcnt(0)
	s_waitcnt_vscnt null, 0x0
	s_barrier
	buffer_gl0_inv
	s_and_saveexec_b32 s3, s1
	s_cbranch_execz .LBB127_38
; %bb.29:
	s_and_not1_b32 vcc_lo, exec_lo, s2
	s_cbranch_vccnz .LBB127_31
; %bb.30:
	scratch_load_b64 v[129:130], v133, off
	ds_load_b64 v[164:165], v132
	s_waitcnt vmcnt(0) lgkmcnt(0)
	v_mul_f64 v[129:130], v[129:130], v[164:165]
	s_cbranch_execz .LBB127_32
	s_branch .LBB127_33
.LBB127_31:
                                        ; implicit-def: $vgpr129_vgpr130
.LBB127_32:
	ds_load_b64 v[129:130], v132
.LBB127_33:
	s_and_saveexec_b32 s4, s0
	s_cbranch_execz .LBB127_37
; %bb.34:
	v_subrev_nc_u32_e32 v164, 60, v0
	s_movk_i32 s5, 0x3e0
	s_mov_b32 s0, 0
.LBB127_35:                             ; =>This Inner Loop Header: Depth=1
	scratch_load_b64 v[165:166], v163, off
	v_dual_mov_b32 v167, s5 :: v_dual_add_nc_u32 v164, -1, v164
	v_add_nc_u32_e32 v163, 8, v163
	s_add_i32 s5, s5, 8
	ds_load_b64 v[167:168], v167
	v_cmp_eq_u32_e32 vcc_lo, 0, v164
	s_or_b32 s0, vcc_lo, s0
	s_waitcnt vmcnt(0) lgkmcnt(0)
	v_fma_f64 v[129:130], v[165:166], v[167:168], v[129:130]
	s_and_not1_b32 exec_lo, exec_lo, s0
	s_cbranch_execnz .LBB127_35
; %bb.36:
	s_or_b32 exec_lo, exec_lo, s0
.LBB127_37:
	s_delay_alu instid0(SALU_CYCLE_1)
	s_or_b32 exec_lo, exec_lo, s4
	v_mov_b32_e32 v163, 0
	ds_load_b64 v[163:164], v163 offset:472
	s_waitcnt lgkmcnt(0)
	v_mul_f64 v[129:130], v[129:130], v[163:164]
	scratch_store_b64 off, v[129:130], off offset:472
.LBB127_38:
	s_or_b32 exec_lo, exec_lo, s3
	scratch_load_b64 v[129:130], off, off offset:464
	v_cmp_lt_u32_e64 s0, 58, v0
	s_waitcnt vmcnt(0)
	ds_store_b64 v132, v[129:130]
	s_waitcnt lgkmcnt(0)
	s_waitcnt_vscnt null, 0x0
	s_barrier
	buffer_gl0_inv
	s_and_saveexec_b32 s3, s0
	s_cbranch_execz .LBB127_48
; %bb.39:
	s_and_not1_b32 vcc_lo, exec_lo, s2
	s_cbranch_vccnz .LBB127_41
; %bb.40:
	scratch_load_b64 v[129:130], v133, off
	ds_load_b64 v[163:164], v132
	s_waitcnt vmcnt(0) lgkmcnt(0)
	v_mul_f64 v[129:130], v[129:130], v[163:164]
	s_cbranch_execz .LBB127_42
	s_branch .LBB127_43
.LBB127_41:
                                        ; implicit-def: $vgpr129_vgpr130
.LBB127_42:
	ds_load_b64 v[129:130], v132
.LBB127_43:
	s_and_saveexec_b32 s4, s1
	s_cbranch_execz .LBB127_47
; %bb.44:
	v_mov_b32_e32 v163, 0
	v_subrev_nc_u32_e32 v164, 59, v0
	s_movk_i32 s5, 0x3d8
	s_mov_b32 s1, 0
	s_delay_alu instid0(VALU_DEP_2)
	v_add_nc_u32_e32 v163, 0x1d8, v163
.LBB127_45:                             ; =>This Inner Loop Header: Depth=1
	scratch_load_b64 v[165:166], v163, off
	v_dual_mov_b32 v167, s5 :: v_dual_add_nc_u32 v164, -1, v164
	v_add_nc_u32_e32 v163, 8, v163
	s_add_i32 s5, s5, 8
	ds_load_b64 v[167:168], v167
	v_cmp_eq_u32_e32 vcc_lo, 0, v164
	s_or_b32 s1, vcc_lo, s1
	s_waitcnt vmcnt(0) lgkmcnt(0)
	v_fma_f64 v[129:130], v[165:166], v[167:168], v[129:130]
	s_and_not1_b32 exec_lo, exec_lo, s1
	s_cbranch_execnz .LBB127_45
; %bb.46:
	s_or_b32 exec_lo, exec_lo, s1
.LBB127_47:
	s_delay_alu instid0(SALU_CYCLE_1)
	s_or_b32 exec_lo, exec_lo, s4
	v_mov_b32_e32 v163, 0
	ds_load_b64 v[163:164], v163 offset:464
	s_waitcnt lgkmcnt(0)
	v_mul_f64 v[129:130], v[129:130], v[163:164]
	scratch_store_b64 off, v[129:130], off offset:464
.LBB127_48:
	s_or_b32 exec_lo, exec_lo, s3
	scratch_load_b64 v[129:130], off, off offset:456
	v_cmp_lt_u32_e64 s1, 57, v0
	s_waitcnt vmcnt(0)
	ds_store_b64 v132, v[129:130]
	s_waitcnt lgkmcnt(0)
	s_waitcnt_vscnt null, 0x0
	s_barrier
	buffer_gl0_inv
	s_and_saveexec_b32 s3, s1
	s_cbranch_execz .LBB127_58
; %bb.49:
	s_and_not1_b32 vcc_lo, exec_lo, s2
	s_cbranch_vccnz .LBB127_51
; %bb.50:
	scratch_load_b64 v[129:130], v133, off
	ds_load_b64 v[163:164], v132
	s_waitcnt vmcnt(0) lgkmcnt(0)
	v_mul_f64 v[129:130], v[129:130], v[163:164]
	s_cbranch_execz .LBB127_52
	s_branch .LBB127_53
.LBB127_51:
                                        ; implicit-def: $vgpr129_vgpr130
.LBB127_52:
	ds_load_b64 v[129:130], v132
.LBB127_53:
	s_and_saveexec_b32 s4, s0
	s_cbranch_execz .LBB127_57
; %bb.54:
	v_subrev_nc_u32_e32 v163, 58, v0
	s_movk_i32 s5, 0x3d0
	s_mov_b32 s0, 0
.LBB127_55:                             ; =>This Inner Loop Header: Depth=1
	scratch_load_b64 v[164:165], v162, off
	v_dual_mov_b32 v166, s5 :: v_dual_add_nc_u32 v163, -1, v163
	v_add_nc_u32_e32 v162, 8, v162
	s_add_i32 s5, s5, 8
	ds_load_b64 v[166:167], v166
	v_cmp_eq_u32_e32 vcc_lo, 0, v163
	s_or_b32 s0, vcc_lo, s0
	s_waitcnt vmcnt(0) lgkmcnt(0)
	v_fma_f64 v[129:130], v[164:165], v[166:167], v[129:130]
	s_and_not1_b32 exec_lo, exec_lo, s0
	s_cbranch_execnz .LBB127_55
; %bb.56:
	s_or_b32 exec_lo, exec_lo, s0
.LBB127_57:
	s_delay_alu instid0(SALU_CYCLE_1)
	s_or_b32 exec_lo, exec_lo, s4
	v_mov_b32_e32 v162, 0
	ds_load_b64 v[162:163], v162 offset:456
	s_waitcnt lgkmcnt(0)
	v_mul_f64 v[129:130], v[129:130], v[162:163]
	scratch_store_b64 off, v[129:130], off offset:456
.LBB127_58:
	s_or_b32 exec_lo, exec_lo, s3
	scratch_load_b64 v[129:130], off, off offset:448
	v_cmp_lt_u32_e64 s0, 56, v0
	s_waitcnt vmcnt(0)
	ds_store_b64 v132, v[129:130]
	s_waitcnt lgkmcnt(0)
	s_waitcnt_vscnt null, 0x0
	s_barrier
	buffer_gl0_inv
	s_and_saveexec_b32 s3, s0
	s_cbranch_execz .LBB127_68
; %bb.59:
	s_and_not1_b32 vcc_lo, exec_lo, s2
	s_cbranch_vccnz .LBB127_61
; %bb.60:
	scratch_load_b64 v[129:130], v133, off
	ds_load_b64 v[162:163], v132
	s_waitcnt vmcnt(0) lgkmcnt(0)
	v_mul_f64 v[129:130], v[129:130], v[162:163]
	s_cbranch_execz .LBB127_62
	s_branch .LBB127_63
.LBB127_61:
                                        ; implicit-def: $vgpr129_vgpr130
.LBB127_62:
	ds_load_b64 v[129:130], v132
.LBB127_63:
	s_and_saveexec_b32 s4, s1
	s_cbranch_execz .LBB127_67
; %bb.64:
	v_mov_b32_e32 v162, 0
	v_subrev_nc_u32_e32 v163, 57, v0
	s_movk_i32 s5, 0x3c8
	s_mov_b32 s1, 0
	s_delay_alu instid0(VALU_DEP_2)
	v_add_nc_u32_e32 v162, 0x1c8, v162
.LBB127_65:                             ; =>This Inner Loop Header: Depth=1
	scratch_load_b64 v[164:165], v162, off
	v_dual_mov_b32 v166, s5 :: v_dual_add_nc_u32 v163, -1, v163
	v_add_nc_u32_e32 v162, 8, v162
	s_add_i32 s5, s5, 8
	ds_load_b64 v[166:167], v166
	v_cmp_eq_u32_e32 vcc_lo, 0, v163
	s_or_b32 s1, vcc_lo, s1
	s_waitcnt vmcnt(0) lgkmcnt(0)
	v_fma_f64 v[129:130], v[164:165], v[166:167], v[129:130]
	s_and_not1_b32 exec_lo, exec_lo, s1
	s_cbranch_execnz .LBB127_65
; %bb.66:
	s_or_b32 exec_lo, exec_lo, s1
.LBB127_67:
	s_delay_alu instid0(SALU_CYCLE_1)
	s_or_b32 exec_lo, exec_lo, s4
	v_mov_b32_e32 v162, 0
	ds_load_b64 v[162:163], v162 offset:448
	s_waitcnt lgkmcnt(0)
	v_mul_f64 v[129:130], v[129:130], v[162:163]
	scratch_store_b64 off, v[129:130], off offset:448
.LBB127_68:
	s_or_b32 exec_lo, exec_lo, s3
	scratch_load_b64 v[129:130], off, off offset:440
	v_cmp_lt_u32_e64 s1, 55, v0
	s_waitcnt vmcnt(0)
	ds_store_b64 v132, v[129:130]
	s_waitcnt lgkmcnt(0)
	s_waitcnt_vscnt null, 0x0
	s_barrier
	buffer_gl0_inv
	s_and_saveexec_b32 s3, s1
	s_cbranch_execz .LBB127_78
; %bb.69:
	s_and_not1_b32 vcc_lo, exec_lo, s2
	s_cbranch_vccnz .LBB127_71
; %bb.70:
	scratch_load_b64 v[129:130], v133, off
	ds_load_b64 v[162:163], v132
	s_waitcnt vmcnt(0) lgkmcnt(0)
	v_mul_f64 v[129:130], v[129:130], v[162:163]
	s_cbranch_execz .LBB127_72
	s_branch .LBB127_73
.LBB127_71:
                                        ; implicit-def: $vgpr129_vgpr130
.LBB127_72:
	ds_load_b64 v[129:130], v132
.LBB127_73:
	s_and_saveexec_b32 s4, s0
	s_cbranch_execz .LBB127_77
; %bb.74:
	v_subrev_nc_u32_e32 v162, 56, v0
	s_movk_i32 s5, 0x3c0
	s_mov_b32 s0, 0
.LBB127_75:                             ; =>This Inner Loop Header: Depth=1
	scratch_load_b64 v[163:164], v161, off
	v_dual_mov_b32 v165, s5 :: v_dual_add_nc_u32 v162, -1, v162
	v_add_nc_u32_e32 v161, 8, v161
	s_add_i32 s5, s5, 8
	ds_load_b64 v[165:166], v165
	v_cmp_eq_u32_e32 vcc_lo, 0, v162
	s_or_b32 s0, vcc_lo, s0
	s_waitcnt vmcnt(0) lgkmcnt(0)
	v_fma_f64 v[129:130], v[163:164], v[165:166], v[129:130]
	s_and_not1_b32 exec_lo, exec_lo, s0
	s_cbranch_execnz .LBB127_75
; %bb.76:
	s_or_b32 exec_lo, exec_lo, s0
.LBB127_77:
	s_delay_alu instid0(SALU_CYCLE_1)
	s_or_b32 exec_lo, exec_lo, s4
	v_mov_b32_e32 v161, 0
	ds_load_b64 v[161:162], v161 offset:440
	s_waitcnt lgkmcnt(0)
	v_mul_f64 v[129:130], v[129:130], v[161:162]
	scratch_store_b64 off, v[129:130], off offset:440
.LBB127_78:
	s_or_b32 exec_lo, exec_lo, s3
	scratch_load_b64 v[129:130], off, off offset:432
	v_cmp_lt_u32_e64 s0, 54, v0
	s_waitcnt vmcnt(0)
	ds_store_b64 v132, v[129:130]
	s_waitcnt lgkmcnt(0)
	s_waitcnt_vscnt null, 0x0
	s_barrier
	buffer_gl0_inv
	s_and_saveexec_b32 s3, s0
	s_cbranch_execz .LBB127_88
; %bb.79:
	s_and_not1_b32 vcc_lo, exec_lo, s2
	s_cbranch_vccnz .LBB127_81
; %bb.80:
	scratch_load_b64 v[129:130], v133, off
	ds_load_b64 v[161:162], v132
	s_waitcnt vmcnt(0) lgkmcnt(0)
	v_mul_f64 v[129:130], v[129:130], v[161:162]
	s_cbranch_execz .LBB127_82
	s_branch .LBB127_83
.LBB127_81:
                                        ; implicit-def: $vgpr129_vgpr130
.LBB127_82:
	ds_load_b64 v[129:130], v132
.LBB127_83:
	s_and_saveexec_b32 s4, s1
	s_cbranch_execz .LBB127_87
; %bb.84:
	v_mov_b32_e32 v161, 0
	v_subrev_nc_u32_e32 v162, 55, v0
	s_movk_i32 s5, 0x3b8
	s_mov_b32 s1, 0
	s_delay_alu instid0(VALU_DEP_2)
	v_add_nc_u32_e32 v161, 0x1b8, v161
.LBB127_85:                             ; =>This Inner Loop Header: Depth=1
	scratch_load_b64 v[163:164], v161, off
	v_dual_mov_b32 v165, s5 :: v_dual_add_nc_u32 v162, -1, v162
	v_add_nc_u32_e32 v161, 8, v161
	s_add_i32 s5, s5, 8
	ds_load_b64 v[165:166], v165
	v_cmp_eq_u32_e32 vcc_lo, 0, v162
	s_or_b32 s1, vcc_lo, s1
	s_waitcnt vmcnt(0) lgkmcnt(0)
	v_fma_f64 v[129:130], v[163:164], v[165:166], v[129:130]
	s_and_not1_b32 exec_lo, exec_lo, s1
	s_cbranch_execnz .LBB127_85
; %bb.86:
	s_or_b32 exec_lo, exec_lo, s1
.LBB127_87:
	s_delay_alu instid0(SALU_CYCLE_1)
	s_or_b32 exec_lo, exec_lo, s4
	v_mov_b32_e32 v161, 0
	ds_load_b64 v[161:162], v161 offset:432
	s_waitcnt lgkmcnt(0)
	v_mul_f64 v[129:130], v[129:130], v[161:162]
	scratch_store_b64 off, v[129:130], off offset:432
.LBB127_88:
	s_or_b32 exec_lo, exec_lo, s3
	scratch_load_b64 v[129:130], off, off offset:424
	v_cmp_lt_u32_e64 s1, 53, v0
	s_waitcnt vmcnt(0)
	ds_store_b64 v132, v[129:130]
	s_waitcnt lgkmcnt(0)
	s_waitcnt_vscnt null, 0x0
	s_barrier
	buffer_gl0_inv
	s_and_saveexec_b32 s3, s1
	s_cbranch_execz .LBB127_98
; %bb.89:
	s_and_not1_b32 vcc_lo, exec_lo, s2
	s_cbranch_vccnz .LBB127_91
; %bb.90:
	scratch_load_b64 v[129:130], v133, off
	ds_load_b64 v[161:162], v132
	s_waitcnt vmcnt(0) lgkmcnt(0)
	v_mul_f64 v[129:130], v[129:130], v[161:162]
	s_cbranch_execz .LBB127_92
	s_branch .LBB127_93
.LBB127_91:
                                        ; implicit-def: $vgpr129_vgpr130
.LBB127_92:
	ds_load_b64 v[129:130], v132
.LBB127_93:
	s_and_saveexec_b32 s4, s0
	s_cbranch_execz .LBB127_97
; %bb.94:
	v_subrev_nc_u32_e32 v161, 54, v0
	s_movk_i32 s5, 0x3b0
	s_mov_b32 s0, 0
.LBB127_95:                             ; =>This Inner Loop Header: Depth=1
	scratch_load_b64 v[162:163], v160, off
	v_dual_mov_b32 v164, s5 :: v_dual_add_nc_u32 v161, -1, v161
	v_add_nc_u32_e32 v160, 8, v160
	s_add_i32 s5, s5, 8
	ds_load_b64 v[164:165], v164
	v_cmp_eq_u32_e32 vcc_lo, 0, v161
	s_or_b32 s0, vcc_lo, s0
	s_waitcnt vmcnt(0) lgkmcnt(0)
	v_fma_f64 v[129:130], v[162:163], v[164:165], v[129:130]
	s_and_not1_b32 exec_lo, exec_lo, s0
	s_cbranch_execnz .LBB127_95
; %bb.96:
	s_or_b32 exec_lo, exec_lo, s0
.LBB127_97:
	s_delay_alu instid0(SALU_CYCLE_1)
	s_or_b32 exec_lo, exec_lo, s4
	v_mov_b32_e32 v160, 0
	ds_load_b64 v[160:161], v160 offset:424
	s_waitcnt lgkmcnt(0)
	v_mul_f64 v[129:130], v[129:130], v[160:161]
	scratch_store_b64 off, v[129:130], off offset:424
.LBB127_98:
	s_or_b32 exec_lo, exec_lo, s3
	scratch_load_b64 v[129:130], off, off offset:416
	v_cmp_lt_u32_e64 s0, 52, v0
	s_waitcnt vmcnt(0)
	ds_store_b64 v132, v[129:130]
	s_waitcnt lgkmcnt(0)
	s_waitcnt_vscnt null, 0x0
	s_barrier
	buffer_gl0_inv
	s_and_saveexec_b32 s3, s0
	s_cbranch_execz .LBB127_108
; %bb.99:
	s_and_not1_b32 vcc_lo, exec_lo, s2
	s_cbranch_vccnz .LBB127_101
; %bb.100:
	scratch_load_b64 v[129:130], v133, off
	ds_load_b64 v[160:161], v132
	s_waitcnt vmcnt(0) lgkmcnt(0)
	v_mul_f64 v[129:130], v[129:130], v[160:161]
	s_cbranch_execz .LBB127_102
	s_branch .LBB127_103
.LBB127_101:
                                        ; implicit-def: $vgpr129_vgpr130
.LBB127_102:
	ds_load_b64 v[129:130], v132
.LBB127_103:
	s_and_saveexec_b32 s4, s1
	s_cbranch_execz .LBB127_107
; %bb.104:
	v_mov_b32_e32 v160, 0
	v_subrev_nc_u32_e32 v161, 53, v0
	s_movk_i32 s5, 0x3a8
	s_mov_b32 s1, 0
	s_delay_alu instid0(VALU_DEP_2)
	v_add_nc_u32_e32 v160, 0x1a8, v160
.LBB127_105:                            ; =>This Inner Loop Header: Depth=1
	scratch_load_b64 v[162:163], v160, off
	v_dual_mov_b32 v164, s5 :: v_dual_add_nc_u32 v161, -1, v161
	v_add_nc_u32_e32 v160, 8, v160
	s_add_i32 s5, s5, 8
	ds_load_b64 v[164:165], v164
	v_cmp_eq_u32_e32 vcc_lo, 0, v161
	s_or_b32 s1, vcc_lo, s1
	s_waitcnt vmcnt(0) lgkmcnt(0)
	v_fma_f64 v[129:130], v[162:163], v[164:165], v[129:130]
	s_and_not1_b32 exec_lo, exec_lo, s1
	s_cbranch_execnz .LBB127_105
; %bb.106:
	s_or_b32 exec_lo, exec_lo, s1
.LBB127_107:
	s_delay_alu instid0(SALU_CYCLE_1)
	s_or_b32 exec_lo, exec_lo, s4
	v_mov_b32_e32 v160, 0
	ds_load_b64 v[160:161], v160 offset:416
	s_waitcnt lgkmcnt(0)
	v_mul_f64 v[129:130], v[129:130], v[160:161]
	scratch_store_b64 off, v[129:130], off offset:416
.LBB127_108:
	s_or_b32 exec_lo, exec_lo, s3
	scratch_load_b64 v[129:130], off, off offset:408
	v_cmp_lt_u32_e64 s1, 51, v0
	s_waitcnt vmcnt(0)
	ds_store_b64 v132, v[129:130]
	s_waitcnt lgkmcnt(0)
	s_waitcnt_vscnt null, 0x0
	s_barrier
	buffer_gl0_inv
	s_and_saveexec_b32 s3, s1
	s_cbranch_execz .LBB127_118
; %bb.109:
	s_and_not1_b32 vcc_lo, exec_lo, s2
	s_cbranch_vccnz .LBB127_111
; %bb.110:
	scratch_load_b64 v[129:130], v133, off
	ds_load_b64 v[160:161], v132
	s_waitcnt vmcnt(0) lgkmcnt(0)
	v_mul_f64 v[129:130], v[129:130], v[160:161]
	s_cbranch_execz .LBB127_112
	s_branch .LBB127_113
.LBB127_111:
                                        ; implicit-def: $vgpr129_vgpr130
.LBB127_112:
	ds_load_b64 v[129:130], v132
.LBB127_113:
	s_and_saveexec_b32 s4, s0
	s_cbranch_execz .LBB127_117
; %bb.114:
	v_subrev_nc_u32_e32 v160, 52, v0
	s_movk_i32 s5, 0x3a0
	s_mov_b32 s0, 0
.LBB127_115:                            ; =>This Inner Loop Header: Depth=1
	scratch_load_b64 v[161:162], v159, off
	v_dual_mov_b32 v163, s5 :: v_dual_add_nc_u32 v160, -1, v160
	v_add_nc_u32_e32 v159, 8, v159
	s_add_i32 s5, s5, 8
	ds_load_b64 v[163:164], v163
	v_cmp_eq_u32_e32 vcc_lo, 0, v160
	s_or_b32 s0, vcc_lo, s0
	s_waitcnt vmcnt(0) lgkmcnt(0)
	v_fma_f64 v[129:130], v[161:162], v[163:164], v[129:130]
	s_and_not1_b32 exec_lo, exec_lo, s0
	s_cbranch_execnz .LBB127_115
; %bb.116:
	s_or_b32 exec_lo, exec_lo, s0
.LBB127_117:
	s_delay_alu instid0(SALU_CYCLE_1)
	s_or_b32 exec_lo, exec_lo, s4
	v_mov_b32_e32 v159, 0
	ds_load_b64 v[159:160], v159 offset:408
	s_waitcnt lgkmcnt(0)
	v_mul_f64 v[129:130], v[129:130], v[159:160]
	scratch_store_b64 off, v[129:130], off offset:408
.LBB127_118:
	s_or_b32 exec_lo, exec_lo, s3
	scratch_load_b64 v[129:130], off, off offset:400
	v_cmp_lt_u32_e64 s0, 50, v0
	s_waitcnt vmcnt(0)
	ds_store_b64 v132, v[129:130]
	s_waitcnt lgkmcnt(0)
	s_waitcnt_vscnt null, 0x0
	s_barrier
	buffer_gl0_inv
	s_and_saveexec_b32 s3, s0
	s_cbranch_execz .LBB127_128
; %bb.119:
	s_and_not1_b32 vcc_lo, exec_lo, s2
	s_cbranch_vccnz .LBB127_121
; %bb.120:
	scratch_load_b64 v[129:130], v133, off
	ds_load_b64 v[159:160], v132
	s_waitcnt vmcnt(0) lgkmcnt(0)
	v_mul_f64 v[129:130], v[129:130], v[159:160]
	s_cbranch_execz .LBB127_122
	s_branch .LBB127_123
.LBB127_121:
                                        ; implicit-def: $vgpr129_vgpr130
.LBB127_122:
	ds_load_b64 v[129:130], v132
.LBB127_123:
	s_and_saveexec_b32 s4, s1
	s_cbranch_execz .LBB127_127
; %bb.124:
	v_mov_b32_e32 v159, 0
	v_subrev_nc_u32_e32 v160, 51, v0
	s_movk_i32 s5, 0x398
	s_mov_b32 s1, 0
	s_delay_alu instid0(VALU_DEP_2)
	v_add_nc_u32_e32 v159, 0x198, v159
.LBB127_125:                            ; =>This Inner Loop Header: Depth=1
	scratch_load_b64 v[161:162], v159, off
	v_dual_mov_b32 v163, s5 :: v_dual_add_nc_u32 v160, -1, v160
	v_add_nc_u32_e32 v159, 8, v159
	s_add_i32 s5, s5, 8
	ds_load_b64 v[163:164], v163
	v_cmp_eq_u32_e32 vcc_lo, 0, v160
	s_or_b32 s1, vcc_lo, s1
	s_waitcnt vmcnt(0) lgkmcnt(0)
	v_fma_f64 v[129:130], v[161:162], v[163:164], v[129:130]
	s_and_not1_b32 exec_lo, exec_lo, s1
	s_cbranch_execnz .LBB127_125
; %bb.126:
	s_or_b32 exec_lo, exec_lo, s1
.LBB127_127:
	s_delay_alu instid0(SALU_CYCLE_1)
	s_or_b32 exec_lo, exec_lo, s4
	v_mov_b32_e32 v159, 0
	ds_load_b64 v[159:160], v159 offset:400
	s_waitcnt lgkmcnt(0)
	v_mul_f64 v[129:130], v[129:130], v[159:160]
	scratch_store_b64 off, v[129:130], off offset:400
.LBB127_128:
	s_or_b32 exec_lo, exec_lo, s3
	scratch_load_b64 v[129:130], off, off offset:392
	v_cmp_lt_u32_e64 s1, 49, v0
	s_waitcnt vmcnt(0)
	ds_store_b64 v132, v[129:130]
	s_waitcnt lgkmcnt(0)
	s_waitcnt_vscnt null, 0x0
	s_barrier
	buffer_gl0_inv
	s_and_saveexec_b32 s3, s1
	s_cbranch_execz .LBB127_138
; %bb.129:
	s_and_not1_b32 vcc_lo, exec_lo, s2
	s_cbranch_vccnz .LBB127_131
; %bb.130:
	scratch_load_b64 v[129:130], v133, off
	ds_load_b64 v[159:160], v132
	s_waitcnt vmcnt(0) lgkmcnt(0)
	v_mul_f64 v[129:130], v[129:130], v[159:160]
	s_cbranch_execz .LBB127_132
	s_branch .LBB127_133
.LBB127_131:
                                        ; implicit-def: $vgpr129_vgpr130
.LBB127_132:
	ds_load_b64 v[129:130], v132
.LBB127_133:
	s_and_saveexec_b32 s4, s0
	s_cbranch_execz .LBB127_137
; %bb.134:
	v_subrev_nc_u32_e32 v159, 50, v0
	s_movk_i32 s5, 0x390
	s_mov_b32 s0, 0
.LBB127_135:                            ; =>This Inner Loop Header: Depth=1
	scratch_load_b64 v[160:161], v158, off
	v_dual_mov_b32 v162, s5 :: v_dual_add_nc_u32 v159, -1, v159
	v_add_nc_u32_e32 v158, 8, v158
	s_add_i32 s5, s5, 8
	ds_load_b64 v[162:163], v162
	v_cmp_eq_u32_e32 vcc_lo, 0, v159
	s_or_b32 s0, vcc_lo, s0
	s_waitcnt vmcnt(0) lgkmcnt(0)
	v_fma_f64 v[129:130], v[160:161], v[162:163], v[129:130]
	s_and_not1_b32 exec_lo, exec_lo, s0
	s_cbranch_execnz .LBB127_135
; %bb.136:
	s_or_b32 exec_lo, exec_lo, s0
.LBB127_137:
	s_delay_alu instid0(SALU_CYCLE_1)
	s_or_b32 exec_lo, exec_lo, s4
	v_mov_b32_e32 v158, 0
	ds_load_b64 v[158:159], v158 offset:392
	s_waitcnt lgkmcnt(0)
	v_mul_f64 v[129:130], v[129:130], v[158:159]
	scratch_store_b64 off, v[129:130], off offset:392
.LBB127_138:
	s_or_b32 exec_lo, exec_lo, s3
	scratch_load_b64 v[129:130], off, off offset:384
	v_cmp_lt_u32_e64 s0, 48, v0
	s_waitcnt vmcnt(0)
	ds_store_b64 v132, v[129:130]
	s_waitcnt lgkmcnt(0)
	s_waitcnt_vscnt null, 0x0
	s_barrier
	buffer_gl0_inv
	s_and_saveexec_b32 s3, s0
	s_cbranch_execz .LBB127_148
; %bb.139:
	s_and_not1_b32 vcc_lo, exec_lo, s2
	s_cbranch_vccnz .LBB127_141
; %bb.140:
	scratch_load_b64 v[129:130], v133, off
	ds_load_b64 v[158:159], v132
	s_waitcnt vmcnt(0) lgkmcnt(0)
	v_mul_f64 v[129:130], v[129:130], v[158:159]
	s_cbranch_execz .LBB127_142
	s_branch .LBB127_143
.LBB127_141:
                                        ; implicit-def: $vgpr129_vgpr130
.LBB127_142:
	ds_load_b64 v[129:130], v132
.LBB127_143:
	s_and_saveexec_b32 s4, s1
	s_cbranch_execz .LBB127_147
; %bb.144:
	v_mov_b32_e32 v158, 0
	v_subrev_nc_u32_e32 v159, 49, v0
	s_movk_i32 s5, 0x388
	s_mov_b32 s1, 0
	s_delay_alu instid0(VALU_DEP_2)
	v_add_nc_u32_e32 v158, 0x188, v158
.LBB127_145:                            ; =>This Inner Loop Header: Depth=1
	scratch_load_b64 v[160:161], v158, off
	v_dual_mov_b32 v162, s5 :: v_dual_add_nc_u32 v159, -1, v159
	v_add_nc_u32_e32 v158, 8, v158
	s_add_i32 s5, s5, 8
	ds_load_b64 v[162:163], v162
	v_cmp_eq_u32_e32 vcc_lo, 0, v159
	s_or_b32 s1, vcc_lo, s1
	s_waitcnt vmcnt(0) lgkmcnt(0)
	v_fma_f64 v[129:130], v[160:161], v[162:163], v[129:130]
	s_and_not1_b32 exec_lo, exec_lo, s1
	s_cbranch_execnz .LBB127_145
; %bb.146:
	s_or_b32 exec_lo, exec_lo, s1
.LBB127_147:
	s_delay_alu instid0(SALU_CYCLE_1)
	s_or_b32 exec_lo, exec_lo, s4
	v_mov_b32_e32 v158, 0
	ds_load_b64 v[158:159], v158 offset:384
	s_waitcnt lgkmcnt(0)
	v_mul_f64 v[129:130], v[129:130], v[158:159]
	scratch_store_b64 off, v[129:130], off offset:384
.LBB127_148:
	s_or_b32 exec_lo, exec_lo, s3
	scratch_load_b64 v[129:130], off, off offset:376
	v_cmp_lt_u32_e64 s1, 47, v0
	s_waitcnt vmcnt(0)
	ds_store_b64 v132, v[129:130]
	s_waitcnt lgkmcnt(0)
	s_waitcnt_vscnt null, 0x0
	s_barrier
	buffer_gl0_inv
	s_and_saveexec_b32 s3, s1
	s_cbranch_execz .LBB127_158
; %bb.149:
	s_and_not1_b32 vcc_lo, exec_lo, s2
	s_cbranch_vccnz .LBB127_151
; %bb.150:
	scratch_load_b64 v[129:130], v133, off
	ds_load_b64 v[158:159], v132
	s_waitcnt vmcnt(0) lgkmcnt(0)
	v_mul_f64 v[129:130], v[129:130], v[158:159]
	s_cbranch_execz .LBB127_152
	s_branch .LBB127_153
.LBB127_151:
                                        ; implicit-def: $vgpr129_vgpr130
.LBB127_152:
	ds_load_b64 v[129:130], v132
.LBB127_153:
	s_and_saveexec_b32 s4, s0
	s_cbranch_execz .LBB127_157
; %bb.154:
	v_subrev_nc_u32_e32 v158, 48, v0
	s_movk_i32 s5, 0x380
	s_mov_b32 s0, 0
.LBB127_155:                            ; =>This Inner Loop Header: Depth=1
	scratch_load_b64 v[159:160], v157, off
	v_dual_mov_b32 v161, s5 :: v_dual_add_nc_u32 v158, -1, v158
	v_add_nc_u32_e32 v157, 8, v157
	s_add_i32 s5, s5, 8
	ds_load_b64 v[161:162], v161
	v_cmp_eq_u32_e32 vcc_lo, 0, v158
	s_or_b32 s0, vcc_lo, s0
	s_waitcnt vmcnt(0) lgkmcnt(0)
	v_fma_f64 v[129:130], v[159:160], v[161:162], v[129:130]
	s_and_not1_b32 exec_lo, exec_lo, s0
	s_cbranch_execnz .LBB127_155
; %bb.156:
	s_or_b32 exec_lo, exec_lo, s0
.LBB127_157:
	s_delay_alu instid0(SALU_CYCLE_1)
	s_or_b32 exec_lo, exec_lo, s4
	v_mov_b32_e32 v157, 0
	ds_load_b64 v[157:158], v157 offset:376
	s_waitcnt lgkmcnt(0)
	v_mul_f64 v[129:130], v[129:130], v[157:158]
	scratch_store_b64 off, v[129:130], off offset:376
.LBB127_158:
	s_or_b32 exec_lo, exec_lo, s3
	scratch_load_b64 v[129:130], off, off offset:368
	v_cmp_lt_u32_e64 s0, 46, v0
	s_waitcnt vmcnt(0)
	ds_store_b64 v132, v[129:130]
	s_waitcnt lgkmcnt(0)
	s_waitcnt_vscnt null, 0x0
	s_barrier
	buffer_gl0_inv
	s_and_saveexec_b32 s3, s0
	s_cbranch_execz .LBB127_168
; %bb.159:
	s_and_not1_b32 vcc_lo, exec_lo, s2
	s_cbranch_vccnz .LBB127_161
; %bb.160:
	scratch_load_b64 v[129:130], v133, off
	ds_load_b64 v[157:158], v132
	s_waitcnt vmcnt(0) lgkmcnt(0)
	v_mul_f64 v[129:130], v[129:130], v[157:158]
	s_cbranch_execz .LBB127_162
	s_branch .LBB127_163
.LBB127_161:
                                        ; implicit-def: $vgpr129_vgpr130
.LBB127_162:
	ds_load_b64 v[129:130], v132
.LBB127_163:
	s_and_saveexec_b32 s4, s1
	s_cbranch_execz .LBB127_167
; %bb.164:
	v_mov_b32_e32 v157, 0
	v_subrev_nc_u32_e32 v158, 47, v0
	s_movk_i32 s5, 0x378
	s_mov_b32 s1, 0
	s_delay_alu instid0(VALU_DEP_2)
	v_add_nc_u32_e32 v157, 0x178, v157
.LBB127_165:                            ; =>This Inner Loop Header: Depth=1
	scratch_load_b64 v[159:160], v157, off
	v_dual_mov_b32 v161, s5 :: v_dual_add_nc_u32 v158, -1, v158
	v_add_nc_u32_e32 v157, 8, v157
	s_add_i32 s5, s5, 8
	ds_load_b64 v[161:162], v161
	v_cmp_eq_u32_e32 vcc_lo, 0, v158
	s_or_b32 s1, vcc_lo, s1
	s_waitcnt vmcnt(0) lgkmcnt(0)
	v_fma_f64 v[129:130], v[159:160], v[161:162], v[129:130]
	s_and_not1_b32 exec_lo, exec_lo, s1
	s_cbranch_execnz .LBB127_165
; %bb.166:
	s_or_b32 exec_lo, exec_lo, s1
.LBB127_167:
	s_delay_alu instid0(SALU_CYCLE_1)
	s_or_b32 exec_lo, exec_lo, s4
	v_mov_b32_e32 v157, 0
	ds_load_b64 v[157:158], v157 offset:368
	s_waitcnt lgkmcnt(0)
	v_mul_f64 v[129:130], v[129:130], v[157:158]
	scratch_store_b64 off, v[129:130], off offset:368
.LBB127_168:
	s_or_b32 exec_lo, exec_lo, s3
	scratch_load_b64 v[129:130], off, off offset:360
	v_cmp_lt_u32_e64 s1, 45, v0
	s_waitcnt vmcnt(0)
	ds_store_b64 v132, v[129:130]
	s_waitcnt lgkmcnt(0)
	s_waitcnt_vscnt null, 0x0
	s_barrier
	buffer_gl0_inv
	s_and_saveexec_b32 s3, s1
	s_cbranch_execz .LBB127_178
; %bb.169:
	s_and_not1_b32 vcc_lo, exec_lo, s2
	s_cbranch_vccnz .LBB127_171
; %bb.170:
	scratch_load_b64 v[129:130], v133, off
	ds_load_b64 v[157:158], v132
	s_waitcnt vmcnt(0) lgkmcnt(0)
	v_mul_f64 v[129:130], v[129:130], v[157:158]
	s_cbranch_execz .LBB127_172
	s_branch .LBB127_173
.LBB127_171:
                                        ; implicit-def: $vgpr129_vgpr130
.LBB127_172:
	ds_load_b64 v[129:130], v132
.LBB127_173:
	s_and_saveexec_b32 s4, s0
	s_cbranch_execz .LBB127_177
; %bb.174:
	v_subrev_nc_u32_e32 v157, 46, v0
	s_movk_i32 s5, 0x370
	s_mov_b32 s0, 0
.LBB127_175:                            ; =>This Inner Loop Header: Depth=1
	scratch_load_b64 v[158:159], v156, off
	v_dual_mov_b32 v160, s5 :: v_dual_add_nc_u32 v157, -1, v157
	v_add_nc_u32_e32 v156, 8, v156
	s_add_i32 s5, s5, 8
	ds_load_b64 v[160:161], v160
	v_cmp_eq_u32_e32 vcc_lo, 0, v157
	s_or_b32 s0, vcc_lo, s0
	s_waitcnt vmcnt(0) lgkmcnt(0)
	v_fma_f64 v[129:130], v[158:159], v[160:161], v[129:130]
	s_and_not1_b32 exec_lo, exec_lo, s0
	s_cbranch_execnz .LBB127_175
; %bb.176:
	s_or_b32 exec_lo, exec_lo, s0
.LBB127_177:
	s_delay_alu instid0(SALU_CYCLE_1)
	s_or_b32 exec_lo, exec_lo, s4
	v_mov_b32_e32 v156, 0
	ds_load_b64 v[156:157], v156 offset:360
	s_waitcnt lgkmcnt(0)
	v_mul_f64 v[129:130], v[129:130], v[156:157]
	scratch_store_b64 off, v[129:130], off offset:360
.LBB127_178:
	s_or_b32 exec_lo, exec_lo, s3
	scratch_load_b64 v[129:130], off, off offset:352
	v_cmp_lt_u32_e64 s0, 44, v0
	s_waitcnt vmcnt(0)
	ds_store_b64 v132, v[129:130]
	s_waitcnt lgkmcnt(0)
	s_waitcnt_vscnt null, 0x0
	s_barrier
	buffer_gl0_inv
	s_and_saveexec_b32 s3, s0
	s_cbranch_execz .LBB127_188
; %bb.179:
	s_and_not1_b32 vcc_lo, exec_lo, s2
	s_cbranch_vccnz .LBB127_181
; %bb.180:
	scratch_load_b64 v[129:130], v133, off
	ds_load_b64 v[156:157], v132
	s_waitcnt vmcnt(0) lgkmcnt(0)
	v_mul_f64 v[129:130], v[129:130], v[156:157]
	s_cbranch_execz .LBB127_182
	s_branch .LBB127_183
.LBB127_181:
                                        ; implicit-def: $vgpr129_vgpr130
.LBB127_182:
	ds_load_b64 v[129:130], v132
.LBB127_183:
	s_and_saveexec_b32 s4, s1
	s_cbranch_execz .LBB127_187
; %bb.184:
	v_mov_b32_e32 v156, 0
	v_subrev_nc_u32_e32 v157, 45, v0
	s_movk_i32 s5, 0x368
	s_mov_b32 s1, 0
	s_delay_alu instid0(VALU_DEP_2)
	v_add_nc_u32_e32 v156, 0x168, v156
.LBB127_185:                            ; =>This Inner Loop Header: Depth=1
	scratch_load_b64 v[158:159], v156, off
	v_dual_mov_b32 v160, s5 :: v_dual_add_nc_u32 v157, -1, v157
	v_add_nc_u32_e32 v156, 8, v156
	s_add_i32 s5, s5, 8
	ds_load_b64 v[160:161], v160
	v_cmp_eq_u32_e32 vcc_lo, 0, v157
	s_or_b32 s1, vcc_lo, s1
	s_waitcnt vmcnt(0) lgkmcnt(0)
	v_fma_f64 v[129:130], v[158:159], v[160:161], v[129:130]
	s_and_not1_b32 exec_lo, exec_lo, s1
	s_cbranch_execnz .LBB127_185
; %bb.186:
	s_or_b32 exec_lo, exec_lo, s1
.LBB127_187:
	s_delay_alu instid0(SALU_CYCLE_1)
	s_or_b32 exec_lo, exec_lo, s4
	v_mov_b32_e32 v156, 0
	ds_load_b64 v[156:157], v156 offset:352
	s_waitcnt lgkmcnt(0)
	v_mul_f64 v[129:130], v[129:130], v[156:157]
	scratch_store_b64 off, v[129:130], off offset:352
.LBB127_188:
	s_or_b32 exec_lo, exec_lo, s3
	scratch_load_b64 v[129:130], off, off offset:344
	v_cmp_lt_u32_e64 s1, 43, v0
	s_waitcnt vmcnt(0)
	ds_store_b64 v132, v[129:130]
	s_waitcnt lgkmcnt(0)
	s_waitcnt_vscnt null, 0x0
	s_barrier
	buffer_gl0_inv
	s_and_saveexec_b32 s3, s1
	s_cbranch_execz .LBB127_198
; %bb.189:
	s_and_not1_b32 vcc_lo, exec_lo, s2
	s_cbranch_vccnz .LBB127_191
; %bb.190:
	scratch_load_b64 v[129:130], v133, off
	ds_load_b64 v[156:157], v132
	s_waitcnt vmcnt(0) lgkmcnt(0)
	v_mul_f64 v[129:130], v[129:130], v[156:157]
	s_cbranch_execz .LBB127_192
	s_branch .LBB127_193
.LBB127_191:
                                        ; implicit-def: $vgpr129_vgpr130
.LBB127_192:
	ds_load_b64 v[129:130], v132
.LBB127_193:
	s_and_saveexec_b32 s4, s0
	s_cbranch_execz .LBB127_197
; %bb.194:
	v_subrev_nc_u32_e32 v156, 44, v0
	s_movk_i32 s5, 0x360
	s_mov_b32 s0, 0
.LBB127_195:                            ; =>This Inner Loop Header: Depth=1
	scratch_load_b64 v[157:158], v155, off
	v_dual_mov_b32 v159, s5 :: v_dual_add_nc_u32 v156, -1, v156
	v_add_nc_u32_e32 v155, 8, v155
	s_add_i32 s5, s5, 8
	ds_load_b64 v[159:160], v159
	v_cmp_eq_u32_e32 vcc_lo, 0, v156
	s_or_b32 s0, vcc_lo, s0
	s_waitcnt vmcnt(0) lgkmcnt(0)
	v_fma_f64 v[129:130], v[157:158], v[159:160], v[129:130]
	s_and_not1_b32 exec_lo, exec_lo, s0
	s_cbranch_execnz .LBB127_195
; %bb.196:
	s_or_b32 exec_lo, exec_lo, s0
.LBB127_197:
	s_delay_alu instid0(SALU_CYCLE_1)
	s_or_b32 exec_lo, exec_lo, s4
	v_mov_b32_e32 v155, 0
	ds_load_b64 v[155:156], v155 offset:344
	s_waitcnt lgkmcnt(0)
	v_mul_f64 v[129:130], v[129:130], v[155:156]
	scratch_store_b64 off, v[129:130], off offset:344
.LBB127_198:
	s_or_b32 exec_lo, exec_lo, s3
	scratch_load_b64 v[129:130], off, off offset:336
	v_cmp_lt_u32_e64 s0, 42, v0
	s_waitcnt vmcnt(0)
	ds_store_b64 v132, v[129:130]
	s_waitcnt lgkmcnt(0)
	s_waitcnt_vscnt null, 0x0
	s_barrier
	buffer_gl0_inv
	s_and_saveexec_b32 s3, s0
	s_cbranch_execz .LBB127_208
; %bb.199:
	s_and_not1_b32 vcc_lo, exec_lo, s2
	s_cbranch_vccnz .LBB127_201
; %bb.200:
	scratch_load_b64 v[129:130], v133, off
	ds_load_b64 v[155:156], v132
	s_waitcnt vmcnt(0) lgkmcnt(0)
	v_mul_f64 v[129:130], v[129:130], v[155:156]
	s_cbranch_execz .LBB127_202
	s_branch .LBB127_203
.LBB127_201:
                                        ; implicit-def: $vgpr129_vgpr130
.LBB127_202:
	ds_load_b64 v[129:130], v132
.LBB127_203:
	s_and_saveexec_b32 s4, s1
	s_cbranch_execz .LBB127_207
; %bb.204:
	v_mov_b32_e32 v155, 0
	v_subrev_nc_u32_e32 v156, 43, v0
	s_movk_i32 s5, 0x358
	s_mov_b32 s1, 0
	s_delay_alu instid0(VALU_DEP_2)
	v_add_nc_u32_e32 v155, 0x158, v155
.LBB127_205:                            ; =>This Inner Loop Header: Depth=1
	scratch_load_b64 v[157:158], v155, off
	v_dual_mov_b32 v159, s5 :: v_dual_add_nc_u32 v156, -1, v156
	v_add_nc_u32_e32 v155, 8, v155
	s_add_i32 s5, s5, 8
	ds_load_b64 v[159:160], v159
	v_cmp_eq_u32_e32 vcc_lo, 0, v156
	s_or_b32 s1, vcc_lo, s1
	s_waitcnt vmcnt(0) lgkmcnt(0)
	v_fma_f64 v[129:130], v[157:158], v[159:160], v[129:130]
	s_and_not1_b32 exec_lo, exec_lo, s1
	s_cbranch_execnz .LBB127_205
; %bb.206:
	s_or_b32 exec_lo, exec_lo, s1
.LBB127_207:
	s_delay_alu instid0(SALU_CYCLE_1)
	s_or_b32 exec_lo, exec_lo, s4
	v_mov_b32_e32 v155, 0
	ds_load_b64 v[155:156], v155 offset:336
	s_waitcnt lgkmcnt(0)
	v_mul_f64 v[129:130], v[129:130], v[155:156]
	scratch_store_b64 off, v[129:130], off offset:336
.LBB127_208:
	s_or_b32 exec_lo, exec_lo, s3
	scratch_load_b64 v[129:130], off, off offset:328
	v_cmp_lt_u32_e64 s1, 41, v0
	s_waitcnt vmcnt(0)
	ds_store_b64 v132, v[129:130]
	s_waitcnt lgkmcnt(0)
	s_waitcnt_vscnt null, 0x0
	s_barrier
	buffer_gl0_inv
	s_and_saveexec_b32 s3, s1
	s_cbranch_execz .LBB127_218
; %bb.209:
	s_and_not1_b32 vcc_lo, exec_lo, s2
	s_cbranch_vccnz .LBB127_211
; %bb.210:
	scratch_load_b64 v[129:130], v133, off
	ds_load_b64 v[155:156], v132
	s_waitcnt vmcnt(0) lgkmcnt(0)
	v_mul_f64 v[129:130], v[129:130], v[155:156]
	s_cbranch_execz .LBB127_212
	s_branch .LBB127_213
.LBB127_211:
                                        ; implicit-def: $vgpr129_vgpr130
.LBB127_212:
	ds_load_b64 v[129:130], v132
.LBB127_213:
	s_and_saveexec_b32 s4, s0
	s_cbranch_execz .LBB127_217
; %bb.214:
	v_subrev_nc_u32_e32 v155, 42, v0
	s_movk_i32 s5, 0x350
	s_mov_b32 s0, 0
.LBB127_215:                            ; =>This Inner Loop Header: Depth=1
	scratch_load_b64 v[156:157], v154, off
	v_dual_mov_b32 v158, s5 :: v_dual_add_nc_u32 v155, -1, v155
	v_add_nc_u32_e32 v154, 8, v154
	s_add_i32 s5, s5, 8
	ds_load_b64 v[158:159], v158
	v_cmp_eq_u32_e32 vcc_lo, 0, v155
	s_or_b32 s0, vcc_lo, s0
	s_waitcnt vmcnt(0) lgkmcnt(0)
	v_fma_f64 v[129:130], v[156:157], v[158:159], v[129:130]
	s_and_not1_b32 exec_lo, exec_lo, s0
	s_cbranch_execnz .LBB127_215
; %bb.216:
	s_or_b32 exec_lo, exec_lo, s0
.LBB127_217:
	s_delay_alu instid0(SALU_CYCLE_1)
	s_or_b32 exec_lo, exec_lo, s4
	v_mov_b32_e32 v154, 0
	ds_load_b64 v[154:155], v154 offset:328
	s_waitcnt lgkmcnt(0)
	v_mul_f64 v[129:130], v[129:130], v[154:155]
	scratch_store_b64 off, v[129:130], off offset:328
.LBB127_218:
	s_or_b32 exec_lo, exec_lo, s3
	scratch_load_b64 v[129:130], off, off offset:320
	v_cmp_lt_u32_e64 s0, 40, v0
	s_waitcnt vmcnt(0)
	ds_store_b64 v132, v[129:130]
	s_waitcnt lgkmcnt(0)
	s_waitcnt_vscnt null, 0x0
	s_barrier
	buffer_gl0_inv
	s_and_saveexec_b32 s3, s0
	s_cbranch_execz .LBB127_228
; %bb.219:
	s_and_not1_b32 vcc_lo, exec_lo, s2
	s_cbranch_vccnz .LBB127_221
; %bb.220:
	scratch_load_b64 v[129:130], v133, off
	ds_load_b64 v[154:155], v132
	s_waitcnt vmcnt(0) lgkmcnt(0)
	v_mul_f64 v[129:130], v[129:130], v[154:155]
	s_cbranch_execz .LBB127_222
	s_branch .LBB127_223
.LBB127_221:
                                        ; implicit-def: $vgpr129_vgpr130
.LBB127_222:
	ds_load_b64 v[129:130], v132
.LBB127_223:
	s_and_saveexec_b32 s4, s1
	s_cbranch_execz .LBB127_227
; %bb.224:
	v_mov_b32_e32 v154, 0
	v_subrev_nc_u32_e32 v155, 41, v0
	s_movk_i32 s5, 0x348
	s_mov_b32 s1, 0
	s_delay_alu instid0(VALU_DEP_2)
	v_add_nc_u32_e32 v154, 0x148, v154
.LBB127_225:                            ; =>This Inner Loop Header: Depth=1
	scratch_load_b64 v[156:157], v154, off
	v_dual_mov_b32 v158, s5 :: v_dual_add_nc_u32 v155, -1, v155
	v_add_nc_u32_e32 v154, 8, v154
	s_add_i32 s5, s5, 8
	ds_load_b64 v[158:159], v158
	v_cmp_eq_u32_e32 vcc_lo, 0, v155
	s_or_b32 s1, vcc_lo, s1
	s_waitcnt vmcnt(0) lgkmcnt(0)
	v_fma_f64 v[129:130], v[156:157], v[158:159], v[129:130]
	s_and_not1_b32 exec_lo, exec_lo, s1
	s_cbranch_execnz .LBB127_225
; %bb.226:
	s_or_b32 exec_lo, exec_lo, s1
.LBB127_227:
	s_delay_alu instid0(SALU_CYCLE_1)
	s_or_b32 exec_lo, exec_lo, s4
	v_mov_b32_e32 v154, 0
	ds_load_b64 v[154:155], v154 offset:320
	s_waitcnt lgkmcnt(0)
	v_mul_f64 v[129:130], v[129:130], v[154:155]
	scratch_store_b64 off, v[129:130], off offset:320
.LBB127_228:
	s_or_b32 exec_lo, exec_lo, s3
	scratch_load_b64 v[129:130], off, off offset:312
	v_cmp_lt_u32_e64 s1, 39, v0
	s_waitcnt vmcnt(0)
	ds_store_b64 v132, v[129:130]
	s_waitcnt lgkmcnt(0)
	s_waitcnt_vscnt null, 0x0
	s_barrier
	buffer_gl0_inv
	s_and_saveexec_b32 s3, s1
	s_cbranch_execz .LBB127_238
; %bb.229:
	s_and_not1_b32 vcc_lo, exec_lo, s2
	s_cbranch_vccnz .LBB127_231
; %bb.230:
	scratch_load_b64 v[129:130], v133, off
	ds_load_b64 v[154:155], v132
	s_waitcnt vmcnt(0) lgkmcnt(0)
	v_mul_f64 v[129:130], v[129:130], v[154:155]
	s_cbranch_execz .LBB127_232
	s_branch .LBB127_233
.LBB127_231:
                                        ; implicit-def: $vgpr129_vgpr130
.LBB127_232:
	ds_load_b64 v[129:130], v132
.LBB127_233:
	s_and_saveexec_b32 s4, s0
	s_cbranch_execz .LBB127_237
; %bb.234:
	v_subrev_nc_u32_e32 v154, 40, v0
	s_movk_i32 s5, 0x340
	s_mov_b32 s0, 0
.LBB127_235:                            ; =>This Inner Loop Header: Depth=1
	scratch_load_b64 v[155:156], v153, off
	v_dual_mov_b32 v157, s5 :: v_dual_add_nc_u32 v154, -1, v154
	v_add_nc_u32_e32 v153, 8, v153
	s_add_i32 s5, s5, 8
	ds_load_b64 v[157:158], v157
	v_cmp_eq_u32_e32 vcc_lo, 0, v154
	s_or_b32 s0, vcc_lo, s0
	s_waitcnt vmcnt(0) lgkmcnt(0)
	v_fma_f64 v[129:130], v[155:156], v[157:158], v[129:130]
	s_and_not1_b32 exec_lo, exec_lo, s0
	s_cbranch_execnz .LBB127_235
; %bb.236:
	s_or_b32 exec_lo, exec_lo, s0
.LBB127_237:
	s_delay_alu instid0(SALU_CYCLE_1)
	s_or_b32 exec_lo, exec_lo, s4
	v_mov_b32_e32 v153, 0
	ds_load_b64 v[153:154], v153 offset:312
	s_waitcnt lgkmcnt(0)
	v_mul_f64 v[129:130], v[129:130], v[153:154]
	scratch_store_b64 off, v[129:130], off offset:312
.LBB127_238:
	s_or_b32 exec_lo, exec_lo, s3
	scratch_load_b64 v[129:130], off, off offset:304
	v_cmp_lt_u32_e64 s0, 38, v0
	s_waitcnt vmcnt(0)
	ds_store_b64 v132, v[129:130]
	s_waitcnt lgkmcnt(0)
	s_waitcnt_vscnt null, 0x0
	s_barrier
	buffer_gl0_inv
	s_and_saveexec_b32 s3, s0
	s_cbranch_execz .LBB127_248
; %bb.239:
	s_and_not1_b32 vcc_lo, exec_lo, s2
	s_cbranch_vccnz .LBB127_241
; %bb.240:
	scratch_load_b64 v[129:130], v133, off
	ds_load_b64 v[153:154], v132
	s_waitcnt vmcnt(0) lgkmcnt(0)
	v_mul_f64 v[129:130], v[129:130], v[153:154]
	s_cbranch_execz .LBB127_242
	s_branch .LBB127_243
.LBB127_241:
                                        ; implicit-def: $vgpr129_vgpr130
.LBB127_242:
	ds_load_b64 v[129:130], v132
.LBB127_243:
	s_and_saveexec_b32 s4, s1
	s_cbranch_execz .LBB127_247
; %bb.244:
	v_mov_b32_e32 v153, 0
	v_subrev_nc_u32_e32 v154, 39, v0
	s_movk_i32 s5, 0x338
	s_mov_b32 s1, 0
	s_delay_alu instid0(VALU_DEP_2)
	v_add_nc_u32_e32 v153, 0x138, v153
.LBB127_245:                            ; =>This Inner Loop Header: Depth=1
	scratch_load_b64 v[155:156], v153, off
	v_dual_mov_b32 v157, s5 :: v_dual_add_nc_u32 v154, -1, v154
	v_add_nc_u32_e32 v153, 8, v153
	s_add_i32 s5, s5, 8
	ds_load_b64 v[157:158], v157
	v_cmp_eq_u32_e32 vcc_lo, 0, v154
	s_or_b32 s1, vcc_lo, s1
	s_waitcnt vmcnt(0) lgkmcnt(0)
	v_fma_f64 v[129:130], v[155:156], v[157:158], v[129:130]
	s_and_not1_b32 exec_lo, exec_lo, s1
	s_cbranch_execnz .LBB127_245
; %bb.246:
	s_or_b32 exec_lo, exec_lo, s1
.LBB127_247:
	s_delay_alu instid0(SALU_CYCLE_1)
	s_or_b32 exec_lo, exec_lo, s4
	v_mov_b32_e32 v153, 0
	ds_load_b64 v[153:154], v153 offset:304
	s_waitcnt lgkmcnt(0)
	v_mul_f64 v[129:130], v[129:130], v[153:154]
	scratch_store_b64 off, v[129:130], off offset:304
.LBB127_248:
	s_or_b32 exec_lo, exec_lo, s3
	scratch_load_b64 v[129:130], off, off offset:296
	v_cmp_lt_u32_e64 s1, 37, v0
	s_waitcnt vmcnt(0)
	ds_store_b64 v132, v[129:130]
	s_waitcnt lgkmcnt(0)
	s_waitcnt_vscnt null, 0x0
	s_barrier
	buffer_gl0_inv
	s_and_saveexec_b32 s3, s1
	s_cbranch_execz .LBB127_258
; %bb.249:
	s_and_not1_b32 vcc_lo, exec_lo, s2
	s_cbranch_vccnz .LBB127_251
; %bb.250:
	scratch_load_b64 v[129:130], v133, off
	ds_load_b64 v[153:154], v132
	s_waitcnt vmcnt(0) lgkmcnt(0)
	v_mul_f64 v[129:130], v[129:130], v[153:154]
	s_cbranch_execz .LBB127_252
	s_branch .LBB127_253
.LBB127_251:
                                        ; implicit-def: $vgpr129_vgpr130
.LBB127_252:
	ds_load_b64 v[129:130], v132
.LBB127_253:
	s_and_saveexec_b32 s4, s0
	s_cbranch_execz .LBB127_257
; %bb.254:
	v_subrev_nc_u32_e32 v153, 38, v0
	s_movk_i32 s5, 0x330
	s_mov_b32 s0, 0
.LBB127_255:                            ; =>This Inner Loop Header: Depth=1
	scratch_load_b64 v[154:155], v152, off
	v_dual_mov_b32 v156, s5 :: v_dual_add_nc_u32 v153, -1, v153
	v_add_nc_u32_e32 v152, 8, v152
	s_add_i32 s5, s5, 8
	ds_load_b64 v[156:157], v156
	v_cmp_eq_u32_e32 vcc_lo, 0, v153
	s_or_b32 s0, vcc_lo, s0
	s_waitcnt vmcnt(0) lgkmcnt(0)
	v_fma_f64 v[129:130], v[154:155], v[156:157], v[129:130]
	s_and_not1_b32 exec_lo, exec_lo, s0
	s_cbranch_execnz .LBB127_255
; %bb.256:
	s_or_b32 exec_lo, exec_lo, s0
.LBB127_257:
	s_delay_alu instid0(SALU_CYCLE_1)
	s_or_b32 exec_lo, exec_lo, s4
	v_mov_b32_e32 v152, 0
	ds_load_b64 v[152:153], v152 offset:296
	s_waitcnt lgkmcnt(0)
	v_mul_f64 v[129:130], v[129:130], v[152:153]
	scratch_store_b64 off, v[129:130], off offset:296
.LBB127_258:
	s_or_b32 exec_lo, exec_lo, s3
	scratch_load_b64 v[129:130], off, off offset:288
	v_cmp_lt_u32_e64 s0, 36, v0
	s_waitcnt vmcnt(0)
	ds_store_b64 v132, v[129:130]
	s_waitcnt lgkmcnt(0)
	s_waitcnt_vscnt null, 0x0
	s_barrier
	buffer_gl0_inv
	s_and_saveexec_b32 s3, s0
	s_cbranch_execz .LBB127_268
; %bb.259:
	s_and_not1_b32 vcc_lo, exec_lo, s2
	s_cbranch_vccnz .LBB127_261
; %bb.260:
	scratch_load_b64 v[129:130], v133, off
	ds_load_b64 v[152:153], v132
	s_waitcnt vmcnt(0) lgkmcnt(0)
	v_mul_f64 v[129:130], v[129:130], v[152:153]
	s_cbranch_execz .LBB127_262
	s_branch .LBB127_263
.LBB127_261:
                                        ; implicit-def: $vgpr129_vgpr130
.LBB127_262:
	ds_load_b64 v[129:130], v132
.LBB127_263:
	s_and_saveexec_b32 s4, s1
	s_cbranch_execz .LBB127_267
; %bb.264:
	v_mov_b32_e32 v152, 0
	v_subrev_nc_u32_e32 v153, 37, v0
	s_movk_i32 s5, 0x328
	s_mov_b32 s1, 0
	s_delay_alu instid0(VALU_DEP_2)
	v_add_nc_u32_e32 v152, 0x128, v152
.LBB127_265:                            ; =>This Inner Loop Header: Depth=1
	scratch_load_b64 v[154:155], v152, off
	v_dual_mov_b32 v156, s5 :: v_dual_add_nc_u32 v153, -1, v153
	v_add_nc_u32_e32 v152, 8, v152
	s_add_i32 s5, s5, 8
	ds_load_b64 v[156:157], v156
	v_cmp_eq_u32_e32 vcc_lo, 0, v153
	s_or_b32 s1, vcc_lo, s1
	s_waitcnt vmcnt(0) lgkmcnt(0)
	v_fma_f64 v[129:130], v[154:155], v[156:157], v[129:130]
	s_and_not1_b32 exec_lo, exec_lo, s1
	s_cbranch_execnz .LBB127_265
; %bb.266:
	s_or_b32 exec_lo, exec_lo, s1
.LBB127_267:
	s_delay_alu instid0(SALU_CYCLE_1)
	s_or_b32 exec_lo, exec_lo, s4
	v_mov_b32_e32 v152, 0
	ds_load_b64 v[152:153], v152 offset:288
	s_waitcnt lgkmcnt(0)
	v_mul_f64 v[129:130], v[129:130], v[152:153]
	scratch_store_b64 off, v[129:130], off offset:288
.LBB127_268:
	s_or_b32 exec_lo, exec_lo, s3
	scratch_load_b64 v[129:130], off, off offset:280
	v_cmp_lt_u32_e64 s1, 35, v0
	s_waitcnt vmcnt(0)
	ds_store_b64 v132, v[129:130]
	s_waitcnt lgkmcnt(0)
	s_waitcnt_vscnt null, 0x0
	s_barrier
	buffer_gl0_inv
	s_and_saveexec_b32 s3, s1
	s_cbranch_execz .LBB127_278
; %bb.269:
	s_and_not1_b32 vcc_lo, exec_lo, s2
	s_cbranch_vccnz .LBB127_271
; %bb.270:
	scratch_load_b64 v[129:130], v133, off
	ds_load_b64 v[152:153], v132
	s_waitcnt vmcnt(0) lgkmcnt(0)
	v_mul_f64 v[129:130], v[129:130], v[152:153]
	s_cbranch_execz .LBB127_272
	s_branch .LBB127_273
.LBB127_271:
                                        ; implicit-def: $vgpr129_vgpr130
.LBB127_272:
	ds_load_b64 v[129:130], v132
.LBB127_273:
	s_and_saveexec_b32 s4, s0
	s_cbranch_execz .LBB127_277
; %bb.274:
	v_subrev_nc_u32_e32 v152, 36, v0
	s_movk_i32 s5, 0x320
	s_mov_b32 s0, 0
.LBB127_275:                            ; =>This Inner Loop Header: Depth=1
	scratch_load_b64 v[153:154], v151, off
	v_dual_mov_b32 v155, s5 :: v_dual_add_nc_u32 v152, -1, v152
	v_add_nc_u32_e32 v151, 8, v151
	s_add_i32 s5, s5, 8
	ds_load_b64 v[155:156], v155
	v_cmp_eq_u32_e32 vcc_lo, 0, v152
	s_or_b32 s0, vcc_lo, s0
	s_waitcnt vmcnt(0) lgkmcnt(0)
	v_fma_f64 v[129:130], v[153:154], v[155:156], v[129:130]
	s_and_not1_b32 exec_lo, exec_lo, s0
	s_cbranch_execnz .LBB127_275
; %bb.276:
	s_or_b32 exec_lo, exec_lo, s0
.LBB127_277:
	s_delay_alu instid0(SALU_CYCLE_1)
	s_or_b32 exec_lo, exec_lo, s4
	v_mov_b32_e32 v151, 0
	ds_load_b64 v[151:152], v151 offset:280
	s_waitcnt lgkmcnt(0)
	v_mul_f64 v[129:130], v[129:130], v[151:152]
	scratch_store_b64 off, v[129:130], off offset:280
.LBB127_278:
	s_or_b32 exec_lo, exec_lo, s3
	scratch_load_b64 v[129:130], off, off offset:272
	v_cmp_lt_u32_e64 s0, 34, v0
	s_waitcnt vmcnt(0)
	ds_store_b64 v132, v[129:130]
	s_waitcnt lgkmcnt(0)
	s_waitcnt_vscnt null, 0x0
	s_barrier
	buffer_gl0_inv
	s_and_saveexec_b32 s3, s0
	s_cbranch_execz .LBB127_288
; %bb.279:
	s_and_not1_b32 vcc_lo, exec_lo, s2
	s_cbranch_vccnz .LBB127_281
; %bb.280:
	scratch_load_b64 v[129:130], v133, off
	ds_load_b64 v[151:152], v132
	s_waitcnt vmcnt(0) lgkmcnt(0)
	v_mul_f64 v[129:130], v[129:130], v[151:152]
	s_cbranch_execz .LBB127_282
	s_branch .LBB127_283
.LBB127_281:
                                        ; implicit-def: $vgpr129_vgpr130
.LBB127_282:
	ds_load_b64 v[129:130], v132
.LBB127_283:
	s_and_saveexec_b32 s4, s1
	s_cbranch_execz .LBB127_287
; %bb.284:
	v_mov_b32_e32 v151, 0
	v_subrev_nc_u32_e32 v152, 35, v0
	s_movk_i32 s5, 0x318
	s_mov_b32 s1, 0
	s_delay_alu instid0(VALU_DEP_2)
	v_add_nc_u32_e32 v151, 0x118, v151
.LBB127_285:                            ; =>This Inner Loop Header: Depth=1
	scratch_load_b64 v[153:154], v151, off
	v_dual_mov_b32 v155, s5 :: v_dual_add_nc_u32 v152, -1, v152
	v_add_nc_u32_e32 v151, 8, v151
	s_add_i32 s5, s5, 8
	ds_load_b64 v[155:156], v155
	v_cmp_eq_u32_e32 vcc_lo, 0, v152
	s_or_b32 s1, vcc_lo, s1
	s_waitcnt vmcnt(0) lgkmcnt(0)
	v_fma_f64 v[129:130], v[153:154], v[155:156], v[129:130]
	s_and_not1_b32 exec_lo, exec_lo, s1
	s_cbranch_execnz .LBB127_285
; %bb.286:
	s_or_b32 exec_lo, exec_lo, s1
.LBB127_287:
	s_delay_alu instid0(SALU_CYCLE_1)
	s_or_b32 exec_lo, exec_lo, s4
	v_mov_b32_e32 v151, 0
	ds_load_b64 v[151:152], v151 offset:272
	s_waitcnt lgkmcnt(0)
	v_mul_f64 v[129:130], v[129:130], v[151:152]
	scratch_store_b64 off, v[129:130], off offset:272
.LBB127_288:
	s_or_b32 exec_lo, exec_lo, s3
	scratch_load_b64 v[129:130], off, off offset:264
	v_cmp_lt_u32_e64 s1, 33, v0
	s_waitcnt vmcnt(0)
	ds_store_b64 v132, v[129:130]
	s_waitcnt lgkmcnt(0)
	s_waitcnt_vscnt null, 0x0
	s_barrier
	buffer_gl0_inv
	s_and_saveexec_b32 s3, s1
	s_cbranch_execz .LBB127_298
; %bb.289:
	s_and_not1_b32 vcc_lo, exec_lo, s2
	s_cbranch_vccnz .LBB127_291
; %bb.290:
	scratch_load_b64 v[129:130], v133, off
	ds_load_b64 v[151:152], v132
	s_waitcnt vmcnt(0) lgkmcnt(0)
	v_mul_f64 v[129:130], v[129:130], v[151:152]
	s_cbranch_execz .LBB127_292
	s_branch .LBB127_293
.LBB127_291:
                                        ; implicit-def: $vgpr129_vgpr130
.LBB127_292:
	ds_load_b64 v[129:130], v132
.LBB127_293:
	s_and_saveexec_b32 s4, s0
	s_cbranch_execz .LBB127_297
; %bb.294:
	v_subrev_nc_u32_e32 v151, 34, v0
	s_movk_i32 s5, 0x310
	s_mov_b32 s0, 0
.LBB127_295:                            ; =>This Inner Loop Header: Depth=1
	scratch_load_b64 v[152:153], v150, off
	v_dual_mov_b32 v154, s5 :: v_dual_add_nc_u32 v151, -1, v151
	v_add_nc_u32_e32 v150, 8, v150
	s_add_i32 s5, s5, 8
	ds_load_b64 v[154:155], v154
	v_cmp_eq_u32_e32 vcc_lo, 0, v151
	s_or_b32 s0, vcc_lo, s0
	s_waitcnt vmcnt(0) lgkmcnt(0)
	v_fma_f64 v[129:130], v[152:153], v[154:155], v[129:130]
	s_and_not1_b32 exec_lo, exec_lo, s0
	s_cbranch_execnz .LBB127_295
; %bb.296:
	s_or_b32 exec_lo, exec_lo, s0
.LBB127_297:
	s_delay_alu instid0(SALU_CYCLE_1)
	s_or_b32 exec_lo, exec_lo, s4
	v_mov_b32_e32 v150, 0
	ds_load_b64 v[150:151], v150 offset:264
	s_waitcnt lgkmcnt(0)
	v_mul_f64 v[129:130], v[129:130], v[150:151]
	scratch_store_b64 off, v[129:130], off offset:264
.LBB127_298:
	s_or_b32 exec_lo, exec_lo, s3
	scratch_load_b64 v[129:130], off, off offset:256
	v_cmp_lt_u32_e64 s0, 32, v0
	s_waitcnt vmcnt(0)
	ds_store_b64 v132, v[129:130]
	s_waitcnt lgkmcnt(0)
	s_waitcnt_vscnt null, 0x0
	s_barrier
	buffer_gl0_inv
	s_and_saveexec_b32 s3, s0
	s_cbranch_execz .LBB127_308
; %bb.299:
	s_and_not1_b32 vcc_lo, exec_lo, s2
	s_cbranch_vccnz .LBB127_301
; %bb.300:
	scratch_load_b64 v[129:130], v133, off
	ds_load_b64 v[150:151], v132
	s_waitcnt vmcnt(0) lgkmcnt(0)
	v_mul_f64 v[129:130], v[129:130], v[150:151]
	s_cbranch_execz .LBB127_302
	s_branch .LBB127_303
.LBB127_301:
                                        ; implicit-def: $vgpr129_vgpr130
.LBB127_302:
	ds_load_b64 v[129:130], v132
.LBB127_303:
	s_and_saveexec_b32 s4, s1
	s_cbranch_execz .LBB127_307
; %bb.304:
	v_mov_b32_e32 v150, 0
	v_subrev_nc_u32_e32 v151, 33, v0
	s_movk_i32 s5, 0x308
	s_mov_b32 s1, 0
	s_delay_alu instid0(VALU_DEP_2)
	v_add_nc_u32_e32 v150, 0x108, v150
.LBB127_305:                            ; =>This Inner Loop Header: Depth=1
	scratch_load_b64 v[152:153], v150, off
	v_dual_mov_b32 v154, s5 :: v_dual_add_nc_u32 v151, -1, v151
	v_add_nc_u32_e32 v150, 8, v150
	s_add_i32 s5, s5, 8
	ds_load_b64 v[154:155], v154
	v_cmp_eq_u32_e32 vcc_lo, 0, v151
	s_or_b32 s1, vcc_lo, s1
	s_waitcnt vmcnt(0) lgkmcnt(0)
	v_fma_f64 v[129:130], v[152:153], v[154:155], v[129:130]
	s_and_not1_b32 exec_lo, exec_lo, s1
	s_cbranch_execnz .LBB127_305
; %bb.306:
	s_or_b32 exec_lo, exec_lo, s1
.LBB127_307:
	s_delay_alu instid0(SALU_CYCLE_1)
	s_or_b32 exec_lo, exec_lo, s4
	v_mov_b32_e32 v150, 0
	ds_load_b64 v[150:151], v150 offset:256
	s_waitcnt lgkmcnt(0)
	v_mul_f64 v[129:130], v[129:130], v[150:151]
	scratch_store_b64 off, v[129:130], off offset:256
.LBB127_308:
	s_or_b32 exec_lo, exec_lo, s3
	scratch_load_b64 v[129:130], off, off offset:248
	v_cmp_lt_u32_e64 s1, 31, v0
	s_waitcnt vmcnt(0)
	ds_store_b64 v132, v[129:130]
	s_waitcnt lgkmcnt(0)
	s_waitcnt_vscnt null, 0x0
	s_barrier
	buffer_gl0_inv
	s_and_saveexec_b32 s3, s1
	s_cbranch_execz .LBB127_318
; %bb.309:
	s_and_not1_b32 vcc_lo, exec_lo, s2
	s_cbranch_vccnz .LBB127_311
; %bb.310:
	scratch_load_b64 v[129:130], v133, off
	ds_load_b64 v[150:151], v132
	s_waitcnt vmcnt(0) lgkmcnt(0)
	v_mul_f64 v[129:130], v[129:130], v[150:151]
	s_cbranch_execz .LBB127_312
	s_branch .LBB127_313
.LBB127_311:
                                        ; implicit-def: $vgpr129_vgpr130
.LBB127_312:
	ds_load_b64 v[129:130], v132
.LBB127_313:
	s_and_saveexec_b32 s4, s0
	s_cbranch_execz .LBB127_317
; %bb.314:
	v_subrev_nc_u32_e32 v150, 32, v0
	s_movk_i32 s5, 0x300
	s_mov_b32 s0, 0
.LBB127_315:                            ; =>This Inner Loop Header: Depth=1
	scratch_load_b64 v[151:152], v149, off
	v_dual_mov_b32 v153, s5 :: v_dual_add_nc_u32 v150, -1, v150
	v_add_nc_u32_e32 v149, 8, v149
	s_add_i32 s5, s5, 8
	ds_load_b64 v[153:154], v153
	v_cmp_eq_u32_e32 vcc_lo, 0, v150
	s_or_b32 s0, vcc_lo, s0
	s_waitcnt vmcnt(0) lgkmcnt(0)
	v_fma_f64 v[129:130], v[151:152], v[153:154], v[129:130]
	s_and_not1_b32 exec_lo, exec_lo, s0
	s_cbranch_execnz .LBB127_315
; %bb.316:
	s_or_b32 exec_lo, exec_lo, s0
.LBB127_317:
	s_delay_alu instid0(SALU_CYCLE_1)
	s_or_b32 exec_lo, exec_lo, s4
	v_mov_b32_e32 v149, 0
	ds_load_b64 v[149:150], v149 offset:248
	s_waitcnt lgkmcnt(0)
	v_mul_f64 v[129:130], v[129:130], v[149:150]
	scratch_store_b64 off, v[129:130], off offset:248
.LBB127_318:
	s_or_b32 exec_lo, exec_lo, s3
	scratch_load_b64 v[129:130], off, off offset:240
	v_cmp_lt_u32_e64 s0, 30, v0
	s_waitcnt vmcnt(0)
	ds_store_b64 v132, v[129:130]
	s_waitcnt lgkmcnt(0)
	s_waitcnt_vscnt null, 0x0
	s_barrier
	buffer_gl0_inv
	s_and_saveexec_b32 s3, s0
	s_cbranch_execz .LBB127_328
; %bb.319:
	s_and_not1_b32 vcc_lo, exec_lo, s2
	s_cbranch_vccnz .LBB127_321
; %bb.320:
	scratch_load_b64 v[129:130], v133, off
	ds_load_b64 v[149:150], v132
	s_waitcnt vmcnt(0) lgkmcnt(0)
	v_mul_f64 v[129:130], v[129:130], v[149:150]
	s_cbranch_execz .LBB127_322
	s_branch .LBB127_323
.LBB127_321:
                                        ; implicit-def: $vgpr129_vgpr130
.LBB127_322:
	ds_load_b64 v[129:130], v132
.LBB127_323:
	s_and_saveexec_b32 s4, s1
	s_cbranch_execz .LBB127_327
; %bb.324:
	v_mov_b32_e32 v149, 0
	v_subrev_nc_u32_e32 v150, 31, v0
	s_movk_i32 s5, 0x2f8
	s_mov_b32 s1, 0
	s_delay_alu instid0(VALU_DEP_2)
	v_add_nc_u32_e32 v149, 0xf8, v149
.LBB127_325:                            ; =>This Inner Loop Header: Depth=1
	scratch_load_b64 v[151:152], v149, off
	v_dual_mov_b32 v153, s5 :: v_dual_add_nc_u32 v150, -1, v150
	v_add_nc_u32_e32 v149, 8, v149
	s_add_i32 s5, s5, 8
	ds_load_b64 v[153:154], v153
	v_cmp_eq_u32_e32 vcc_lo, 0, v150
	s_or_b32 s1, vcc_lo, s1
	s_waitcnt vmcnt(0) lgkmcnt(0)
	v_fma_f64 v[129:130], v[151:152], v[153:154], v[129:130]
	s_and_not1_b32 exec_lo, exec_lo, s1
	s_cbranch_execnz .LBB127_325
; %bb.326:
	s_or_b32 exec_lo, exec_lo, s1
.LBB127_327:
	s_delay_alu instid0(SALU_CYCLE_1)
	s_or_b32 exec_lo, exec_lo, s4
	v_mov_b32_e32 v149, 0
	ds_load_b64 v[149:150], v149 offset:240
	s_waitcnt lgkmcnt(0)
	v_mul_f64 v[129:130], v[129:130], v[149:150]
	scratch_store_b64 off, v[129:130], off offset:240
.LBB127_328:
	s_or_b32 exec_lo, exec_lo, s3
	scratch_load_b64 v[129:130], off, off offset:232
	v_cmp_lt_u32_e64 s1, 29, v0
	s_waitcnt vmcnt(0)
	ds_store_b64 v132, v[129:130]
	s_waitcnt lgkmcnt(0)
	s_waitcnt_vscnt null, 0x0
	s_barrier
	buffer_gl0_inv
	s_and_saveexec_b32 s3, s1
	s_cbranch_execz .LBB127_338
; %bb.329:
	s_and_not1_b32 vcc_lo, exec_lo, s2
	s_cbranch_vccnz .LBB127_331
; %bb.330:
	scratch_load_b64 v[129:130], v133, off
	ds_load_b64 v[149:150], v132
	s_waitcnt vmcnt(0) lgkmcnt(0)
	v_mul_f64 v[129:130], v[129:130], v[149:150]
	s_cbranch_execz .LBB127_332
	s_branch .LBB127_333
.LBB127_331:
                                        ; implicit-def: $vgpr129_vgpr130
.LBB127_332:
	ds_load_b64 v[129:130], v132
.LBB127_333:
	s_and_saveexec_b32 s4, s0
	s_cbranch_execz .LBB127_337
; %bb.334:
	v_subrev_nc_u32_e32 v149, 30, v0
	s_movk_i32 s5, 0x2f0
	s_mov_b32 s0, 0
.LBB127_335:                            ; =>This Inner Loop Header: Depth=1
	scratch_load_b64 v[150:151], v148, off
	v_dual_mov_b32 v152, s5 :: v_dual_add_nc_u32 v149, -1, v149
	v_add_nc_u32_e32 v148, 8, v148
	s_add_i32 s5, s5, 8
	ds_load_b64 v[152:153], v152
	v_cmp_eq_u32_e32 vcc_lo, 0, v149
	s_or_b32 s0, vcc_lo, s0
	s_waitcnt vmcnt(0) lgkmcnt(0)
	v_fma_f64 v[129:130], v[150:151], v[152:153], v[129:130]
	s_and_not1_b32 exec_lo, exec_lo, s0
	s_cbranch_execnz .LBB127_335
; %bb.336:
	s_or_b32 exec_lo, exec_lo, s0
.LBB127_337:
	s_delay_alu instid0(SALU_CYCLE_1)
	s_or_b32 exec_lo, exec_lo, s4
	v_mov_b32_e32 v148, 0
	ds_load_b64 v[148:149], v148 offset:232
	s_waitcnt lgkmcnt(0)
	v_mul_f64 v[129:130], v[129:130], v[148:149]
	scratch_store_b64 off, v[129:130], off offset:232
.LBB127_338:
	s_or_b32 exec_lo, exec_lo, s3
	scratch_load_b64 v[129:130], off, off offset:224
	v_cmp_lt_u32_e64 s0, 28, v0
	s_waitcnt vmcnt(0)
	ds_store_b64 v132, v[129:130]
	s_waitcnt lgkmcnt(0)
	s_waitcnt_vscnt null, 0x0
	s_barrier
	buffer_gl0_inv
	s_and_saveexec_b32 s3, s0
	s_cbranch_execz .LBB127_348
; %bb.339:
	s_and_not1_b32 vcc_lo, exec_lo, s2
	s_cbranch_vccnz .LBB127_341
; %bb.340:
	scratch_load_b64 v[129:130], v133, off
	ds_load_b64 v[148:149], v132
	s_waitcnt vmcnt(0) lgkmcnt(0)
	v_mul_f64 v[129:130], v[129:130], v[148:149]
	s_cbranch_execz .LBB127_342
	s_branch .LBB127_343
.LBB127_341:
                                        ; implicit-def: $vgpr129_vgpr130
.LBB127_342:
	ds_load_b64 v[129:130], v132
.LBB127_343:
	s_and_saveexec_b32 s4, s1
	s_cbranch_execz .LBB127_347
; %bb.344:
	v_mov_b32_e32 v148, 0
	v_subrev_nc_u32_e32 v149, 29, v0
	s_movk_i32 s5, 0x2e8
	s_mov_b32 s1, 0
	s_delay_alu instid0(VALU_DEP_2)
	v_add_nc_u32_e32 v148, 0xe8, v148
.LBB127_345:                            ; =>This Inner Loop Header: Depth=1
	scratch_load_b64 v[150:151], v148, off
	v_dual_mov_b32 v152, s5 :: v_dual_add_nc_u32 v149, -1, v149
	v_add_nc_u32_e32 v148, 8, v148
	s_add_i32 s5, s5, 8
	ds_load_b64 v[152:153], v152
	v_cmp_eq_u32_e32 vcc_lo, 0, v149
	s_or_b32 s1, vcc_lo, s1
	s_waitcnt vmcnt(0) lgkmcnt(0)
	v_fma_f64 v[129:130], v[150:151], v[152:153], v[129:130]
	s_and_not1_b32 exec_lo, exec_lo, s1
	s_cbranch_execnz .LBB127_345
; %bb.346:
	s_or_b32 exec_lo, exec_lo, s1
.LBB127_347:
	s_delay_alu instid0(SALU_CYCLE_1)
	s_or_b32 exec_lo, exec_lo, s4
	v_mov_b32_e32 v148, 0
	ds_load_b64 v[148:149], v148 offset:224
	s_waitcnt lgkmcnt(0)
	v_mul_f64 v[129:130], v[129:130], v[148:149]
	scratch_store_b64 off, v[129:130], off offset:224
.LBB127_348:
	s_or_b32 exec_lo, exec_lo, s3
	scratch_load_b64 v[129:130], off, off offset:216
	v_cmp_lt_u32_e64 s1, 27, v0
	s_waitcnt vmcnt(0)
	ds_store_b64 v132, v[129:130]
	s_waitcnt lgkmcnt(0)
	s_waitcnt_vscnt null, 0x0
	s_barrier
	buffer_gl0_inv
	s_and_saveexec_b32 s3, s1
	s_cbranch_execz .LBB127_358
; %bb.349:
	s_and_not1_b32 vcc_lo, exec_lo, s2
	s_cbranch_vccnz .LBB127_351
; %bb.350:
	scratch_load_b64 v[129:130], v133, off
	ds_load_b64 v[148:149], v132
	s_waitcnt vmcnt(0) lgkmcnt(0)
	v_mul_f64 v[129:130], v[129:130], v[148:149]
	s_cbranch_execz .LBB127_352
	s_branch .LBB127_353
.LBB127_351:
                                        ; implicit-def: $vgpr129_vgpr130
.LBB127_352:
	ds_load_b64 v[129:130], v132
.LBB127_353:
	s_and_saveexec_b32 s4, s0
	s_cbranch_execz .LBB127_357
; %bb.354:
	v_subrev_nc_u32_e32 v148, 28, v0
	s_movk_i32 s5, 0x2e0
	s_mov_b32 s0, 0
.LBB127_355:                            ; =>This Inner Loop Header: Depth=1
	scratch_load_b64 v[149:150], v147, off
	v_dual_mov_b32 v151, s5 :: v_dual_add_nc_u32 v148, -1, v148
	v_add_nc_u32_e32 v147, 8, v147
	s_add_i32 s5, s5, 8
	ds_load_b64 v[151:152], v151
	v_cmp_eq_u32_e32 vcc_lo, 0, v148
	s_or_b32 s0, vcc_lo, s0
	s_waitcnt vmcnt(0) lgkmcnt(0)
	v_fma_f64 v[129:130], v[149:150], v[151:152], v[129:130]
	s_and_not1_b32 exec_lo, exec_lo, s0
	s_cbranch_execnz .LBB127_355
; %bb.356:
	s_or_b32 exec_lo, exec_lo, s0
.LBB127_357:
	s_delay_alu instid0(SALU_CYCLE_1)
	s_or_b32 exec_lo, exec_lo, s4
	v_mov_b32_e32 v147, 0
	ds_load_b64 v[147:148], v147 offset:216
	s_waitcnt lgkmcnt(0)
	v_mul_f64 v[129:130], v[129:130], v[147:148]
	scratch_store_b64 off, v[129:130], off offset:216
.LBB127_358:
	s_or_b32 exec_lo, exec_lo, s3
	scratch_load_b64 v[129:130], off, off offset:208
	v_cmp_lt_u32_e64 s0, 26, v0
	s_waitcnt vmcnt(0)
	ds_store_b64 v132, v[129:130]
	s_waitcnt lgkmcnt(0)
	s_waitcnt_vscnt null, 0x0
	s_barrier
	buffer_gl0_inv
	s_and_saveexec_b32 s3, s0
	s_cbranch_execz .LBB127_368
; %bb.359:
	s_and_not1_b32 vcc_lo, exec_lo, s2
	s_cbranch_vccnz .LBB127_361
; %bb.360:
	scratch_load_b64 v[129:130], v133, off
	ds_load_b64 v[147:148], v132
	s_waitcnt vmcnt(0) lgkmcnt(0)
	v_mul_f64 v[129:130], v[129:130], v[147:148]
	s_cbranch_execz .LBB127_362
	s_branch .LBB127_363
.LBB127_361:
                                        ; implicit-def: $vgpr129_vgpr130
.LBB127_362:
	ds_load_b64 v[129:130], v132
.LBB127_363:
	s_and_saveexec_b32 s4, s1
	s_cbranch_execz .LBB127_367
; %bb.364:
	v_mov_b32_e32 v147, 0
	v_subrev_nc_u32_e32 v148, 27, v0
	s_movk_i32 s5, 0x2d8
	s_mov_b32 s1, 0
	s_delay_alu instid0(VALU_DEP_2)
	v_add_nc_u32_e32 v147, 0xd8, v147
.LBB127_365:                            ; =>This Inner Loop Header: Depth=1
	scratch_load_b64 v[149:150], v147, off
	v_dual_mov_b32 v151, s5 :: v_dual_add_nc_u32 v148, -1, v148
	v_add_nc_u32_e32 v147, 8, v147
	s_add_i32 s5, s5, 8
	ds_load_b64 v[151:152], v151
	v_cmp_eq_u32_e32 vcc_lo, 0, v148
	s_or_b32 s1, vcc_lo, s1
	s_waitcnt vmcnt(0) lgkmcnt(0)
	v_fma_f64 v[129:130], v[149:150], v[151:152], v[129:130]
	s_and_not1_b32 exec_lo, exec_lo, s1
	s_cbranch_execnz .LBB127_365
; %bb.366:
	s_or_b32 exec_lo, exec_lo, s1
.LBB127_367:
	s_delay_alu instid0(SALU_CYCLE_1)
	s_or_b32 exec_lo, exec_lo, s4
	v_mov_b32_e32 v147, 0
	ds_load_b64 v[147:148], v147 offset:208
	s_waitcnt lgkmcnt(0)
	v_mul_f64 v[129:130], v[129:130], v[147:148]
	scratch_store_b64 off, v[129:130], off offset:208
.LBB127_368:
	s_or_b32 exec_lo, exec_lo, s3
	scratch_load_b64 v[129:130], off, off offset:200
	v_cmp_lt_u32_e64 s1, 25, v0
	s_waitcnt vmcnt(0)
	ds_store_b64 v132, v[129:130]
	s_waitcnt lgkmcnt(0)
	s_waitcnt_vscnt null, 0x0
	s_barrier
	buffer_gl0_inv
	s_and_saveexec_b32 s3, s1
	s_cbranch_execz .LBB127_378
; %bb.369:
	s_and_not1_b32 vcc_lo, exec_lo, s2
	s_cbranch_vccnz .LBB127_371
; %bb.370:
	scratch_load_b64 v[129:130], v133, off
	ds_load_b64 v[147:148], v132
	s_waitcnt vmcnt(0) lgkmcnt(0)
	v_mul_f64 v[129:130], v[129:130], v[147:148]
	s_cbranch_execz .LBB127_372
	s_branch .LBB127_373
.LBB127_371:
                                        ; implicit-def: $vgpr129_vgpr130
.LBB127_372:
	ds_load_b64 v[129:130], v132
.LBB127_373:
	s_and_saveexec_b32 s4, s0
	s_cbranch_execz .LBB127_377
; %bb.374:
	v_subrev_nc_u32_e32 v147, 26, v0
	s_movk_i32 s5, 0x2d0
	s_mov_b32 s0, 0
.LBB127_375:                            ; =>This Inner Loop Header: Depth=1
	scratch_load_b64 v[148:149], v146, off
	v_dual_mov_b32 v150, s5 :: v_dual_add_nc_u32 v147, -1, v147
	v_add_nc_u32_e32 v146, 8, v146
	s_add_i32 s5, s5, 8
	ds_load_b64 v[150:151], v150
	v_cmp_eq_u32_e32 vcc_lo, 0, v147
	s_or_b32 s0, vcc_lo, s0
	s_waitcnt vmcnt(0) lgkmcnt(0)
	v_fma_f64 v[129:130], v[148:149], v[150:151], v[129:130]
	s_and_not1_b32 exec_lo, exec_lo, s0
	s_cbranch_execnz .LBB127_375
; %bb.376:
	s_or_b32 exec_lo, exec_lo, s0
.LBB127_377:
	s_delay_alu instid0(SALU_CYCLE_1)
	s_or_b32 exec_lo, exec_lo, s4
	v_mov_b32_e32 v146, 0
	ds_load_b64 v[146:147], v146 offset:200
	s_waitcnt lgkmcnt(0)
	v_mul_f64 v[129:130], v[129:130], v[146:147]
	scratch_store_b64 off, v[129:130], off offset:200
.LBB127_378:
	s_or_b32 exec_lo, exec_lo, s3
	scratch_load_b64 v[129:130], off, off offset:192
	v_cmp_lt_u32_e64 s0, 24, v0
	s_waitcnt vmcnt(0)
	ds_store_b64 v132, v[129:130]
	s_waitcnt lgkmcnt(0)
	s_waitcnt_vscnt null, 0x0
	s_barrier
	buffer_gl0_inv
	s_and_saveexec_b32 s3, s0
	s_cbranch_execz .LBB127_388
; %bb.379:
	s_and_not1_b32 vcc_lo, exec_lo, s2
	s_cbranch_vccnz .LBB127_381
; %bb.380:
	scratch_load_b64 v[129:130], v133, off
	ds_load_b64 v[146:147], v132
	s_waitcnt vmcnt(0) lgkmcnt(0)
	v_mul_f64 v[129:130], v[129:130], v[146:147]
	s_cbranch_execz .LBB127_382
	s_branch .LBB127_383
.LBB127_381:
                                        ; implicit-def: $vgpr129_vgpr130
.LBB127_382:
	ds_load_b64 v[129:130], v132
.LBB127_383:
	s_and_saveexec_b32 s4, s1
	s_cbranch_execz .LBB127_387
; %bb.384:
	v_mov_b32_e32 v146, 0
	v_subrev_nc_u32_e32 v147, 25, v0
	s_movk_i32 s5, 0x2c8
	s_mov_b32 s1, 0
	s_delay_alu instid0(VALU_DEP_2)
	v_add_nc_u32_e32 v146, 0xc8, v146
.LBB127_385:                            ; =>This Inner Loop Header: Depth=1
	scratch_load_b64 v[148:149], v146, off
	v_dual_mov_b32 v150, s5 :: v_dual_add_nc_u32 v147, -1, v147
	v_add_nc_u32_e32 v146, 8, v146
	s_add_i32 s5, s5, 8
	ds_load_b64 v[150:151], v150
	v_cmp_eq_u32_e32 vcc_lo, 0, v147
	s_or_b32 s1, vcc_lo, s1
	s_waitcnt vmcnt(0) lgkmcnt(0)
	v_fma_f64 v[129:130], v[148:149], v[150:151], v[129:130]
	s_and_not1_b32 exec_lo, exec_lo, s1
	s_cbranch_execnz .LBB127_385
; %bb.386:
	s_or_b32 exec_lo, exec_lo, s1
.LBB127_387:
	s_delay_alu instid0(SALU_CYCLE_1)
	s_or_b32 exec_lo, exec_lo, s4
	v_mov_b32_e32 v146, 0
	ds_load_b64 v[146:147], v146 offset:192
	s_waitcnt lgkmcnt(0)
	v_mul_f64 v[129:130], v[129:130], v[146:147]
	scratch_store_b64 off, v[129:130], off offset:192
.LBB127_388:
	s_or_b32 exec_lo, exec_lo, s3
	scratch_load_b64 v[129:130], off, off offset:184
	v_cmp_lt_u32_e64 s1, 23, v0
	s_waitcnt vmcnt(0)
	ds_store_b64 v132, v[129:130]
	s_waitcnt lgkmcnt(0)
	s_waitcnt_vscnt null, 0x0
	s_barrier
	buffer_gl0_inv
	s_and_saveexec_b32 s3, s1
	s_cbranch_execz .LBB127_398
; %bb.389:
	s_and_not1_b32 vcc_lo, exec_lo, s2
	s_cbranch_vccnz .LBB127_391
; %bb.390:
	scratch_load_b64 v[129:130], v133, off
	ds_load_b64 v[146:147], v132
	s_waitcnt vmcnt(0) lgkmcnt(0)
	v_mul_f64 v[129:130], v[129:130], v[146:147]
	s_cbranch_execz .LBB127_392
	s_branch .LBB127_393
.LBB127_391:
                                        ; implicit-def: $vgpr129_vgpr130
.LBB127_392:
	ds_load_b64 v[129:130], v132
.LBB127_393:
	s_and_saveexec_b32 s4, s0
	s_cbranch_execz .LBB127_397
; %bb.394:
	v_subrev_nc_u32_e32 v146, 24, v0
	s_movk_i32 s5, 0x2c0
	s_mov_b32 s0, 0
.LBB127_395:                            ; =>This Inner Loop Header: Depth=1
	scratch_load_b64 v[147:148], v145, off
	v_dual_mov_b32 v149, s5 :: v_dual_add_nc_u32 v146, -1, v146
	v_add_nc_u32_e32 v145, 8, v145
	s_add_i32 s5, s5, 8
	ds_load_b64 v[149:150], v149
	v_cmp_eq_u32_e32 vcc_lo, 0, v146
	s_or_b32 s0, vcc_lo, s0
	s_waitcnt vmcnt(0) lgkmcnt(0)
	v_fma_f64 v[129:130], v[147:148], v[149:150], v[129:130]
	s_and_not1_b32 exec_lo, exec_lo, s0
	s_cbranch_execnz .LBB127_395
; %bb.396:
	s_or_b32 exec_lo, exec_lo, s0
.LBB127_397:
	s_delay_alu instid0(SALU_CYCLE_1)
	s_or_b32 exec_lo, exec_lo, s4
	v_mov_b32_e32 v145, 0
	ds_load_b64 v[145:146], v145 offset:184
	s_waitcnt lgkmcnt(0)
	v_mul_f64 v[129:130], v[129:130], v[145:146]
	scratch_store_b64 off, v[129:130], off offset:184
.LBB127_398:
	s_or_b32 exec_lo, exec_lo, s3
	scratch_load_b64 v[129:130], off, off offset:176
	v_cmp_lt_u32_e64 s0, 22, v0
	s_waitcnt vmcnt(0)
	ds_store_b64 v132, v[129:130]
	s_waitcnt lgkmcnt(0)
	s_waitcnt_vscnt null, 0x0
	s_barrier
	buffer_gl0_inv
	s_and_saveexec_b32 s3, s0
	s_cbranch_execz .LBB127_408
; %bb.399:
	s_and_not1_b32 vcc_lo, exec_lo, s2
	s_cbranch_vccnz .LBB127_401
; %bb.400:
	scratch_load_b64 v[129:130], v133, off
	ds_load_b64 v[145:146], v132
	s_waitcnt vmcnt(0) lgkmcnt(0)
	v_mul_f64 v[129:130], v[129:130], v[145:146]
	s_cbranch_execz .LBB127_402
	s_branch .LBB127_403
.LBB127_401:
                                        ; implicit-def: $vgpr129_vgpr130
.LBB127_402:
	ds_load_b64 v[129:130], v132
.LBB127_403:
	s_and_saveexec_b32 s4, s1
	s_cbranch_execz .LBB127_407
; %bb.404:
	v_mov_b32_e32 v145, 0
	v_subrev_nc_u32_e32 v146, 23, v0
	s_movk_i32 s5, 0x2b8
	s_mov_b32 s1, 0
	s_delay_alu instid0(VALU_DEP_2)
	v_add_nc_u32_e32 v145, 0xb8, v145
.LBB127_405:                            ; =>This Inner Loop Header: Depth=1
	scratch_load_b64 v[147:148], v145, off
	v_dual_mov_b32 v149, s5 :: v_dual_add_nc_u32 v146, -1, v146
	v_add_nc_u32_e32 v145, 8, v145
	s_add_i32 s5, s5, 8
	ds_load_b64 v[149:150], v149
	v_cmp_eq_u32_e32 vcc_lo, 0, v146
	s_or_b32 s1, vcc_lo, s1
	s_waitcnt vmcnt(0) lgkmcnt(0)
	v_fma_f64 v[129:130], v[147:148], v[149:150], v[129:130]
	s_and_not1_b32 exec_lo, exec_lo, s1
	s_cbranch_execnz .LBB127_405
; %bb.406:
	s_or_b32 exec_lo, exec_lo, s1
.LBB127_407:
	s_delay_alu instid0(SALU_CYCLE_1)
	s_or_b32 exec_lo, exec_lo, s4
	v_mov_b32_e32 v145, 0
	ds_load_b64 v[145:146], v145 offset:176
	s_waitcnt lgkmcnt(0)
	v_mul_f64 v[129:130], v[129:130], v[145:146]
	scratch_store_b64 off, v[129:130], off offset:176
.LBB127_408:
	s_or_b32 exec_lo, exec_lo, s3
	scratch_load_b64 v[129:130], off, off offset:168
	v_cmp_lt_u32_e64 s1, 21, v0
	s_waitcnt vmcnt(0)
	ds_store_b64 v132, v[129:130]
	s_waitcnt lgkmcnt(0)
	s_waitcnt_vscnt null, 0x0
	s_barrier
	buffer_gl0_inv
	s_and_saveexec_b32 s3, s1
	s_cbranch_execz .LBB127_418
; %bb.409:
	s_and_not1_b32 vcc_lo, exec_lo, s2
	s_cbranch_vccnz .LBB127_411
; %bb.410:
	scratch_load_b64 v[129:130], v133, off
	ds_load_b64 v[145:146], v132
	s_waitcnt vmcnt(0) lgkmcnt(0)
	v_mul_f64 v[129:130], v[129:130], v[145:146]
	s_cbranch_execz .LBB127_412
	s_branch .LBB127_413
.LBB127_411:
                                        ; implicit-def: $vgpr129_vgpr130
.LBB127_412:
	ds_load_b64 v[129:130], v132
.LBB127_413:
	s_and_saveexec_b32 s4, s0
	s_cbranch_execz .LBB127_417
; %bb.414:
	v_subrev_nc_u32_e32 v145, 22, v0
	s_movk_i32 s5, 0x2b0
	s_mov_b32 s0, 0
.LBB127_415:                            ; =>This Inner Loop Header: Depth=1
	scratch_load_b64 v[146:147], v144, off
	v_dual_mov_b32 v148, s5 :: v_dual_add_nc_u32 v145, -1, v145
	v_add_nc_u32_e32 v144, 8, v144
	s_add_i32 s5, s5, 8
	ds_load_b64 v[148:149], v148
	v_cmp_eq_u32_e32 vcc_lo, 0, v145
	s_or_b32 s0, vcc_lo, s0
	s_waitcnt vmcnt(0) lgkmcnt(0)
	v_fma_f64 v[129:130], v[146:147], v[148:149], v[129:130]
	s_and_not1_b32 exec_lo, exec_lo, s0
	s_cbranch_execnz .LBB127_415
; %bb.416:
	s_or_b32 exec_lo, exec_lo, s0
.LBB127_417:
	s_delay_alu instid0(SALU_CYCLE_1)
	s_or_b32 exec_lo, exec_lo, s4
	v_mov_b32_e32 v144, 0
	ds_load_b64 v[144:145], v144 offset:168
	s_waitcnt lgkmcnt(0)
	v_mul_f64 v[129:130], v[129:130], v[144:145]
	scratch_store_b64 off, v[129:130], off offset:168
.LBB127_418:
	s_or_b32 exec_lo, exec_lo, s3
	scratch_load_b64 v[129:130], off, off offset:160
	v_cmp_lt_u32_e64 s0, 20, v0
	s_waitcnt vmcnt(0)
	ds_store_b64 v132, v[129:130]
	s_waitcnt lgkmcnt(0)
	s_waitcnt_vscnt null, 0x0
	s_barrier
	buffer_gl0_inv
	s_and_saveexec_b32 s3, s0
	s_cbranch_execz .LBB127_428
; %bb.419:
	s_and_not1_b32 vcc_lo, exec_lo, s2
	s_cbranch_vccnz .LBB127_421
; %bb.420:
	scratch_load_b64 v[129:130], v133, off
	ds_load_b64 v[144:145], v132
	s_waitcnt vmcnt(0) lgkmcnt(0)
	v_mul_f64 v[129:130], v[129:130], v[144:145]
	s_cbranch_execz .LBB127_422
	s_branch .LBB127_423
.LBB127_421:
                                        ; implicit-def: $vgpr129_vgpr130
.LBB127_422:
	ds_load_b64 v[129:130], v132
.LBB127_423:
	s_and_saveexec_b32 s4, s1
	s_cbranch_execz .LBB127_427
; %bb.424:
	v_mov_b32_e32 v144, 0
	v_subrev_nc_u32_e32 v145, 21, v0
	s_movk_i32 s5, 0x2a8
	s_mov_b32 s1, 0
	s_delay_alu instid0(VALU_DEP_2)
	v_add_nc_u32_e32 v144, 0xa8, v144
.LBB127_425:                            ; =>This Inner Loop Header: Depth=1
	scratch_load_b64 v[146:147], v144, off
	v_dual_mov_b32 v148, s5 :: v_dual_add_nc_u32 v145, -1, v145
	v_add_nc_u32_e32 v144, 8, v144
	s_add_i32 s5, s5, 8
	ds_load_b64 v[148:149], v148
	v_cmp_eq_u32_e32 vcc_lo, 0, v145
	s_or_b32 s1, vcc_lo, s1
	s_waitcnt vmcnt(0) lgkmcnt(0)
	v_fma_f64 v[129:130], v[146:147], v[148:149], v[129:130]
	s_and_not1_b32 exec_lo, exec_lo, s1
	s_cbranch_execnz .LBB127_425
; %bb.426:
	s_or_b32 exec_lo, exec_lo, s1
.LBB127_427:
	s_delay_alu instid0(SALU_CYCLE_1)
	s_or_b32 exec_lo, exec_lo, s4
	v_mov_b32_e32 v144, 0
	ds_load_b64 v[144:145], v144 offset:160
	s_waitcnt lgkmcnt(0)
	v_mul_f64 v[129:130], v[129:130], v[144:145]
	scratch_store_b64 off, v[129:130], off offset:160
.LBB127_428:
	s_or_b32 exec_lo, exec_lo, s3
	scratch_load_b64 v[129:130], off, off offset:152
	v_cmp_lt_u32_e64 s1, 19, v0
	s_waitcnt vmcnt(0)
	ds_store_b64 v132, v[129:130]
	s_waitcnt lgkmcnt(0)
	s_waitcnt_vscnt null, 0x0
	s_barrier
	buffer_gl0_inv
	s_and_saveexec_b32 s3, s1
	s_cbranch_execz .LBB127_438
; %bb.429:
	s_and_not1_b32 vcc_lo, exec_lo, s2
	s_cbranch_vccnz .LBB127_431
; %bb.430:
	scratch_load_b64 v[129:130], v133, off
	ds_load_b64 v[144:145], v132
	s_waitcnt vmcnt(0) lgkmcnt(0)
	v_mul_f64 v[129:130], v[129:130], v[144:145]
	s_cbranch_execz .LBB127_432
	s_branch .LBB127_433
.LBB127_431:
                                        ; implicit-def: $vgpr129_vgpr130
.LBB127_432:
	ds_load_b64 v[129:130], v132
.LBB127_433:
	s_and_saveexec_b32 s4, s0
	s_cbranch_execz .LBB127_437
; %bb.434:
	v_subrev_nc_u32_e32 v144, 20, v0
	s_movk_i32 s5, 0x2a0
	s_mov_b32 s0, 0
.LBB127_435:                            ; =>This Inner Loop Header: Depth=1
	scratch_load_b64 v[145:146], v143, off
	v_dual_mov_b32 v147, s5 :: v_dual_add_nc_u32 v144, -1, v144
	v_add_nc_u32_e32 v143, 8, v143
	s_add_i32 s5, s5, 8
	ds_load_b64 v[147:148], v147
	v_cmp_eq_u32_e32 vcc_lo, 0, v144
	s_or_b32 s0, vcc_lo, s0
	s_waitcnt vmcnt(0) lgkmcnt(0)
	v_fma_f64 v[129:130], v[145:146], v[147:148], v[129:130]
	s_and_not1_b32 exec_lo, exec_lo, s0
	s_cbranch_execnz .LBB127_435
; %bb.436:
	s_or_b32 exec_lo, exec_lo, s0
.LBB127_437:
	s_delay_alu instid0(SALU_CYCLE_1)
	s_or_b32 exec_lo, exec_lo, s4
	v_mov_b32_e32 v143, 0
	ds_load_b64 v[143:144], v143 offset:152
	s_waitcnt lgkmcnt(0)
	v_mul_f64 v[129:130], v[129:130], v[143:144]
	scratch_store_b64 off, v[129:130], off offset:152
.LBB127_438:
	s_or_b32 exec_lo, exec_lo, s3
	scratch_load_b64 v[129:130], off, off offset:144
	v_cmp_lt_u32_e64 s0, 18, v0
	s_waitcnt vmcnt(0)
	ds_store_b64 v132, v[129:130]
	s_waitcnt lgkmcnt(0)
	s_waitcnt_vscnt null, 0x0
	s_barrier
	buffer_gl0_inv
	s_and_saveexec_b32 s3, s0
	s_cbranch_execz .LBB127_448
; %bb.439:
	s_and_not1_b32 vcc_lo, exec_lo, s2
	s_cbranch_vccnz .LBB127_441
; %bb.440:
	scratch_load_b64 v[129:130], v133, off
	ds_load_b64 v[143:144], v132
	s_waitcnt vmcnt(0) lgkmcnt(0)
	v_mul_f64 v[129:130], v[129:130], v[143:144]
	s_cbranch_execz .LBB127_442
	s_branch .LBB127_443
.LBB127_441:
                                        ; implicit-def: $vgpr129_vgpr130
.LBB127_442:
	ds_load_b64 v[129:130], v132
.LBB127_443:
	s_and_saveexec_b32 s4, s1
	s_cbranch_execz .LBB127_447
; %bb.444:
	v_mov_b32_e32 v143, 0
	v_subrev_nc_u32_e32 v144, 19, v0
	s_movk_i32 s5, 0x298
	s_mov_b32 s1, 0
	s_delay_alu instid0(VALU_DEP_2)
	v_add_nc_u32_e32 v143, 0x98, v143
.LBB127_445:                            ; =>This Inner Loop Header: Depth=1
	scratch_load_b64 v[145:146], v143, off
	v_dual_mov_b32 v147, s5 :: v_dual_add_nc_u32 v144, -1, v144
	v_add_nc_u32_e32 v143, 8, v143
	s_add_i32 s5, s5, 8
	ds_load_b64 v[147:148], v147
	v_cmp_eq_u32_e32 vcc_lo, 0, v144
	s_or_b32 s1, vcc_lo, s1
	s_waitcnt vmcnt(0) lgkmcnt(0)
	v_fma_f64 v[129:130], v[145:146], v[147:148], v[129:130]
	s_and_not1_b32 exec_lo, exec_lo, s1
	s_cbranch_execnz .LBB127_445
; %bb.446:
	s_or_b32 exec_lo, exec_lo, s1
.LBB127_447:
	s_delay_alu instid0(SALU_CYCLE_1)
	s_or_b32 exec_lo, exec_lo, s4
	v_mov_b32_e32 v143, 0
	ds_load_b64 v[143:144], v143 offset:144
	s_waitcnt lgkmcnt(0)
	v_mul_f64 v[129:130], v[129:130], v[143:144]
	scratch_store_b64 off, v[129:130], off offset:144
.LBB127_448:
	s_or_b32 exec_lo, exec_lo, s3
	scratch_load_b64 v[129:130], off, off offset:136
	v_cmp_lt_u32_e64 s1, 17, v0
	s_waitcnt vmcnt(0)
	ds_store_b64 v132, v[129:130]
	s_waitcnt lgkmcnt(0)
	s_waitcnt_vscnt null, 0x0
	s_barrier
	buffer_gl0_inv
	s_and_saveexec_b32 s3, s1
	s_cbranch_execz .LBB127_458
; %bb.449:
	s_and_not1_b32 vcc_lo, exec_lo, s2
	s_cbranch_vccnz .LBB127_451
; %bb.450:
	scratch_load_b64 v[129:130], v133, off
	ds_load_b64 v[143:144], v132
	s_waitcnt vmcnt(0) lgkmcnt(0)
	v_mul_f64 v[129:130], v[129:130], v[143:144]
	s_cbranch_execz .LBB127_452
	s_branch .LBB127_453
.LBB127_451:
                                        ; implicit-def: $vgpr129_vgpr130
.LBB127_452:
	ds_load_b64 v[129:130], v132
.LBB127_453:
	s_and_saveexec_b32 s4, s0
	s_cbranch_execz .LBB127_457
; %bb.454:
	v_subrev_nc_u32_e32 v143, 18, v0
	s_movk_i32 s5, 0x290
	s_mov_b32 s0, 0
.LBB127_455:                            ; =>This Inner Loop Header: Depth=1
	scratch_load_b64 v[144:145], v142, off
	v_dual_mov_b32 v146, s5 :: v_dual_add_nc_u32 v143, -1, v143
	v_add_nc_u32_e32 v142, 8, v142
	s_add_i32 s5, s5, 8
	ds_load_b64 v[146:147], v146
	v_cmp_eq_u32_e32 vcc_lo, 0, v143
	s_or_b32 s0, vcc_lo, s0
	s_waitcnt vmcnt(0) lgkmcnt(0)
	v_fma_f64 v[129:130], v[144:145], v[146:147], v[129:130]
	s_and_not1_b32 exec_lo, exec_lo, s0
	s_cbranch_execnz .LBB127_455
; %bb.456:
	s_or_b32 exec_lo, exec_lo, s0
.LBB127_457:
	s_delay_alu instid0(SALU_CYCLE_1)
	s_or_b32 exec_lo, exec_lo, s4
	v_mov_b32_e32 v142, 0
	ds_load_b64 v[142:143], v142 offset:136
	s_waitcnt lgkmcnt(0)
	v_mul_f64 v[129:130], v[129:130], v[142:143]
	scratch_store_b64 off, v[129:130], off offset:136
.LBB127_458:
	s_or_b32 exec_lo, exec_lo, s3
	scratch_load_b64 v[129:130], off, off offset:128
	v_cmp_lt_u32_e64 s0, 16, v0
	s_waitcnt vmcnt(0)
	ds_store_b64 v132, v[129:130]
	s_waitcnt lgkmcnt(0)
	s_waitcnt_vscnt null, 0x0
	s_barrier
	buffer_gl0_inv
	s_and_saveexec_b32 s3, s0
	s_cbranch_execz .LBB127_468
; %bb.459:
	s_and_not1_b32 vcc_lo, exec_lo, s2
	s_cbranch_vccnz .LBB127_461
; %bb.460:
	scratch_load_b64 v[129:130], v133, off
	ds_load_b64 v[142:143], v132
	s_waitcnt vmcnt(0) lgkmcnt(0)
	v_mul_f64 v[129:130], v[129:130], v[142:143]
	s_cbranch_execz .LBB127_462
	s_branch .LBB127_463
.LBB127_461:
                                        ; implicit-def: $vgpr129_vgpr130
.LBB127_462:
	ds_load_b64 v[129:130], v132
.LBB127_463:
	s_and_saveexec_b32 s4, s1
	s_cbranch_execz .LBB127_467
; %bb.464:
	v_mov_b32_e32 v142, 0
	v_subrev_nc_u32_e32 v143, 17, v0
	s_movk_i32 s5, 0x288
	s_mov_b32 s1, 0
	s_delay_alu instid0(VALU_DEP_2)
	v_add_nc_u32_e32 v142, 0x88, v142
.LBB127_465:                            ; =>This Inner Loop Header: Depth=1
	scratch_load_b64 v[144:145], v142, off
	v_dual_mov_b32 v146, s5 :: v_dual_add_nc_u32 v143, -1, v143
	v_add_nc_u32_e32 v142, 8, v142
	s_add_i32 s5, s5, 8
	ds_load_b64 v[146:147], v146
	v_cmp_eq_u32_e32 vcc_lo, 0, v143
	s_or_b32 s1, vcc_lo, s1
	s_waitcnt vmcnt(0) lgkmcnt(0)
	v_fma_f64 v[129:130], v[144:145], v[146:147], v[129:130]
	s_and_not1_b32 exec_lo, exec_lo, s1
	s_cbranch_execnz .LBB127_465
; %bb.466:
	s_or_b32 exec_lo, exec_lo, s1
.LBB127_467:
	s_delay_alu instid0(SALU_CYCLE_1)
	s_or_b32 exec_lo, exec_lo, s4
	v_mov_b32_e32 v142, 0
	ds_load_b64 v[142:143], v142 offset:128
	s_waitcnt lgkmcnt(0)
	v_mul_f64 v[129:130], v[129:130], v[142:143]
	scratch_store_b64 off, v[129:130], off offset:128
.LBB127_468:
	s_or_b32 exec_lo, exec_lo, s3
	scratch_load_b64 v[129:130], off, off offset:120
	v_cmp_lt_u32_e64 s1, 15, v0
	s_waitcnt vmcnt(0)
	ds_store_b64 v132, v[129:130]
	s_waitcnt lgkmcnt(0)
	s_waitcnt_vscnt null, 0x0
	s_barrier
	buffer_gl0_inv
	s_and_saveexec_b32 s3, s1
	s_cbranch_execz .LBB127_478
; %bb.469:
	s_and_not1_b32 vcc_lo, exec_lo, s2
	s_cbranch_vccnz .LBB127_471
; %bb.470:
	scratch_load_b64 v[129:130], v133, off
	ds_load_b64 v[142:143], v132
	s_waitcnt vmcnt(0) lgkmcnt(0)
	v_mul_f64 v[129:130], v[129:130], v[142:143]
	s_cbranch_execz .LBB127_472
	s_branch .LBB127_473
.LBB127_471:
                                        ; implicit-def: $vgpr129_vgpr130
.LBB127_472:
	ds_load_b64 v[129:130], v132
.LBB127_473:
	s_and_saveexec_b32 s4, s0
	s_cbranch_execz .LBB127_477
; %bb.474:
	v_add_nc_u32_e32 v142, -16, v0
	s_movk_i32 s5, 0x280
	s_mov_b32 s0, 0
.LBB127_475:                            ; =>This Inner Loop Header: Depth=1
	scratch_load_b64 v[143:144], v141, off
	v_dual_mov_b32 v145, s5 :: v_dual_add_nc_u32 v142, -1, v142
	v_add_nc_u32_e32 v141, 8, v141
	s_add_i32 s5, s5, 8
	ds_load_b64 v[145:146], v145
	v_cmp_eq_u32_e32 vcc_lo, 0, v142
	s_or_b32 s0, vcc_lo, s0
	s_waitcnt vmcnt(0) lgkmcnt(0)
	v_fma_f64 v[129:130], v[143:144], v[145:146], v[129:130]
	s_and_not1_b32 exec_lo, exec_lo, s0
	s_cbranch_execnz .LBB127_475
; %bb.476:
	s_or_b32 exec_lo, exec_lo, s0
.LBB127_477:
	s_delay_alu instid0(SALU_CYCLE_1)
	s_or_b32 exec_lo, exec_lo, s4
	v_mov_b32_e32 v141, 0
	ds_load_b64 v[141:142], v141 offset:120
	s_waitcnt lgkmcnt(0)
	v_mul_f64 v[129:130], v[129:130], v[141:142]
	scratch_store_b64 off, v[129:130], off offset:120
.LBB127_478:
	s_or_b32 exec_lo, exec_lo, s3
	scratch_load_b64 v[129:130], off, off offset:112
	v_cmp_lt_u32_e64 s0, 14, v0
	s_waitcnt vmcnt(0)
	ds_store_b64 v132, v[129:130]
	s_waitcnt lgkmcnt(0)
	s_waitcnt_vscnt null, 0x0
	s_barrier
	buffer_gl0_inv
	s_and_saveexec_b32 s3, s0
	s_cbranch_execz .LBB127_488
; %bb.479:
	s_and_not1_b32 vcc_lo, exec_lo, s2
	s_cbranch_vccnz .LBB127_481
; %bb.480:
	scratch_load_b64 v[129:130], v133, off
	ds_load_b64 v[141:142], v132
	s_waitcnt vmcnt(0) lgkmcnt(0)
	v_mul_f64 v[129:130], v[129:130], v[141:142]
	s_cbranch_execz .LBB127_482
	s_branch .LBB127_483
.LBB127_481:
                                        ; implicit-def: $vgpr129_vgpr130
.LBB127_482:
	ds_load_b64 v[129:130], v132
.LBB127_483:
	s_and_saveexec_b32 s4, s1
	s_cbranch_execz .LBB127_487
; %bb.484:
	v_dual_mov_b32 v141, 0 :: v_dual_add_nc_u32 v142, -15, v0
	s_movk_i32 s5, 0x278
	s_mov_b32 s1, 0
	s_delay_alu instid0(VALU_DEP_1)
	v_add_nc_u32_e32 v141, 0x78, v141
.LBB127_485:                            ; =>This Inner Loop Header: Depth=1
	scratch_load_b64 v[143:144], v141, off
	v_dual_mov_b32 v145, s5 :: v_dual_add_nc_u32 v142, -1, v142
	v_add_nc_u32_e32 v141, 8, v141
	s_add_i32 s5, s5, 8
	ds_load_b64 v[145:146], v145
	v_cmp_eq_u32_e32 vcc_lo, 0, v142
	s_or_b32 s1, vcc_lo, s1
	s_waitcnt vmcnt(0) lgkmcnt(0)
	v_fma_f64 v[129:130], v[143:144], v[145:146], v[129:130]
	s_and_not1_b32 exec_lo, exec_lo, s1
	s_cbranch_execnz .LBB127_485
; %bb.486:
	s_or_b32 exec_lo, exec_lo, s1
.LBB127_487:
	s_delay_alu instid0(SALU_CYCLE_1)
	s_or_b32 exec_lo, exec_lo, s4
	v_mov_b32_e32 v141, 0
	ds_load_b64 v[141:142], v141 offset:112
	s_waitcnt lgkmcnt(0)
	v_mul_f64 v[129:130], v[129:130], v[141:142]
	scratch_store_b64 off, v[129:130], off offset:112
.LBB127_488:
	s_or_b32 exec_lo, exec_lo, s3
	scratch_load_b64 v[129:130], off, off offset:104
	v_cmp_lt_u32_e64 s1, 13, v0
	s_waitcnt vmcnt(0)
	ds_store_b64 v132, v[129:130]
	s_waitcnt lgkmcnt(0)
	s_waitcnt_vscnt null, 0x0
	s_barrier
	buffer_gl0_inv
	s_and_saveexec_b32 s3, s1
	s_cbranch_execz .LBB127_498
; %bb.489:
	s_and_not1_b32 vcc_lo, exec_lo, s2
	s_cbranch_vccnz .LBB127_491
; %bb.490:
	scratch_load_b64 v[129:130], v133, off
	ds_load_b64 v[141:142], v132
	s_waitcnt vmcnt(0) lgkmcnt(0)
	v_mul_f64 v[129:130], v[129:130], v[141:142]
	s_cbranch_execz .LBB127_492
	s_branch .LBB127_493
.LBB127_491:
                                        ; implicit-def: $vgpr129_vgpr130
.LBB127_492:
	ds_load_b64 v[129:130], v132
.LBB127_493:
	s_and_saveexec_b32 s4, s0
	s_cbranch_execz .LBB127_497
; %bb.494:
	v_add_nc_u32_e32 v141, -14, v0
	s_movk_i32 s5, 0x270
	s_mov_b32 s0, 0
.LBB127_495:                            ; =>This Inner Loop Header: Depth=1
	scratch_load_b64 v[142:143], v140, off
	v_dual_mov_b32 v144, s5 :: v_dual_add_nc_u32 v141, -1, v141
	v_add_nc_u32_e32 v140, 8, v140
	s_add_i32 s5, s5, 8
	ds_load_b64 v[144:145], v144
	v_cmp_eq_u32_e32 vcc_lo, 0, v141
	s_or_b32 s0, vcc_lo, s0
	s_waitcnt vmcnt(0) lgkmcnt(0)
	v_fma_f64 v[129:130], v[142:143], v[144:145], v[129:130]
	s_and_not1_b32 exec_lo, exec_lo, s0
	s_cbranch_execnz .LBB127_495
; %bb.496:
	s_or_b32 exec_lo, exec_lo, s0
.LBB127_497:
	s_delay_alu instid0(SALU_CYCLE_1)
	s_or_b32 exec_lo, exec_lo, s4
	v_mov_b32_e32 v140, 0
	ds_load_b64 v[140:141], v140 offset:104
	s_waitcnt lgkmcnt(0)
	v_mul_f64 v[129:130], v[129:130], v[140:141]
	scratch_store_b64 off, v[129:130], off offset:104
.LBB127_498:
	s_or_b32 exec_lo, exec_lo, s3
	scratch_load_b64 v[129:130], off, off offset:96
	v_cmp_lt_u32_e64 s0, 12, v0
	s_waitcnt vmcnt(0)
	ds_store_b64 v132, v[129:130]
	s_waitcnt lgkmcnt(0)
	s_waitcnt_vscnt null, 0x0
	s_barrier
	buffer_gl0_inv
	s_and_saveexec_b32 s3, s0
	s_cbranch_execz .LBB127_508
; %bb.499:
	s_and_not1_b32 vcc_lo, exec_lo, s2
	s_cbranch_vccnz .LBB127_501
; %bb.500:
	scratch_load_b64 v[129:130], v133, off
	ds_load_b64 v[140:141], v132
	s_waitcnt vmcnt(0) lgkmcnt(0)
	v_mul_f64 v[129:130], v[129:130], v[140:141]
	s_cbranch_execz .LBB127_502
	s_branch .LBB127_503
.LBB127_501:
                                        ; implicit-def: $vgpr129_vgpr130
.LBB127_502:
	ds_load_b64 v[129:130], v132
.LBB127_503:
	s_and_saveexec_b32 s4, s1
	s_cbranch_execz .LBB127_507
; %bb.504:
	v_dual_mov_b32 v140, 0 :: v_dual_add_nc_u32 v141, -13, v0
	s_movk_i32 s5, 0x268
	s_mov_b32 s1, 0
	s_delay_alu instid0(VALU_DEP_1)
	v_add_nc_u32_e32 v140, 0x68, v140
.LBB127_505:                            ; =>This Inner Loop Header: Depth=1
	scratch_load_b64 v[142:143], v140, off
	v_dual_mov_b32 v144, s5 :: v_dual_add_nc_u32 v141, -1, v141
	v_add_nc_u32_e32 v140, 8, v140
	s_add_i32 s5, s5, 8
	ds_load_b64 v[144:145], v144
	v_cmp_eq_u32_e32 vcc_lo, 0, v141
	s_or_b32 s1, vcc_lo, s1
	s_waitcnt vmcnt(0) lgkmcnt(0)
	v_fma_f64 v[129:130], v[142:143], v[144:145], v[129:130]
	s_and_not1_b32 exec_lo, exec_lo, s1
	s_cbranch_execnz .LBB127_505
; %bb.506:
	s_or_b32 exec_lo, exec_lo, s1
.LBB127_507:
	s_delay_alu instid0(SALU_CYCLE_1)
	s_or_b32 exec_lo, exec_lo, s4
	v_mov_b32_e32 v140, 0
	ds_load_b64 v[140:141], v140 offset:96
	s_waitcnt lgkmcnt(0)
	v_mul_f64 v[129:130], v[129:130], v[140:141]
	scratch_store_b64 off, v[129:130], off offset:96
.LBB127_508:
	s_or_b32 exec_lo, exec_lo, s3
	scratch_load_b64 v[129:130], off, off offset:88
	v_cmp_lt_u32_e64 s1, 11, v0
	s_waitcnt vmcnt(0)
	ds_store_b64 v132, v[129:130]
	s_waitcnt lgkmcnt(0)
	s_waitcnt_vscnt null, 0x0
	s_barrier
	buffer_gl0_inv
	s_and_saveexec_b32 s3, s1
	s_cbranch_execz .LBB127_518
; %bb.509:
	s_and_not1_b32 vcc_lo, exec_lo, s2
	s_cbranch_vccnz .LBB127_511
; %bb.510:
	scratch_load_b64 v[129:130], v133, off
	ds_load_b64 v[140:141], v132
	s_waitcnt vmcnt(0) lgkmcnt(0)
	v_mul_f64 v[129:130], v[129:130], v[140:141]
	s_cbranch_execz .LBB127_512
	s_branch .LBB127_513
.LBB127_511:
                                        ; implicit-def: $vgpr129_vgpr130
.LBB127_512:
	ds_load_b64 v[129:130], v132
.LBB127_513:
	s_and_saveexec_b32 s4, s0
	s_cbranch_execz .LBB127_517
; %bb.514:
	v_add_nc_u32_e32 v140, -12, v0
	s_movk_i32 s5, 0x260
	s_mov_b32 s0, 0
.LBB127_515:                            ; =>This Inner Loop Header: Depth=1
	scratch_load_b64 v[141:142], v139, off
	v_dual_mov_b32 v143, s5 :: v_dual_add_nc_u32 v140, -1, v140
	v_add_nc_u32_e32 v139, 8, v139
	s_add_i32 s5, s5, 8
	ds_load_b64 v[143:144], v143
	v_cmp_eq_u32_e32 vcc_lo, 0, v140
	s_or_b32 s0, vcc_lo, s0
	s_waitcnt vmcnt(0) lgkmcnt(0)
	v_fma_f64 v[129:130], v[141:142], v[143:144], v[129:130]
	s_and_not1_b32 exec_lo, exec_lo, s0
	s_cbranch_execnz .LBB127_515
; %bb.516:
	s_or_b32 exec_lo, exec_lo, s0
.LBB127_517:
	s_delay_alu instid0(SALU_CYCLE_1)
	s_or_b32 exec_lo, exec_lo, s4
	v_mov_b32_e32 v139, 0
	ds_load_b64 v[139:140], v139 offset:88
	s_waitcnt lgkmcnt(0)
	v_mul_f64 v[129:130], v[129:130], v[139:140]
	scratch_store_b64 off, v[129:130], off offset:88
.LBB127_518:
	s_or_b32 exec_lo, exec_lo, s3
	scratch_load_b64 v[129:130], off, off offset:80
	v_cmp_lt_u32_e64 s0, 10, v0
	s_waitcnt vmcnt(0)
	ds_store_b64 v132, v[129:130]
	s_waitcnt lgkmcnt(0)
	s_waitcnt_vscnt null, 0x0
	s_barrier
	buffer_gl0_inv
	s_and_saveexec_b32 s3, s0
	s_cbranch_execz .LBB127_528
; %bb.519:
	s_and_not1_b32 vcc_lo, exec_lo, s2
	s_cbranch_vccnz .LBB127_521
; %bb.520:
	scratch_load_b64 v[129:130], v133, off
	ds_load_b64 v[139:140], v132
	s_waitcnt vmcnt(0) lgkmcnt(0)
	v_mul_f64 v[129:130], v[129:130], v[139:140]
	s_cbranch_execz .LBB127_522
	s_branch .LBB127_523
.LBB127_521:
                                        ; implicit-def: $vgpr129_vgpr130
.LBB127_522:
	ds_load_b64 v[129:130], v132
.LBB127_523:
	s_and_saveexec_b32 s4, s1
	s_cbranch_execz .LBB127_527
; %bb.524:
	v_dual_mov_b32 v139, 0 :: v_dual_add_nc_u32 v140, -11, v0
	s_movk_i32 s5, 0x258
	s_mov_b32 s1, 0
	s_delay_alu instid0(VALU_DEP_1)
	v_add_nc_u32_e32 v139, 0x58, v139
.LBB127_525:                            ; =>This Inner Loop Header: Depth=1
	scratch_load_b64 v[141:142], v139, off
	v_dual_mov_b32 v143, s5 :: v_dual_add_nc_u32 v140, -1, v140
	v_add_nc_u32_e32 v139, 8, v139
	s_add_i32 s5, s5, 8
	ds_load_b64 v[143:144], v143
	v_cmp_eq_u32_e32 vcc_lo, 0, v140
	s_or_b32 s1, vcc_lo, s1
	s_waitcnt vmcnt(0) lgkmcnt(0)
	v_fma_f64 v[129:130], v[141:142], v[143:144], v[129:130]
	s_and_not1_b32 exec_lo, exec_lo, s1
	s_cbranch_execnz .LBB127_525
; %bb.526:
	s_or_b32 exec_lo, exec_lo, s1
.LBB127_527:
	s_delay_alu instid0(SALU_CYCLE_1)
	s_or_b32 exec_lo, exec_lo, s4
	v_mov_b32_e32 v139, 0
	ds_load_b64 v[139:140], v139 offset:80
	s_waitcnt lgkmcnt(0)
	v_mul_f64 v[129:130], v[129:130], v[139:140]
	scratch_store_b64 off, v[129:130], off offset:80
.LBB127_528:
	s_or_b32 exec_lo, exec_lo, s3
	scratch_load_b64 v[129:130], off, off offset:72
	v_cmp_lt_u32_e64 s1, 9, v0
	s_waitcnt vmcnt(0)
	ds_store_b64 v132, v[129:130]
	s_waitcnt lgkmcnt(0)
	s_waitcnt_vscnt null, 0x0
	s_barrier
	buffer_gl0_inv
	s_and_saveexec_b32 s3, s1
	s_cbranch_execz .LBB127_538
; %bb.529:
	s_and_not1_b32 vcc_lo, exec_lo, s2
	s_cbranch_vccnz .LBB127_531
; %bb.530:
	scratch_load_b64 v[129:130], v133, off
	ds_load_b64 v[139:140], v132
	s_waitcnt vmcnt(0) lgkmcnt(0)
	v_mul_f64 v[129:130], v[129:130], v[139:140]
	s_cbranch_execz .LBB127_532
	s_branch .LBB127_533
.LBB127_531:
                                        ; implicit-def: $vgpr129_vgpr130
.LBB127_532:
	ds_load_b64 v[129:130], v132
.LBB127_533:
	s_and_saveexec_b32 s4, s0
	s_cbranch_execz .LBB127_537
; %bb.534:
	v_add_nc_u32_e32 v139, -10, v0
	s_movk_i32 s5, 0x250
	s_mov_b32 s0, 0
.LBB127_535:                            ; =>This Inner Loop Header: Depth=1
	scratch_load_b64 v[140:141], v138, off
	v_dual_mov_b32 v142, s5 :: v_dual_add_nc_u32 v139, -1, v139
	v_add_nc_u32_e32 v138, 8, v138
	s_add_i32 s5, s5, 8
	ds_load_b64 v[142:143], v142
	v_cmp_eq_u32_e32 vcc_lo, 0, v139
	s_or_b32 s0, vcc_lo, s0
	s_waitcnt vmcnt(0) lgkmcnt(0)
	v_fma_f64 v[129:130], v[140:141], v[142:143], v[129:130]
	s_and_not1_b32 exec_lo, exec_lo, s0
	s_cbranch_execnz .LBB127_535
; %bb.536:
	s_or_b32 exec_lo, exec_lo, s0
.LBB127_537:
	s_delay_alu instid0(SALU_CYCLE_1)
	s_or_b32 exec_lo, exec_lo, s4
	v_mov_b32_e32 v138, 0
	ds_load_b64 v[138:139], v138 offset:72
	s_waitcnt lgkmcnt(0)
	v_mul_f64 v[129:130], v[129:130], v[138:139]
	scratch_store_b64 off, v[129:130], off offset:72
.LBB127_538:
	s_or_b32 exec_lo, exec_lo, s3
	scratch_load_b64 v[129:130], off, off offset:64
	v_cmp_lt_u32_e64 s0, 8, v0
	s_waitcnt vmcnt(0)
	ds_store_b64 v132, v[129:130]
	s_waitcnt lgkmcnt(0)
	s_waitcnt_vscnt null, 0x0
	s_barrier
	buffer_gl0_inv
	s_and_saveexec_b32 s3, s0
	s_cbranch_execz .LBB127_548
; %bb.539:
	s_and_not1_b32 vcc_lo, exec_lo, s2
	s_cbranch_vccnz .LBB127_541
; %bb.540:
	scratch_load_b64 v[129:130], v133, off
	ds_load_b64 v[138:139], v132
	s_waitcnt vmcnt(0) lgkmcnt(0)
	v_mul_f64 v[129:130], v[129:130], v[138:139]
	s_cbranch_execz .LBB127_542
	s_branch .LBB127_543
.LBB127_541:
                                        ; implicit-def: $vgpr129_vgpr130
.LBB127_542:
	ds_load_b64 v[129:130], v132
.LBB127_543:
	s_and_saveexec_b32 s4, s1
	s_cbranch_execz .LBB127_547
; %bb.544:
	v_dual_mov_b32 v138, 0 :: v_dual_add_nc_u32 v139, -9, v0
	s_movk_i32 s5, 0x248
	s_mov_b32 s1, 0
	s_delay_alu instid0(VALU_DEP_1)
	v_add_nc_u32_e32 v138, 0x48, v138
.LBB127_545:                            ; =>This Inner Loop Header: Depth=1
	scratch_load_b64 v[140:141], v138, off
	v_dual_mov_b32 v142, s5 :: v_dual_add_nc_u32 v139, -1, v139
	v_add_nc_u32_e32 v138, 8, v138
	s_add_i32 s5, s5, 8
	ds_load_b64 v[142:143], v142
	v_cmp_eq_u32_e32 vcc_lo, 0, v139
	s_or_b32 s1, vcc_lo, s1
	s_waitcnt vmcnt(0) lgkmcnt(0)
	v_fma_f64 v[129:130], v[140:141], v[142:143], v[129:130]
	s_and_not1_b32 exec_lo, exec_lo, s1
	s_cbranch_execnz .LBB127_545
; %bb.546:
	s_or_b32 exec_lo, exec_lo, s1
.LBB127_547:
	s_delay_alu instid0(SALU_CYCLE_1)
	s_or_b32 exec_lo, exec_lo, s4
	v_mov_b32_e32 v138, 0
	ds_load_b64 v[138:139], v138 offset:64
	s_waitcnt lgkmcnt(0)
	v_mul_f64 v[129:130], v[129:130], v[138:139]
	scratch_store_b64 off, v[129:130], off offset:64
.LBB127_548:
	s_or_b32 exec_lo, exec_lo, s3
	scratch_load_b64 v[129:130], off, off offset:56
	v_cmp_lt_u32_e64 s1, 7, v0
	s_waitcnt vmcnt(0)
	ds_store_b64 v132, v[129:130]
	s_waitcnt lgkmcnt(0)
	s_waitcnt_vscnt null, 0x0
	s_barrier
	buffer_gl0_inv
	s_and_saveexec_b32 s3, s1
	s_cbranch_execz .LBB127_558
; %bb.549:
	s_and_not1_b32 vcc_lo, exec_lo, s2
	s_cbranch_vccnz .LBB127_551
; %bb.550:
	scratch_load_b64 v[129:130], v133, off
	ds_load_b64 v[138:139], v132
	s_waitcnt vmcnt(0) lgkmcnt(0)
	v_mul_f64 v[129:130], v[129:130], v[138:139]
	s_cbranch_execz .LBB127_552
	s_branch .LBB127_553
.LBB127_551:
                                        ; implicit-def: $vgpr129_vgpr130
.LBB127_552:
	ds_load_b64 v[129:130], v132
.LBB127_553:
	s_and_saveexec_b32 s4, s0
	s_cbranch_execz .LBB127_557
; %bb.554:
	v_add_nc_u32_e32 v138, -8, v0
	s_movk_i32 s5, 0x240
	s_mov_b32 s0, 0
.LBB127_555:                            ; =>This Inner Loop Header: Depth=1
	scratch_load_b64 v[139:140], v137, off
	v_dual_mov_b32 v141, s5 :: v_dual_add_nc_u32 v138, -1, v138
	v_add_nc_u32_e32 v137, 8, v137
	s_add_i32 s5, s5, 8
	ds_load_b64 v[141:142], v141
	v_cmp_eq_u32_e32 vcc_lo, 0, v138
	s_or_b32 s0, vcc_lo, s0
	s_waitcnt vmcnt(0) lgkmcnt(0)
	v_fma_f64 v[129:130], v[139:140], v[141:142], v[129:130]
	s_and_not1_b32 exec_lo, exec_lo, s0
	s_cbranch_execnz .LBB127_555
; %bb.556:
	s_or_b32 exec_lo, exec_lo, s0
.LBB127_557:
	s_delay_alu instid0(SALU_CYCLE_1)
	s_or_b32 exec_lo, exec_lo, s4
	v_mov_b32_e32 v137, 0
	ds_load_b64 v[137:138], v137 offset:56
	s_waitcnt lgkmcnt(0)
	v_mul_f64 v[129:130], v[129:130], v[137:138]
	scratch_store_b64 off, v[129:130], off offset:56
.LBB127_558:
	s_or_b32 exec_lo, exec_lo, s3
	scratch_load_b64 v[129:130], off, off offset:48
	v_cmp_lt_u32_e64 s0, 6, v0
	s_waitcnt vmcnt(0)
	ds_store_b64 v132, v[129:130]
	s_waitcnt lgkmcnt(0)
	s_waitcnt_vscnt null, 0x0
	s_barrier
	buffer_gl0_inv
	s_and_saveexec_b32 s3, s0
	s_cbranch_execz .LBB127_568
; %bb.559:
	s_and_not1_b32 vcc_lo, exec_lo, s2
	s_cbranch_vccnz .LBB127_561
; %bb.560:
	scratch_load_b64 v[129:130], v133, off
	ds_load_b64 v[137:138], v132
	s_waitcnt vmcnt(0) lgkmcnt(0)
	v_mul_f64 v[129:130], v[129:130], v[137:138]
	s_cbranch_execz .LBB127_562
	s_branch .LBB127_563
.LBB127_561:
                                        ; implicit-def: $vgpr129_vgpr130
.LBB127_562:
	ds_load_b64 v[129:130], v132
.LBB127_563:
	s_and_saveexec_b32 s4, s1
	s_cbranch_execz .LBB127_567
; %bb.564:
	v_add_nc_u32_e64 v137, 0, 56
	v_add_nc_u32_e32 v138, -7, v0
	s_movk_i32 s5, 0x238
	s_mov_b32 s1, 0
.LBB127_565:                            ; =>This Inner Loop Header: Depth=1
	scratch_load_b64 v[139:140], v137, off
	v_dual_mov_b32 v141, s5 :: v_dual_add_nc_u32 v138, -1, v138
	v_add_nc_u32_e32 v137, 8, v137
	s_add_i32 s5, s5, 8
	ds_load_b64 v[141:142], v141
	v_cmp_eq_u32_e32 vcc_lo, 0, v138
	s_or_b32 s1, vcc_lo, s1
	s_waitcnt vmcnt(0) lgkmcnt(0)
	v_fma_f64 v[129:130], v[139:140], v[141:142], v[129:130]
	s_and_not1_b32 exec_lo, exec_lo, s1
	s_cbranch_execnz .LBB127_565
; %bb.566:
	s_or_b32 exec_lo, exec_lo, s1
.LBB127_567:
	s_delay_alu instid0(SALU_CYCLE_1)
	s_or_b32 exec_lo, exec_lo, s4
	v_mov_b32_e32 v137, 0
	ds_load_b64 v[137:138], v137 offset:48
	s_waitcnt lgkmcnt(0)
	v_mul_f64 v[129:130], v[129:130], v[137:138]
	scratch_store_b64 off, v[129:130], off offset:48
.LBB127_568:
	s_or_b32 exec_lo, exec_lo, s3
	scratch_load_b64 v[129:130], off, off offset:40
	v_cmp_lt_u32_e64 s1, 5, v0
	s_waitcnt vmcnt(0)
	ds_store_b64 v132, v[129:130]
	s_waitcnt lgkmcnt(0)
	s_waitcnt_vscnt null, 0x0
	s_barrier
	buffer_gl0_inv
	s_and_saveexec_b32 s3, s1
	s_cbranch_execz .LBB127_578
; %bb.569:
	s_and_not1_b32 vcc_lo, exec_lo, s2
	s_cbranch_vccnz .LBB127_571
; %bb.570:
	scratch_load_b64 v[129:130], v133, off
	ds_load_b64 v[137:138], v132
	s_waitcnt vmcnt(0) lgkmcnt(0)
	v_mul_f64 v[129:130], v[129:130], v[137:138]
	s_cbranch_execz .LBB127_572
	s_branch .LBB127_573
.LBB127_571:
                                        ; implicit-def: $vgpr129_vgpr130
.LBB127_572:
	ds_load_b64 v[129:130], v132
.LBB127_573:
	s_and_saveexec_b32 s4, s0
	s_cbranch_execz .LBB127_577
; %bb.574:
	v_add_nc_u32_e32 v137, -6, v0
	s_movk_i32 s5, 0x230
	s_mov_b32 s0, 0
.LBB127_575:                            ; =>This Inner Loop Header: Depth=1
	scratch_load_b64 v[138:139], v136, off
	v_dual_mov_b32 v140, s5 :: v_dual_add_nc_u32 v137, -1, v137
	v_add_nc_u32_e32 v136, 8, v136
	s_add_i32 s5, s5, 8
	ds_load_b64 v[140:141], v140
	v_cmp_eq_u32_e32 vcc_lo, 0, v137
	s_or_b32 s0, vcc_lo, s0
	s_waitcnt vmcnt(0) lgkmcnt(0)
	v_fma_f64 v[129:130], v[138:139], v[140:141], v[129:130]
	s_and_not1_b32 exec_lo, exec_lo, s0
	s_cbranch_execnz .LBB127_575
; %bb.576:
	s_or_b32 exec_lo, exec_lo, s0
.LBB127_577:
	s_delay_alu instid0(SALU_CYCLE_1)
	s_or_b32 exec_lo, exec_lo, s4
	v_mov_b32_e32 v136, 0
	ds_load_b64 v[136:137], v136 offset:40
	s_waitcnt lgkmcnt(0)
	v_mul_f64 v[129:130], v[129:130], v[136:137]
	scratch_store_b64 off, v[129:130], off offset:40
.LBB127_578:
	s_or_b32 exec_lo, exec_lo, s3
	scratch_load_b64 v[129:130], off, off offset:32
	v_cmp_lt_u32_e64 s0, 4, v0
	s_waitcnt vmcnt(0)
	ds_store_b64 v132, v[129:130]
	s_waitcnt lgkmcnt(0)
	s_waitcnt_vscnt null, 0x0
	s_barrier
	buffer_gl0_inv
	s_and_saveexec_b32 s3, s0
	s_cbranch_execz .LBB127_588
; %bb.579:
	s_and_not1_b32 vcc_lo, exec_lo, s2
	s_cbranch_vccnz .LBB127_581
; %bb.580:
	scratch_load_b64 v[129:130], v133, off
	ds_load_b64 v[136:137], v132
	s_waitcnt vmcnt(0) lgkmcnt(0)
	v_mul_f64 v[129:130], v[129:130], v[136:137]
	s_cbranch_execz .LBB127_582
	s_branch .LBB127_583
.LBB127_581:
                                        ; implicit-def: $vgpr129_vgpr130
.LBB127_582:
	ds_load_b64 v[129:130], v132
.LBB127_583:
	s_and_saveexec_b32 s4, s1
	s_cbranch_execz .LBB127_587
; %bb.584:
	v_add_nc_u32_e64 v136, 0, 40
	v_add_nc_u32_e32 v137, -5, v0
	s_movk_i32 s5, 0x228
	s_mov_b32 s1, 0
.LBB127_585:                            ; =>This Inner Loop Header: Depth=1
	scratch_load_b64 v[138:139], v136, off
	v_dual_mov_b32 v140, s5 :: v_dual_add_nc_u32 v137, -1, v137
	v_add_nc_u32_e32 v136, 8, v136
	s_add_i32 s5, s5, 8
	ds_load_b64 v[140:141], v140
	v_cmp_eq_u32_e32 vcc_lo, 0, v137
	s_or_b32 s1, vcc_lo, s1
	s_waitcnt vmcnt(0) lgkmcnt(0)
	v_fma_f64 v[129:130], v[138:139], v[140:141], v[129:130]
	s_and_not1_b32 exec_lo, exec_lo, s1
	s_cbranch_execnz .LBB127_585
; %bb.586:
	s_or_b32 exec_lo, exec_lo, s1
.LBB127_587:
	s_delay_alu instid0(SALU_CYCLE_1)
	s_or_b32 exec_lo, exec_lo, s4
	v_mov_b32_e32 v136, 0
	ds_load_b64 v[136:137], v136 offset:32
	s_waitcnt lgkmcnt(0)
	v_mul_f64 v[129:130], v[129:130], v[136:137]
	scratch_store_b64 off, v[129:130], off offset:32
.LBB127_588:
	s_or_b32 exec_lo, exec_lo, s3
	scratch_load_b64 v[129:130], off, off offset:24
	v_cmp_lt_u32_e64 s1, 3, v0
	s_waitcnt vmcnt(0)
	ds_store_b64 v132, v[129:130]
	s_waitcnt lgkmcnt(0)
	s_waitcnt_vscnt null, 0x0
	s_barrier
	buffer_gl0_inv
	s_and_saveexec_b32 s3, s1
	s_cbranch_execz .LBB127_598
; %bb.589:
	s_and_not1_b32 vcc_lo, exec_lo, s2
	s_cbranch_vccnz .LBB127_591
; %bb.590:
	scratch_load_b64 v[129:130], v133, off
	ds_load_b64 v[136:137], v132
	s_waitcnt vmcnt(0) lgkmcnt(0)
	v_mul_f64 v[129:130], v[129:130], v[136:137]
	s_cbranch_execz .LBB127_592
	s_branch .LBB127_593
.LBB127_591:
                                        ; implicit-def: $vgpr129_vgpr130
.LBB127_592:
	ds_load_b64 v[129:130], v132
.LBB127_593:
	s_and_saveexec_b32 s4, s0
	s_cbranch_execz .LBB127_597
; %bb.594:
	v_add_nc_u32_e32 v136, -4, v0
	s_movk_i32 s5, 0x220
	s_mov_b32 s0, 0
.LBB127_595:                            ; =>This Inner Loop Header: Depth=1
	scratch_load_b64 v[137:138], v135, off
	v_dual_mov_b32 v139, s5 :: v_dual_add_nc_u32 v136, -1, v136
	v_add_nc_u32_e32 v135, 8, v135
	s_add_i32 s5, s5, 8
	ds_load_b64 v[139:140], v139
	v_cmp_eq_u32_e32 vcc_lo, 0, v136
	s_or_b32 s0, vcc_lo, s0
	s_waitcnt vmcnt(0) lgkmcnt(0)
	v_fma_f64 v[129:130], v[137:138], v[139:140], v[129:130]
	s_and_not1_b32 exec_lo, exec_lo, s0
	s_cbranch_execnz .LBB127_595
; %bb.596:
	s_or_b32 exec_lo, exec_lo, s0
.LBB127_597:
	s_delay_alu instid0(SALU_CYCLE_1)
	s_or_b32 exec_lo, exec_lo, s4
	v_mov_b32_e32 v135, 0
	ds_load_b64 v[135:136], v135 offset:24
	s_waitcnt lgkmcnt(0)
	v_mul_f64 v[129:130], v[129:130], v[135:136]
	scratch_store_b64 off, v[129:130], off offset:24
.LBB127_598:
	s_or_b32 exec_lo, exec_lo, s3
	scratch_load_b64 v[129:130], off, off offset:16
	v_cmp_lt_u32_e64 s0, 2, v0
	s_waitcnt vmcnt(0)
	ds_store_b64 v132, v[129:130]
	s_waitcnt lgkmcnt(0)
	s_waitcnt_vscnt null, 0x0
	s_barrier
	buffer_gl0_inv
	s_and_saveexec_b32 s3, s0
	s_cbranch_execz .LBB127_608
; %bb.599:
	s_and_not1_b32 vcc_lo, exec_lo, s2
	s_cbranch_vccnz .LBB127_601
; %bb.600:
	scratch_load_b64 v[129:130], v133, off
	ds_load_b64 v[135:136], v132
	s_waitcnt vmcnt(0) lgkmcnt(0)
	v_mul_f64 v[129:130], v[129:130], v[135:136]
	s_cbranch_execz .LBB127_602
	s_branch .LBB127_603
.LBB127_601:
                                        ; implicit-def: $vgpr129_vgpr130
.LBB127_602:
	ds_load_b64 v[129:130], v132
.LBB127_603:
	s_and_saveexec_b32 s4, s1
	s_cbranch_execz .LBB127_607
; %bb.604:
	v_add_nc_u32_e64 v135, 0, 24
	v_add_nc_u32_e32 v136, -3, v0
	s_movk_i32 s5, 0x218
	s_mov_b32 s1, 0
.LBB127_605:                            ; =>This Inner Loop Header: Depth=1
	scratch_load_b64 v[137:138], v135, off
	v_dual_mov_b32 v139, s5 :: v_dual_add_nc_u32 v136, -1, v136
	v_add_nc_u32_e32 v135, 8, v135
	s_add_i32 s5, s5, 8
	ds_load_b64 v[139:140], v139
	v_cmp_eq_u32_e32 vcc_lo, 0, v136
	s_or_b32 s1, vcc_lo, s1
	s_waitcnt vmcnt(0) lgkmcnt(0)
	v_fma_f64 v[129:130], v[137:138], v[139:140], v[129:130]
	s_and_not1_b32 exec_lo, exec_lo, s1
	s_cbranch_execnz .LBB127_605
; %bb.606:
	s_or_b32 exec_lo, exec_lo, s1
.LBB127_607:
	s_delay_alu instid0(SALU_CYCLE_1)
	s_or_b32 exec_lo, exec_lo, s4
	v_mov_b32_e32 v135, 0
	ds_load_b64 v[135:136], v135 offset:16
	s_waitcnt lgkmcnt(0)
	v_mul_f64 v[129:130], v[129:130], v[135:136]
	scratch_store_b64 off, v[129:130], off offset:16
.LBB127_608:
	s_or_b32 exec_lo, exec_lo, s3
	scratch_load_b64 v[129:130], off, off offset:8
	v_cmp_lt_u32_e64 s1, 1, v0
	s_waitcnt vmcnt(0)
	ds_store_b64 v132, v[129:130]
	s_waitcnt lgkmcnt(0)
	s_waitcnt_vscnt null, 0x0
	s_barrier
	buffer_gl0_inv
	s_and_saveexec_b32 s3, s1
	s_cbranch_execz .LBB127_618
; %bb.609:
	s_and_not1_b32 vcc_lo, exec_lo, s2
	s_cbranch_vccnz .LBB127_611
; %bb.610:
	scratch_load_b64 v[129:130], v133, off
	ds_load_b64 v[135:136], v132
	s_waitcnt vmcnt(0) lgkmcnt(0)
	v_mul_f64 v[129:130], v[129:130], v[135:136]
	s_cbranch_execz .LBB127_612
	s_branch .LBB127_613
.LBB127_611:
                                        ; implicit-def: $vgpr129_vgpr130
.LBB127_612:
	ds_load_b64 v[129:130], v132
.LBB127_613:
	s_and_saveexec_b32 s4, s0
	s_cbranch_execz .LBB127_617
; %bb.614:
	v_add_nc_u32_e32 v135, -2, v0
	s_movk_i32 s5, 0x210
	s_mov_b32 s0, 0
.LBB127_615:                            ; =>This Inner Loop Header: Depth=1
	scratch_load_b64 v[136:137], v134, off
	v_dual_mov_b32 v138, s5 :: v_dual_add_nc_u32 v135, -1, v135
	v_add_nc_u32_e32 v134, 8, v134
	s_add_i32 s5, s5, 8
	ds_load_b64 v[138:139], v138
	v_cmp_eq_u32_e32 vcc_lo, 0, v135
	s_or_b32 s0, vcc_lo, s0
	s_waitcnt vmcnt(0) lgkmcnt(0)
	v_fma_f64 v[129:130], v[136:137], v[138:139], v[129:130]
	s_and_not1_b32 exec_lo, exec_lo, s0
	s_cbranch_execnz .LBB127_615
; %bb.616:
	s_or_b32 exec_lo, exec_lo, s0
.LBB127_617:
	s_delay_alu instid0(SALU_CYCLE_1)
	s_or_b32 exec_lo, exec_lo, s4
	v_mov_b32_e32 v134, 0
	ds_load_b64 v[134:135], v134 offset:8
	s_waitcnt lgkmcnt(0)
	v_mul_f64 v[129:130], v[129:130], v[134:135]
	scratch_store_b64 off, v[129:130], off offset:8
.LBB127_618:
	s_or_b32 exec_lo, exec_lo, s3
	scratch_load_b64 v[129:130], off, off
	s_mov_b32 s0, 0
	s_mov_b32 s3, exec_lo
	s_waitcnt vmcnt(0)
	ds_store_b64 v132, v[129:130]
	s_waitcnt lgkmcnt(0)
	s_waitcnt_vscnt null, 0x0
	s_barrier
	buffer_gl0_inv
	v_cmpx_ne_u32_e32 0, v0
	s_cbranch_execz .LBB127_628
; %bb.619:
	s_and_not1_b32 vcc_lo, exec_lo, s2
	s_cbranch_vccnz .LBB127_621
; %bb.620:
	scratch_load_b64 v[129:130], v133, off
	ds_load_b64 v[134:135], v132
	s_waitcnt vmcnt(0) lgkmcnt(0)
	v_mul_f64 v[129:130], v[129:130], v[134:135]
	s_cbranch_execz .LBB127_622
	s_branch .LBB127_623
.LBB127_621:
                                        ; implicit-def: $vgpr129_vgpr130
.LBB127_622:
	ds_load_b64 v[129:130], v132
.LBB127_623:
	s_and_saveexec_b32 s4, s1
	s_cbranch_execz .LBB127_627
; %bb.624:
	v_or_b32_e64 v134, 0, 8
	v_add_nc_u32_e32 v135, -1, v0
	s_movk_i32 s5, 0x208
	s_mov_b32 s1, 0
.LBB127_625:                            ; =>This Inner Loop Header: Depth=1
	scratch_load_b64 v[136:137], v134, off
	v_dual_mov_b32 v138, s5 :: v_dual_add_nc_u32 v135, -1, v135
	v_add_nc_u32_e32 v134, 8, v134
	s_add_i32 s5, s5, 8
	ds_load_b64 v[138:139], v138
	v_cmp_eq_u32_e32 vcc_lo, 0, v135
	s_or_b32 s1, vcc_lo, s1
	s_waitcnt vmcnt(0) lgkmcnt(0)
	v_fma_f64 v[129:130], v[136:137], v[138:139], v[129:130]
	s_and_not1_b32 exec_lo, exec_lo, s1
	s_cbranch_execnz .LBB127_625
; %bb.626:
	s_or_b32 exec_lo, exec_lo, s1
.LBB127_627:
	s_delay_alu instid0(SALU_CYCLE_1)
	s_or_b32 exec_lo, exec_lo, s4
	v_mov_b32_e32 v134, 0
	ds_load_b64 v[134:135], v134
	s_waitcnt lgkmcnt(0)
	v_mul_f64 v[129:130], v[129:130], v[134:135]
	scratch_store_b64 off, v[129:130], off
.LBB127_628:
	s_or_b32 exec_lo, exec_lo, s3
.LBB127_629:
	s_delay_alu instid0(SALU_CYCLE_1)
	s_and_b32 vcc_lo, exec_lo, s0
	s_cbranch_vccz .LBB127_1255
; %bb.630:
	scratch_load_b64 v[129:130], off, off offset:8
	v_cmp_eq_u32_e64 s0, 0, v0
	s_waitcnt vmcnt(0)
	ds_store_b64 v132, v[129:130]
	s_waitcnt lgkmcnt(0)
	s_waitcnt_vscnt null, 0x0
	s_barrier
	buffer_gl0_inv
	s_and_saveexec_b32 s1, s0
	s_cbranch_execz .LBB127_636
; %bb.631:
	s_and_b32 vcc_lo, exec_lo, s2
	s_cbranch_vccz .LBB127_633
; %bb.632:
	scratch_load_b64 v[129:130], v133, off
	ds_load_b64 v[134:135], v132
	s_waitcnt vmcnt(0) lgkmcnt(0)
	v_mul_f64 v[129:130], v[129:130], v[134:135]
	s_cbranch_execz .LBB127_634
	s_branch .LBB127_635
.LBB127_633:
                                        ; implicit-def: $vgpr129_vgpr130
.LBB127_634:
	ds_load_b64 v[129:130], v132
.LBB127_635:
	v_mov_b32_e32 v134, 0
	ds_load_b64 v[134:135], v134 offset:8
	s_waitcnt lgkmcnt(0)
	v_mul_f64 v[129:130], v[129:130], v[134:135]
	scratch_store_b64 off, v[129:130], off offset:8
.LBB127_636:
	s_or_b32 exec_lo, exec_lo, s1
	scratch_load_b64 v[129:130], off, off offset:16
	v_cndmask_b32_e64 v134, 0, 1, s2
	s_mov_b32 s1, exec_lo
	s_waitcnt vmcnt(0)
	ds_store_b64 v132, v[129:130]
	s_waitcnt lgkmcnt(0)
	s_waitcnt_vscnt null, 0x0
	s_barrier
	buffer_gl0_inv
	v_cmpx_gt_u32_e32 2, v0
	s_cbranch_execz .LBB127_644
; %bb.637:
	s_and_not1_b32 vcc_lo, exec_lo, s2
	s_cbranch_vccnz .LBB127_639
; %bb.638:
	scratch_load_b64 v[129:130], v133, off
	ds_load_b64 v[135:136], v132
	s_waitcnt vmcnt(0) lgkmcnt(0)
	v_mul_f64 v[129:130], v[129:130], v[135:136]
	s_cbranch_execz .LBB127_640
	s_branch .LBB127_641
.LBB127_639:
                                        ; implicit-def: $vgpr129_vgpr130
.LBB127_640:
	ds_load_b64 v[129:130], v132
.LBB127_641:
	s_and_saveexec_b32 s2, s0
	s_cbranch_execz .LBB127_643
; %bb.642:
	scratch_load_b64 v[135:136], v133, off offset:8
	ds_load_b64 v[137:138], v132 offset:8
	s_waitcnt vmcnt(0) lgkmcnt(0)
	v_fma_f64 v[129:130], v[135:136], v[137:138], v[129:130]
.LBB127_643:
	s_or_b32 exec_lo, exec_lo, s2
	v_mov_b32_e32 v135, 0
	ds_load_b64 v[135:136], v135 offset:16
	s_waitcnt lgkmcnt(0)
	v_mul_f64 v[129:130], v[129:130], v[135:136]
	scratch_store_b64 off, v[129:130], off offset:16
.LBB127_644:
	s_or_b32 exec_lo, exec_lo, s1
	scratch_load_b64 v[129:130], off, off offset:24
	s_mov_b32 s1, exec_lo
	s_waitcnt vmcnt(0)
	ds_store_b64 v132, v[129:130]
	s_waitcnt lgkmcnt(0)
	s_waitcnt_vscnt null, 0x0
	s_barrier
	buffer_gl0_inv
	v_cmpx_gt_u32_e32 3, v0
	s_cbranch_execz .LBB127_654
; %bb.645:
	v_cmp_ne_u32_e32 vcc_lo, 1, v134
	s_cbranch_vccnz .LBB127_647
; %bb.646:
	scratch_load_b64 v[129:130], v133, off
	ds_load_b64 v[135:136], v132
	s_waitcnt vmcnt(0) lgkmcnt(0)
	v_mul_f64 v[129:130], v[129:130], v[135:136]
	s_cbranch_execz .LBB127_648
	s_branch .LBB127_649
.LBB127_647:
                                        ; implicit-def: $vgpr129_vgpr130
.LBB127_648:
	ds_load_b64 v[129:130], v132
.LBB127_649:
	s_mov_b32 s2, exec_lo
	v_cmpx_ne_u32_e32 2, v0
	s_cbranch_execz .LBB127_653
; %bb.650:
	scratch_load_b64 v[135:136], v133, off offset:8
	ds_load_b64 v[137:138], v132 offset:8
	s_waitcnt vmcnt(0) lgkmcnt(0)
	v_fma_f64 v[129:130], v[135:136], v[137:138], v[129:130]
	s_and_saveexec_b32 s3, s0
	s_cbranch_execz .LBB127_652
; %bb.651:
	scratch_load_b64 v[135:136], off, off offset:16
	v_mov_b32_e32 v137, 0
	ds_load_b64 v[137:138], v137 offset:528
	s_waitcnt vmcnt(0) lgkmcnt(0)
	v_fma_f64 v[129:130], v[135:136], v[137:138], v[129:130]
.LBB127_652:
	s_or_b32 exec_lo, exec_lo, s3
.LBB127_653:
	s_delay_alu instid0(SALU_CYCLE_1)
	s_or_b32 exec_lo, exec_lo, s2
	v_mov_b32_e32 v135, 0
	ds_load_b64 v[135:136], v135 offset:24
	s_waitcnt lgkmcnt(0)
	v_mul_f64 v[129:130], v[129:130], v[135:136]
	scratch_store_b64 off, v[129:130], off offset:24
.LBB127_654:
	s_or_b32 exec_lo, exec_lo, s1
	scratch_load_b64 v[129:130], off, off offset:32
	s_mov_b32 s0, exec_lo
	s_waitcnt vmcnt(0)
	ds_store_b64 v132, v[129:130]
	s_waitcnt lgkmcnt(0)
	s_waitcnt_vscnt null, 0x0
	s_barrier
	buffer_gl0_inv
	v_cmpx_gt_u32_e32 4, v0
	s_cbranch_execz .LBB127_664
; %bb.655:
	v_cmp_ne_u32_e32 vcc_lo, 1, v134
	s_cbranch_vccnz .LBB127_657
; %bb.656:
	scratch_load_b64 v[129:130], v133, off
	ds_load_b64 v[135:136], v132
	s_waitcnt vmcnt(0) lgkmcnt(0)
	v_mul_f64 v[129:130], v[129:130], v[135:136]
	s_cbranch_execz .LBB127_658
	s_branch .LBB127_659
.LBB127_657:
                                        ; implicit-def: $vgpr129_vgpr130
.LBB127_658:
	ds_load_b64 v[129:130], v132
.LBB127_659:
	s_mov_b32 s1, exec_lo
	v_cmpx_ne_u32_e32 3, v0
	s_cbranch_execz .LBB127_663
; %bb.660:
	v_add_nc_u32_e32 v135, 0x208, v131
	v_add3_u32 v136, 0, v131, 8
	v_mov_b32_e32 v137, v0
	s_mov_b32 s2, 0
.LBB127_661:                            ; =>This Inner Loop Header: Depth=1
	scratch_load_b64 v[138:139], v136, off
	ds_load_b64 v[140:141], v135
	v_add_nc_u32_e32 v137, 1, v137
	v_add_nc_u32_e32 v135, 8, v135
	v_add_nc_u32_e32 v136, 8, v136
	s_delay_alu instid0(VALU_DEP_3)
	v_cmp_lt_u32_e32 vcc_lo, 2, v137
	s_or_b32 s2, vcc_lo, s2
	s_waitcnt vmcnt(0) lgkmcnt(0)
	v_fma_f64 v[129:130], v[138:139], v[140:141], v[129:130]
	s_and_not1_b32 exec_lo, exec_lo, s2
	s_cbranch_execnz .LBB127_661
; %bb.662:
	s_or_b32 exec_lo, exec_lo, s2
.LBB127_663:
	s_delay_alu instid0(SALU_CYCLE_1)
	s_or_b32 exec_lo, exec_lo, s1
	v_mov_b32_e32 v135, 0
	ds_load_b64 v[135:136], v135 offset:32
	s_waitcnt lgkmcnt(0)
	v_mul_f64 v[129:130], v[129:130], v[135:136]
	scratch_store_b64 off, v[129:130], off offset:32
.LBB127_664:
	s_or_b32 exec_lo, exec_lo, s0
	scratch_load_b64 v[129:130], off, off offset:40
	s_mov_b32 s0, exec_lo
	s_waitcnt vmcnt(0)
	ds_store_b64 v132, v[129:130]
	s_waitcnt lgkmcnt(0)
	s_waitcnt_vscnt null, 0x0
	s_barrier
	buffer_gl0_inv
	v_cmpx_gt_u32_e32 5, v0
	s_cbranch_execz .LBB127_674
; %bb.665:
	v_cmp_ne_u32_e32 vcc_lo, 1, v134
	s_cbranch_vccnz .LBB127_667
; %bb.666:
	scratch_load_b64 v[129:130], v133, off
	ds_load_b64 v[135:136], v132
	s_waitcnt vmcnt(0) lgkmcnt(0)
	v_mul_f64 v[129:130], v[129:130], v[135:136]
	s_cbranch_execz .LBB127_668
	s_branch .LBB127_669
.LBB127_667:
                                        ; implicit-def: $vgpr129_vgpr130
.LBB127_668:
	ds_load_b64 v[129:130], v132
.LBB127_669:
	s_mov_b32 s1, exec_lo
	v_cmpx_ne_u32_e32 4, v0
	s_cbranch_execz .LBB127_673
; %bb.670:
	v_add_nc_u32_e32 v135, 0x208, v131
	v_add3_u32 v136, 0, v131, 8
	v_mov_b32_e32 v137, v0
	s_mov_b32 s2, 0
.LBB127_671:                            ; =>This Inner Loop Header: Depth=1
	scratch_load_b64 v[138:139], v136, off
	ds_load_b64 v[140:141], v135
	v_add_nc_u32_e32 v137, 1, v137
	v_add_nc_u32_e32 v135, 8, v135
	v_add_nc_u32_e32 v136, 8, v136
	s_delay_alu instid0(VALU_DEP_3)
	v_cmp_lt_u32_e32 vcc_lo, 3, v137
	s_or_b32 s2, vcc_lo, s2
	s_waitcnt vmcnt(0) lgkmcnt(0)
	v_fma_f64 v[129:130], v[138:139], v[140:141], v[129:130]
	s_and_not1_b32 exec_lo, exec_lo, s2
	s_cbranch_execnz .LBB127_671
; %bb.672:
	s_or_b32 exec_lo, exec_lo, s2
.LBB127_673:
	s_delay_alu instid0(SALU_CYCLE_1)
	s_or_b32 exec_lo, exec_lo, s1
	v_mov_b32_e32 v135, 0
	ds_load_b64 v[135:136], v135 offset:40
	s_waitcnt lgkmcnt(0)
	v_mul_f64 v[129:130], v[129:130], v[135:136]
	scratch_store_b64 off, v[129:130], off offset:40
.LBB127_674:
	;; [unrolled: 58-line block ×34, first 2 shown]
	s_or_b32 exec_lo, exec_lo, s0
	scratch_load_b64 v[129:130], off, off offset:304
	s_mov_b32 s0, exec_lo
	s_waitcnt vmcnt(0)
	ds_store_b64 v132, v[129:130]
	s_waitcnt lgkmcnt(0)
	s_waitcnt_vscnt null, 0x0
	s_barrier
	buffer_gl0_inv
	v_cmpx_gt_u32_e32 38, v0
	s_cbranch_execz .LBB127_1004
; %bb.995:
	v_cmp_ne_u32_e32 vcc_lo, 1, v134
	s_cbranch_vccnz .LBB127_997
; %bb.996:
	scratch_load_b64 v[129:130], v133, off
	ds_load_b64 v[135:136], v132
	s_waitcnt vmcnt(0) lgkmcnt(0)
	v_mul_f64 v[129:130], v[129:130], v[135:136]
	s_cbranch_execz .LBB127_998
	s_branch .LBB127_999
.LBB127_997:
                                        ; implicit-def: $vgpr129_vgpr130
.LBB127_998:
	ds_load_b64 v[129:130], v132
.LBB127_999:
	s_mov_b32 s1, exec_lo
	v_cmpx_ne_u32_e32 37, v0
	s_cbranch_execz .LBB127_1003
; %bb.1000:
	v_add_nc_u32_e32 v135, 0x208, v131
	v_add3_u32 v136, 0, v131, 8
	v_mov_b32_e32 v137, v0
	s_mov_b32 s2, 0
.LBB127_1001:                           ; =>This Inner Loop Header: Depth=1
	scratch_load_b64 v[138:139], v136, off
	ds_load_b64 v[140:141], v135
	v_add_nc_u32_e32 v137, 1, v137
	v_add_nc_u32_e32 v135, 8, v135
	v_add_nc_u32_e32 v136, 8, v136
	s_delay_alu instid0(VALU_DEP_3)
	v_cmp_lt_u32_e32 vcc_lo, 36, v137
	s_or_b32 s2, vcc_lo, s2
	s_waitcnt vmcnt(0) lgkmcnt(0)
	v_fma_f64 v[129:130], v[138:139], v[140:141], v[129:130]
	s_and_not1_b32 exec_lo, exec_lo, s2
	s_cbranch_execnz .LBB127_1001
; %bb.1002:
	s_or_b32 exec_lo, exec_lo, s2
.LBB127_1003:
	s_delay_alu instid0(SALU_CYCLE_1)
	s_or_b32 exec_lo, exec_lo, s1
	v_mov_b32_e32 v135, 0
	ds_load_b64 v[135:136], v135 offset:304
	s_waitcnt lgkmcnt(0)
	v_mul_f64 v[129:130], v[129:130], v[135:136]
	scratch_store_b64 off, v[129:130], off offset:304
.LBB127_1004:
	s_or_b32 exec_lo, exec_lo, s0
	scratch_load_b64 v[129:130], off, off offset:312
	s_mov_b32 s0, exec_lo
	s_waitcnt vmcnt(0)
	ds_store_b64 v132, v[129:130]
	s_waitcnt lgkmcnt(0)
	s_waitcnt_vscnt null, 0x0
	s_barrier
	buffer_gl0_inv
	v_cmpx_gt_u32_e32 39, v0
	s_cbranch_execz .LBB127_1014
; %bb.1005:
	v_cmp_ne_u32_e32 vcc_lo, 1, v134
	s_cbranch_vccnz .LBB127_1007
; %bb.1006:
	scratch_load_b64 v[129:130], v133, off
	ds_load_b64 v[135:136], v132
	s_waitcnt vmcnt(0) lgkmcnt(0)
	v_mul_f64 v[129:130], v[129:130], v[135:136]
	s_cbranch_execz .LBB127_1008
	s_branch .LBB127_1009
.LBB127_1007:
                                        ; implicit-def: $vgpr129_vgpr130
.LBB127_1008:
	ds_load_b64 v[129:130], v132
.LBB127_1009:
	s_mov_b32 s1, exec_lo
	v_cmpx_ne_u32_e32 38, v0
	s_cbranch_execz .LBB127_1013
; %bb.1010:
	v_add_nc_u32_e32 v135, 0x208, v131
	v_add3_u32 v136, 0, v131, 8
	v_mov_b32_e32 v137, v0
	s_mov_b32 s2, 0
.LBB127_1011:                           ; =>This Inner Loop Header: Depth=1
	scratch_load_b64 v[138:139], v136, off
	ds_load_b64 v[140:141], v135
	v_add_nc_u32_e32 v137, 1, v137
	v_add_nc_u32_e32 v135, 8, v135
	v_add_nc_u32_e32 v136, 8, v136
	s_delay_alu instid0(VALU_DEP_3)
	v_cmp_lt_u32_e32 vcc_lo, 37, v137
	s_or_b32 s2, vcc_lo, s2
	s_waitcnt vmcnt(0) lgkmcnt(0)
	v_fma_f64 v[129:130], v[138:139], v[140:141], v[129:130]
	s_and_not1_b32 exec_lo, exec_lo, s2
	s_cbranch_execnz .LBB127_1011
; %bb.1012:
	s_or_b32 exec_lo, exec_lo, s2
.LBB127_1013:
	s_delay_alu instid0(SALU_CYCLE_1)
	s_or_b32 exec_lo, exec_lo, s1
	v_mov_b32_e32 v135, 0
	ds_load_b64 v[135:136], v135 offset:312
	s_waitcnt lgkmcnt(0)
	v_mul_f64 v[129:130], v[129:130], v[135:136]
	scratch_store_b64 off, v[129:130], off offset:312
.LBB127_1014:
	;; [unrolled: 58-line block ×24, first 2 shown]
	s_or_b32 exec_lo, exec_lo, s0
	scratch_load_b64 v[129:130], off, off offset:496
	v_cmp_gt_u32_e64 s0, 62, v0
	s_waitcnt vmcnt(0)
	ds_store_b64 v132, v[129:130]
	s_waitcnt lgkmcnt(0)
	s_waitcnt_vscnt null, 0x0
	s_barrier
	buffer_gl0_inv
	s_and_saveexec_b32 s1, s0
	s_cbranch_execz .LBB127_1244
; %bb.1235:
	v_cmp_ne_u32_e32 vcc_lo, 1, v134
	s_cbranch_vccnz .LBB127_1237
; %bb.1236:
	scratch_load_b64 v[129:130], v133, off
	ds_load_b64 v[135:136], v132
	s_waitcnt vmcnt(0) lgkmcnt(0)
	v_mul_f64 v[129:130], v[129:130], v[135:136]
	s_cbranch_execz .LBB127_1238
	s_branch .LBB127_1239
.LBB127_1237:
                                        ; implicit-def: $vgpr129_vgpr130
.LBB127_1238:
	ds_load_b64 v[129:130], v132
.LBB127_1239:
	s_mov_b32 s2, exec_lo
	v_cmpx_ne_u32_e32 61, v0
	s_cbranch_execz .LBB127_1243
; %bb.1240:
	v_add_nc_u32_e32 v135, 0x208, v131
	v_add3_u32 v136, 0, v131, 8
	v_mov_b32_e32 v137, v0
	s_mov_b32 s3, 0
.LBB127_1241:                           ; =>This Inner Loop Header: Depth=1
	scratch_load_b64 v[138:139], v136, off
	ds_load_b64 v[140:141], v135
	v_add_nc_u32_e32 v137, 1, v137
	v_add_nc_u32_e32 v135, 8, v135
	;; [unrolled: 1-line block ×3, first 2 shown]
	s_delay_alu instid0(VALU_DEP_3)
	v_cmp_lt_u32_e32 vcc_lo, 60, v137
	s_or_b32 s3, vcc_lo, s3
	s_waitcnt vmcnt(0) lgkmcnt(0)
	v_fma_f64 v[129:130], v[138:139], v[140:141], v[129:130]
	s_and_not1_b32 exec_lo, exec_lo, s3
	s_cbranch_execnz .LBB127_1241
; %bb.1242:
	s_or_b32 exec_lo, exec_lo, s3
.LBB127_1243:
	s_delay_alu instid0(SALU_CYCLE_1)
	s_or_b32 exec_lo, exec_lo, s2
	v_mov_b32_e32 v135, 0
	ds_load_b64 v[135:136], v135 offset:496
	s_waitcnt lgkmcnt(0)
	v_mul_f64 v[129:130], v[129:130], v[135:136]
	scratch_store_b64 off, v[129:130], off offset:496
.LBB127_1244:
	s_or_b32 exec_lo, exec_lo, s1
	scratch_load_b64 v[129:130], off, off offset:504
	s_mov_b32 s1, exec_lo
	s_waitcnt vmcnt(0)
	ds_store_b64 v132, v[129:130]
	s_waitcnt lgkmcnt(0)
	s_waitcnt_vscnt null, 0x0
	s_barrier
	buffer_gl0_inv
	v_cmpx_ne_u32_e32 63, v0
	s_cbranch_execz .LBB127_1254
; %bb.1245:
	v_cmp_ne_u32_e32 vcc_lo, 1, v134
	s_cbranch_vccnz .LBB127_1247
; %bb.1246:
	scratch_load_b64 v[129:130], v133, off
	ds_load_b64 v[133:134], v132
	s_waitcnt vmcnt(0) lgkmcnt(0)
	v_mul_f64 v[129:130], v[129:130], v[133:134]
	s_cbranch_execz .LBB127_1248
	s_branch .LBB127_1249
.LBB127_1247:
                                        ; implicit-def: $vgpr129_vgpr130
.LBB127_1248:
	ds_load_b64 v[129:130], v132
.LBB127_1249:
	s_and_saveexec_b32 s2, s0
	s_cbranch_execz .LBB127_1253
; %bb.1250:
	v_add_nc_u32_e32 v132, 0x208, v131
	v_add3_u32 v131, 0, v131, 8
	s_mov_b32 s0, 0
.LBB127_1251:                           ; =>This Inner Loop Header: Depth=1
	scratch_load_b64 v[133:134], v131, off
	ds_load_b64 v[135:136], v132
	v_add_nc_u32_e32 v0, 1, v0
	v_add_nc_u32_e32 v132, 8, v132
	;; [unrolled: 1-line block ×3, first 2 shown]
	s_delay_alu instid0(VALU_DEP_3)
	v_cmp_lt_u32_e32 vcc_lo, 61, v0
	s_or_b32 s0, vcc_lo, s0
	s_waitcnt vmcnt(0) lgkmcnt(0)
	v_fma_f64 v[129:130], v[133:134], v[135:136], v[129:130]
	s_and_not1_b32 exec_lo, exec_lo, s0
	s_cbranch_execnz .LBB127_1251
; %bb.1252:
	s_or_b32 exec_lo, exec_lo, s0
.LBB127_1253:
	s_delay_alu instid0(SALU_CYCLE_1)
	s_or_b32 exec_lo, exec_lo, s2
	v_mov_b32_e32 v0, 0
	ds_load_b64 v[131:132], v0 offset:504
	s_waitcnt lgkmcnt(0)
	v_mul_f64 v[129:130], v[129:130], v[131:132]
	scratch_store_b64 off, v[129:130], off offset:504
.LBB127_1254:
	s_or_b32 exec_lo, exec_lo, s1
.LBB127_1255:
	s_clause 0x10
	scratch_load_b128 v[129:132], off, off
	scratch_load_b128 v[133:136], off, off offset:16
	scratch_load_b128 v[137:140], off, off offset:32
	;; [unrolled: 1-line block ×16, first 2 shown]
	s_waitcnt vmcnt(16)
	s_clause 0x1
	global_store_b64 v[39:40], v[129:130], off
	global_store_b64 v[25:26], v[131:132], off
	scratch_load_b128 v[129:132], off, off offset:240
	s_waitcnt vmcnt(16)
	s_clause 0x1
	global_store_b64 v[35:36], v[133:134], off
	global_store_b64 v[19:20], v[135:136], off
	scratch_load_b128 v[133:136], off, off offset:272
	s_waitcnt vmcnt(16)
	global_store_b64 v[27:28], v[137:138], off
	scratch_load_b128 v[25:28], off, off offset:288
	global_store_b64 v[3:4], v[139:140], off
	scratch_load_b128 v[137:140], off, off offset:304
	s_waitcnt vmcnt(17)
	s_clause 0x1
	global_store_b64 v[15:16], v[141:142], off
	global_store_b64 v[5:6], v[143:144], off
	s_clause 0x1
	scratch_load_b128 v[3:6], off, off offset:336
	scratch_load_b128 v[141:144], off, off offset:352
	s_waitcnt vmcnt(18)
	s_clause 0x1
	global_store_b64 v[7:8], v[145:146], off
	global_store_b64 v[1:2], v[147:148], off
	scratch_load_b128 v[145:148], off, off offset:368
	s_waitcnt vmcnt(18)
	global_store_b64 v[41:42], v[149:150], off
	scratch_load_b128 v[39:42], off, off offset:384
	global_store_b64 v[37:38], v[151:152], off
	s_clause 0x1
	scratch_load_b128 v[35:38], off, off offset:400
	scratch_load_b128 v[149:152], off, off offset:416
	s_waitcnt vmcnt(20)
	s_clause 0x1
	global_store_b64 v[31:32], v[153:154], off
	global_store_b64 v[29:30], v[155:156], off
	scratch_load_b128 v[29:32], off, off offset:432
	s_waitcnt vmcnt(20)
	global_store_b64 v[17:18], v[157:158], off
	scratch_load_b128 v[15:18], off, off offset:448
	global_store_b64 v[21:22], v[159:160], off
	s_clause 0x1
	scratch_load_b128 v[19:22], off, off offset:464
	scratch_load_b128 v[153:156], off, off offset:480
	s_waitcnt vmcnt(22)
	s_clause 0x1
	global_store_b64 v[11:12], v[161:162], off
	global_store_b64 v[13:14], v[163:164], off
	scratch_load_b128 v[11:14], off, off offset:496
	s_waitcnt vmcnt(22)
	s_clause 0x1
	global_store_b64 v[9:10], v[165:166], off
	global_store_b64 v[23:24], v[167:168], off
	s_waitcnt vmcnt(21)
	s_clause 0x1
	global_store_b64 v[33:34], v[169:170], off
	global_store_b64 v[43:44], v[171:172], off
	s_waitcnt vmcnt(20)
	s_clause 0x1
	global_store_b64 v[45:46], v[173:174], off
	global_store_b64 v[49:50], v[175:176], off
	s_waitcnt vmcnt(19)
	s_clause 0x1
	global_store_b64 v[51:52], v[177:178], off
	global_store_b64 v[53:54], v[179:180], off
	s_waitcnt vmcnt(18)
	s_clause 0x1
	global_store_b64 v[55:56], v[181:182], off
	global_store_b64 v[57:58], v[183:184], off
	s_waitcnt vmcnt(17)
	s_clause 0x1
	global_store_b64 v[59:60], v[185:186], off
	global_store_b64 v[61:62], v[187:188], off
	s_waitcnt vmcnt(14)
	s_clause 0x3
	global_store_b64 v[63:64], v[129:130], off
	global_store_b64 v[65:66], v[131:132], off
	global_store_b64 v[67:68], v[189:190], off
	global_store_b64 v[69:70], v[191:192], off
	s_waitcnt vmcnt(13)
	s_clause 0x1
	global_store_b64 v[71:72], v[133:134], off
	global_store_b64 v[73:74], v[135:136], off
	s_waitcnt vmcnt(12)
	s_clause 0x1
	;; [unrolled: 4-line block ×3, first 2 shown]
	global_store_b64 v[79:80], v[137:138], off
	global_store_b64 v[81:82], v[139:140], off
	;; [unrolled: 1-line block ×4, first 2 shown]
	s_waitcnt vmcnt(10)
	s_clause 0x1
	global_store_b64 v[87:88], v[3:4], off
	global_store_b64 v[89:90], v[5:6], off
	s_waitcnt vmcnt(9)
	s_clause 0x1
	global_store_b64 v[91:92], v[141:142], off
	global_store_b64 v[93:94], v[143:144], off
	;; [unrolled: 4-line block ×11, first 2 shown]
.LBB127_1256:
	s_endpgm
	.section	.rodata,"a",@progbits
	.p2align	6, 0x0
	.amdhsa_kernel _ZN9rocsolver6v33100L18trti2_kernel_smallILi64EdPKPdEEv13rocblas_fill_17rocblas_diagonal_T1_iil
		.amdhsa_group_segment_fixed_size 1024
		.amdhsa_private_segment_fixed_size 528
		.amdhsa_kernarg_size 32
		.amdhsa_user_sgpr_count 15
		.amdhsa_user_sgpr_dispatch_ptr 0
		.amdhsa_user_sgpr_queue_ptr 0
		.amdhsa_user_sgpr_kernarg_segment_ptr 1
		.amdhsa_user_sgpr_dispatch_id 0
		.amdhsa_user_sgpr_private_segment_size 0
		.amdhsa_wavefront_size32 1
		.amdhsa_uses_dynamic_stack 0
		.amdhsa_enable_private_segment 1
		.amdhsa_system_sgpr_workgroup_id_x 1
		.amdhsa_system_sgpr_workgroup_id_y 0
		.amdhsa_system_sgpr_workgroup_id_z 0
		.amdhsa_system_sgpr_workgroup_info 0
		.amdhsa_system_vgpr_workitem_id 0
		.amdhsa_next_free_vgpr 197
		.amdhsa_next_free_sgpr 29
		.amdhsa_reserve_vcc 1
		.amdhsa_float_round_mode_32 0
		.amdhsa_float_round_mode_16_64 0
		.amdhsa_float_denorm_mode_32 3
		.amdhsa_float_denorm_mode_16_64 3
		.amdhsa_dx10_clamp 1
		.amdhsa_ieee_mode 1
		.amdhsa_fp16_overflow 0
		.amdhsa_workgroup_processor_mode 1
		.amdhsa_memory_ordered 1
		.amdhsa_forward_progress 0
		.amdhsa_shared_vgpr_count 0
		.amdhsa_exception_fp_ieee_invalid_op 0
		.amdhsa_exception_fp_denorm_src 0
		.amdhsa_exception_fp_ieee_div_zero 0
		.amdhsa_exception_fp_ieee_overflow 0
		.amdhsa_exception_fp_ieee_underflow 0
		.amdhsa_exception_fp_ieee_inexact 0
		.amdhsa_exception_int_div_zero 0
	.end_amdhsa_kernel
	.section	.text._ZN9rocsolver6v33100L18trti2_kernel_smallILi64EdPKPdEEv13rocblas_fill_17rocblas_diagonal_T1_iil,"axG",@progbits,_ZN9rocsolver6v33100L18trti2_kernel_smallILi64EdPKPdEEv13rocblas_fill_17rocblas_diagonal_T1_iil,comdat
.Lfunc_end127:
	.size	_ZN9rocsolver6v33100L18trti2_kernel_smallILi64EdPKPdEEv13rocblas_fill_17rocblas_diagonal_T1_iil, .Lfunc_end127-_ZN9rocsolver6v33100L18trti2_kernel_smallILi64EdPKPdEEv13rocblas_fill_17rocblas_diagonal_T1_iil
                                        ; -- End function
	.section	.AMDGPU.csdata,"",@progbits
; Kernel info:
; codeLenInByte = 35188
; NumSgprs: 31
; NumVgprs: 197
; ScratchSize: 528
; MemoryBound: 0
; FloatMode: 240
; IeeeMode: 1
; LDSByteSize: 1024 bytes/workgroup (compile time only)
; SGPRBlocks: 3
; VGPRBlocks: 24
; NumSGPRsForWavesPerEU: 31
; NumVGPRsForWavesPerEU: 197
; Occupancy: 7
; WaveLimiterHint : 1
; COMPUTE_PGM_RSRC2:SCRATCH_EN: 1
; COMPUTE_PGM_RSRC2:USER_SGPR: 15
; COMPUTE_PGM_RSRC2:TRAP_HANDLER: 0
; COMPUTE_PGM_RSRC2:TGID_X_EN: 1
; COMPUTE_PGM_RSRC2:TGID_Y_EN: 0
; COMPUTE_PGM_RSRC2:TGID_Z_EN: 0
; COMPUTE_PGM_RSRC2:TIDIG_COMP_CNT: 0
	.text
	.p2alignl 7, 3214868480
	.fill 96, 4, 3214868480
	.type	__hip_cuid_288f8ddcac4336a0,@object ; @__hip_cuid_288f8ddcac4336a0
	.section	.bss,"aw",@nobits
	.globl	__hip_cuid_288f8ddcac4336a0
__hip_cuid_288f8ddcac4336a0:
	.byte	0                               ; 0x0
	.size	__hip_cuid_288f8ddcac4336a0, 1

	.ident	"AMD clang version 19.0.0git (https://github.com/RadeonOpenCompute/llvm-project roc-6.4.0 25133 c7fe45cf4b819c5991fe208aaa96edf142730f1d)"
	.section	".note.GNU-stack","",@progbits
	.addrsig
	.addrsig_sym __hip_cuid_288f8ddcac4336a0
	.amdgpu_metadata
---
amdhsa.kernels:
  - .args:
      - .offset:         0
        .size:           4
        .value_kind:     by_value
      - .offset:         4
        .size:           4
        .value_kind:     by_value
      - .address_space:  global
        .offset:         8
        .size:           8
        .value_kind:     global_buffer
      - .offset:         16
        .size:           4
        .value_kind:     by_value
      - .offset:         20
        .size:           4
        .value_kind:     by_value
      - .offset:         24
        .size:           8
        .value_kind:     by_value
    .group_segment_fixed_size: 0
    .kernarg_segment_align: 8
    .kernarg_segment_size: 32
    .language:       OpenCL C
    .language_version:
      - 2
      - 0
    .max_flat_workgroup_size: 64
    .name:           _ZN9rocsolver6v33100L18trti2_kernel_smallILi1EdPdEEv13rocblas_fill_17rocblas_diagonal_T1_iil
    .private_segment_fixed_size: 0
    .sgpr_count:     18
    .sgpr_spill_count: 0
    .symbol:         _ZN9rocsolver6v33100L18trti2_kernel_smallILi1EdPdEEv13rocblas_fill_17rocblas_diagonal_T1_iil.kd
    .uniform_work_group_size: 1
    .uses_dynamic_stack: false
    .vgpr_count:     8
    .vgpr_spill_count: 0
    .wavefront_size: 32
    .workgroup_processor_mode: 1
  - .args:
      - .offset:         0
        .size:           4
        .value_kind:     by_value
      - .offset:         4
        .size:           4
        .value_kind:     by_value
      - .address_space:  global
        .offset:         8
        .size:           8
        .value_kind:     global_buffer
      - .offset:         16
        .size:           4
        .value_kind:     by_value
      - .offset:         20
        .size:           4
        .value_kind:     by_value
      - .offset:         24
        .size:           8
        .value_kind:     by_value
    .group_segment_fixed_size: 32
    .kernarg_segment_align: 8
    .kernarg_segment_size: 32
    .language:       OpenCL C
    .language_version:
      - 2
      - 0
    .max_flat_workgroup_size: 64
    .name:           _ZN9rocsolver6v33100L18trti2_kernel_smallILi2EdPdEEv13rocblas_fill_17rocblas_diagonal_T1_iil
    .private_segment_fixed_size: 0
    .sgpr_count:     18
    .sgpr_spill_count: 0
    .symbol:         _ZN9rocsolver6v33100L18trti2_kernel_smallILi2EdPdEEv13rocblas_fill_17rocblas_diagonal_T1_iil.kd
    .uniform_work_group_size: 1
    .uses_dynamic_stack: false
    .vgpr_count:     21
    .vgpr_spill_count: 0
    .wavefront_size: 32
    .workgroup_processor_mode: 1
  - .args:
      - .offset:         0
        .size:           4
        .value_kind:     by_value
      - .offset:         4
        .size:           4
        .value_kind:     by_value
      - .address_space:  global
        .offset:         8
        .size:           8
        .value_kind:     global_buffer
      - .offset:         16
        .size:           4
        .value_kind:     by_value
      - .offset:         20
        .size:           4
        .value_kind:     by_value
      - .offset:         24
        .size:           8
        .value_kind:     by_value
    .group_segment_fixed_size: 56
    .kernarg_segment_align: 8
    .kernarg_segment_size: 32
    .language:       OpenCL C
    .language_version:
      - 2
      - 0
    .max_flat_workgroup_size: 64
    .name:           _ZN9rocsolver6v33100L18trti2_kernel_smallILi3EdPdEEv13rocblas_fill_17rocblas_diagonal_T1_iil
    .private_segment_fixed_size: 0
    .sgpr_count:     18
    .sgpr_spill_count: 0
    .symbol:         _ZN9rocsolver6v33100L18trti2_kernel_smallILi3EdPdEEv13rocblas_fill_17rocblas_diagonal_T1_iil.kd
    .uniform_work_group_size: 1
    .uses_dynamic_stack: false
    .vgpr_count:     25
    .vgpr_spill_count: 0
    .wavefront_size: 32
    .workgroup_processor_mode: 1
  - .args:
      - .offset:         0
        .size:           4
        .value_kind:     by_value
      - .offset:         4
        .size:           4
        .value_kind:     by_value
      - .address_space:  global
        .offset:         8
        .size:           8
        .value_kind:     global_buffer
      - .offset:         16
        .size:           4
        .value_kind:     by_value
      - .offset:         20
        .size:           4
        .value_kind:     by_value
      - .offset:         24
        .size:           8
        .value_kind:     by_value
    .group_segment_fixed_size: 64
    .kernarg_segment_align: 8
    .kernarg_segment_size: 32
    .language:       OpenCL C
    .language_version:
      - 2
      - 0
    .max_flat_workgroup_size: 64
    .name:           _ZN9rocsolver6v33100L18trti2_kernel_smallILi4EdPdEEv13rocblas_fill_17rocblas_diagonal_T1_iil
    .private_segment_fixed_size: 0
    .sgpr_count:     18
    .sgpr_spill_count: 0
    .symbol:         _ZN9rocsolver6v33100L18trti2_kernel_smallILi4EdPdEEv13rocblas_fill_17rocblas_diagonal_T1_iil.kd
    .uniform_work_group_size: 1
    .uses_dynamic_stack: false
    .vgpr_count:     41
    .vgpr_spill_count: 0
    .wavefront_size: 32
    .workgroup_processor_mode: 1
  - .args:
      - .offset:         0
        .size:           4
        .value_kind:     by_value
      - .offset:         4
        .size:           4
        .value_kind:     by_value
      - .address_space:  global
        .offset:         8
        .size:           8
        .value_kind:     global_buffer
      - .offset:         16
        .size:           4
        .value_kind:     by_value
      - .offset:         20
        .size:           4
        .value_kind:     by_value
      - .offset:         24
        .size:           8
        .value_kind:     by_value
    .group_segment_fixed_size: 88
    .kernarg_segment_align: 8
    .kernarg_segment_size: 32
    .language:       OpenCL C
    .language_version:
      - 2
      - 0
    .max_flat_workgroup_size: 64
    .name:           _ZN9rocsolver6v33100L18trti2_kernel_smallILi5EdPdEEv13rocblas_fill_17rocblas_diagonal_T1_iil
    .private_segment_fixed_size: 0
    .sgpr_count:     26
    .sgpr_spill_count: 0
    .symbol:         _ZN9rocsolver6v33100L18trti2_kernel_smallILi5EdPdEEv13rocblas_fill_17rocblas_diagonal_T1_iil.kd
    .uniform_work_group_size: 1
    .uses_dynamic_stack: false
    .vgpr_count:     54
    .vgpr_spill_count: 0
    .wavefront_size: 32
    .workgroup_processor_mode: 1
  - .args:
      - .offset:         0
        .size:           4
        .value_kind:     by_value
      - .offset:         4
        .size:           4
        .value_kind:     by_value
      - .address_space:  global
        .offset:         8
        .size:           8
        .value_kind:     global_buffer
      - .offset:         16
        .size:           4
        .value_kind:     by_value
      - .offset:         20
        .size:           4
        .value_kind:     by_value
      - .offset:         24
        .size:           8
        .value_kind:     by_value
    .group_segment_fixed_size: 96
    .kernarg_segment_align: 8
    .kernarg_segment_size: 32
    .language:       OpenCL C
    .language_version:
      - 2
      - 0
    .max_flat_workgroup_size: 64
    .name:           _ZN9rocsolver6v33100L18trti2_kernel_smallILi6EdPdEEv13rocblas_fill_17rocblas_diagonal_T1_iil
    .private_segment_fixed_size: 0
    .sgpr_count:     26
    .sgpr_spill_count: 0
    .symbol:         _ZN9rocsolver6v33100L18trti2_kernel_smallILi6EdPdEEv13rocblas_fill_17rocblas_diagonal_T1_iil.kd
    .uniform_work_group_size: 1
    .uses_dynamic_stack: false
    .vgpr_count:     62
    .vgpr_spill_count: 0
    .wavefront_size: 32
    .workgroup_processor_mode: 1
  - .args:
      - .offset:         0
        .size:           4
        .value_kind:     by_value
      - .offset:         4
        .size:           4
        .value_kind:     by_value
      - .address_space:  global
        .offset:         8
        .size:           8
        .value_kind:     global_buffer
      - .offset:         16
        .size:           4
        .value_kind:     by_value
      - .offset:         20
        .size:           4
        .value_kind:     by_value
      - .offset:         24
        .size:           8
        .value_kind:     by_value
    .group_segment_fixed_size: 120
    .kernarg_segment_align: 8
    .kernarg_segment_size: 32
    .language:       OpenCL C
    .language_version:
      - 2
      - 0
    .max_flat_workgroup_size: 64
    .name:           _ZN9rocsolver6v33100L18trti2_kernel_smallILi7EdPdEEv13rocblas_fill_17rocblas_diagonal_T1_iil
    .private_segment_fixed_size: 0
    .sgpr_count:     26
    .sgpr_spill_count: 0
    .symbol:         _ZN9rocsolver6v33100L18trti2_kernel_smallILi7EdPdEEv13rocblas_fill_17rocblas_diagonal_T1_iil.kd
    .uniform_work_group_size: 1
    .uses_dynamic_stack: false
    .vgpr_count:     64
    .vgpr_spill_count: 0
    .wavefront_size: 32
    .workgroup_processor_mode: 1
  - .args:
      - .offset:         0
        .size:           4
        .value_kind:     by_value
      - .offset:         4
        .size:           4
        .value_kind:     by_value
      - .address_space:  global
        .offset:         8
        .size:           8
        .value_kind:     global_buffer
      - .offset:         16
        .size:           4
        .value_kind:     by_value
      - .offset:         20
        .size:           4
        .value_kind:     by_value
      - .offset:         24
        .size:           8
        .value_kind:     by_value
    .group_segment_fixed_size: 128
    .kernarg_segment_align: 8
    .kernarg_segment_size: 32
    .language:       OpenCL C
    .language_version:
      - 2
      - 0
    .max_flat_workgroup_size: 64
    .name:           _ZN9rocsolver6v33100L18trti2_kernel_smallILi8EdPdEEv13rocblas_fill_17rocblas_diagonal_T1_iil
    .private_segment_fixed_size: 0
    .sgpr_count:     26
    .sgpr_spill_count: 0
    .symbol:         _ZN9rocsolver6v33100L18trti2_kernel_smallILi8EdPdEEv13rocblas_fill_17rocblas_diagonal_T1_iil.kd
    .uniform_work_group_size: 1
    .uses_dynamic_stack: false
    .vgpr_count:     66
    .vgpr_spill_count: 0
    .wavefront_size: 32
    .workgroup_processor_mode: 1
  - .args:
      - .offset:         0
        .size:           4
        .value_kind:     by_value
      - .offset:         4
        .size:           4
        .value_kind:     by_value
      - .address_space:  global
        .offset:         8
        .size:           8
        .value_kind:     global_buffer
      - .offset:         16
        .size:           4
        .value_kind:     by_value
      - .offset:         20
        .size:           4
        .value_kind:     by_value
      - .offset:         24
        .size:           8
        .value_kind:     by_value
    .group_segment_fixed_size: 152
    .kernarg_segment_align: 8
    .kernarg_segment_size: 32
    .language:       OpenCL C
    .language_version:
      - 2
      - 0
    .max_flat_workgroup_size: 64
    .name:           _ZN9rocsolver6v33100L18trti2_kernel_smallILi9EdPdEEv13rocblas_fill_17rocblas_diagonal_T1_iil
    .private_segment_fixed_size: 0
    .sgpr_count:     26
    .sgpr_spill_count: 0
    .symbol:         _ZN9rocsolver6v33100L18trti2_kernel_smallILi9EdPdEEv13rocblas_fill_17rocblas_diagonal_T1_iil.kd
    .uniform_work_group_size: 1
    .uses_dynamic_stack: false
    .vgpr_count:     100
    .vgpr_spill_count: 0
    .wavefront_size: 32
    .workgroup_processor_mode: 1
  - .args:
      - .offset:         0
        .size:           4
        .value_kind:     by_value
      - .offset:         4
        .size:           4
        .value_kind:     by_value
      - .address_space:  global
        .offset:         8
        .size:           8
        .value_kind:     global_buffer
      - .offset:         16
        .size:           4
        .value_kind:     by_value
      - .offset:         20
        .size:           4
        .value_kind:     by_value
      - .offset:         24
        .size:           8
        .value_kind:     by_value
    .group_segment_fixed_size: 160
    .kernarg_segment_align: 8
    .kernarg_segment_size: 32
    .language:       OpenCL C
    .language_version:
      - 2
      - 0
    .max_flat_workgroup_size: 64
    .name:           _ZN9rocsolver6v33100L18trti2_kernel_smallILi10EdPdEEv13rocblas_fill_17rocblas_diagonal_T1_iil
    .private_segment_fixed_size: 0
    .sgpr_count:     26
    .sgpr_spill_count: 0
    .symbol:         _ZN9rocsolver6v33100L18trti2_kernel_smallILi10EdPdEEv13rocblas_fill_17rocblas_diagonal_T1_iil.kd
    .uniform_work_group_size: 1
    .uses_dynamic_stack: false
    .vgpr_count:     102
    .vgpr_spill_count: 0
    .wavefront_size: 32
    .workgroup_processor_mode: 1
  - .args:
      - .offset:         0
        .size:           4
        .value_kind:     by_value
      - .offset:         4
        .size:           4
        .value_kind:     by_value
      - .address_space:  global
        .offset:         8
        .size:           8
        .value_kind:     global_buffer
      - .offset:         16
        .size:           4
        .value_kind:     by_value
      - .offset:         20
        .size:           4
        .value_kind:     by_value
      - .offset:         24
        .size:           8
        .value_kind:     by_value
    .group_segment_fixed_size: 184
    .kernarg_segment_align: 8
    .kernarg_segment_size: 32
    .language:       OpenCL C
    .language_version:
      - 2
      - 0
    .max_flat_workgroup_size: 64
    .name:           _ZN9rocsolver6v33100L18trti2_kernel_smallILi11EdPdEEv13rocblas_fill_17rocblas_diagonal_T1_iil
    .private_segment_fixed_size: 0
    .sgpr_count:     26
    .sgpr_spill_count: 0
    .symbol:         _ZN9rocsolver6v33100L18trti2_kernel_smallILi11EdPdEEv13rocblas_fill_17rocblas_diagonal_T1_iil.kd
    .uniform_work_group_size: 1
    .uses_dynamic_stack: false
    .vgpr_count:     104
    .vgpr_spill_count: 0
    .wavefront_size: 32
    .workgroup_processor_mode: 1
  - .args:
      - .offset:         0
        .size:           4
        .value_kind:     by_value
      - .offset:         4
        .size:           4
        .value_kind:     by_value
      - .address_space:  global
        .offset:         8
        .size:           8
        .value_kind:     global_buffer
      - .offset:         16
        .size:           4
        .value_kind:     by_value
      - .offset:         20
        .size:           4
        .value_kind:     by_value
      - .offset:         24
        .size:           8
        .value_kind:     by_value
    .group_segment_fixed_size: 192
    .kernarg_segment_align: 8
    .kernarg_segment_size: 32
    .language:       OpenCL C
    .language_version:
      - 2
      - 0
    .max_flat_workgroup_size: 64
    .name:           _ZN9rocsolver6v33100L18trti2_kernel_smallILi12EdPdEEv13rocblas_fill_17rocblas_diagonal_T1_iil
    .private_segment_fixed_size: 0
    .sgpr_count:     26
    .sgpr_spill_count: 0
    .symbol:         _ZN9rocsolver6v33100L18trti2_kernel_smallILi12EdPdEEv13rocblas_fill_17rocblas_diagonal_T1_iil.kd
    .uniform_work_group_size: 1
    .uses_dynamic_stack: false
    .vgpr_count:     106
    .vgpr_spill_count: 0
    .wavefront_size: 32
    .workgroup_processor_mode: 1
  - .args:
      - .offset:         0
        .size:           4
        .value_kind:     by_value
      - .offset:         4
        .size:           4
        .value_kind:     by_value
      - .address_space:  global
        .offset:         8
        .size:           8
        .value_kind:     global_buffer
      - .offset:         16
        .size:           4
        .value_kind:     by_value
      - .offset:         20
        .size:           4
        .value_kind:     by_value
      - .offset:         24
        .size:           8
        .value_kind:     by_value
    .group_segment_fixed_size: 216
    .kernarg_segment_align: 8
    .kernarg_segment_size: 32
    .language:       OpenCL C
    .language_version:
      - 2
      - 0
    .max_flat_workgroup_size: 64
    .name:           _ZN9rocsolver6v33100L18trti2_kernel_smallILi13EdPdEEv13rocblas_fill_17rocblas_diagonal_T1_iil
    .private_segment_fixed_size: 0
    .sgpr_count:     26
    .sgpr_spill_count: 0
    .symbol:         _ZN9rocsolver6v33100L18trti2_kernel_smallILi13EdPdEEv13rocblas_fill_17rocblas_diagonal_T1_iil.kd
    .uniform_work_group_size: 1
    .uses_dynamic_stack: false
    .vgpr_count:     108
    .vgpr_spill_count: 0
    .wavefront_size: 32
    .workgroup_processor_mode: 1
  - .args:
      - .offset:         0
        .size:           4
        .value_kind:     by_value
      - .offset:         4
        .size:           4
        .value_kind:     by_value
      - .address_space:  global
        .offset:         8
        .size:           8
        .value_kind:     global_buffer
      - .offset:         16
        .size:           4
        .value_kind:     by_value
      - .offset:         20
        .size:           4
        .value_kind:     by_value
      - .offset:         24
        .size:           8
        .value_kind:     by_value
    .group_segment_fixed_size: 224
    .kernarg_segment_align: 8
    .kernarg_segment_size: 32
    .language:       OpenCL C
    .language_version:
      - 2
      - 0
    .max_flat_workgroup_size: 64
    .name:           _ZN9rocsolver6v33100L18trti2_kernel_smallILi14EdPdEEv13rocblas_fill_17rocblas_diagonal_T1_iil
    .private_segment_fixed_size: 0
    .sgpr_count:     26
    .sgpr_spill_count: 0
    .symbol:         _ZN9rocsolver6v33100L18trti2_kernel_smallILi14EdPdEEv13rocblas_fill_17rocblas_diagonal_T1_iil.kd
    .uniform_work_group_size: 1
    .uses_dynamic_stack: false
    .vgpr_count:     110
    .vgpr_spill_count: 0
    .wavefront_size: 32
    .workgroup_processor_mode: 1
  - .args:
      - .offset:         0
        .size:           4
        .value_kind:     by_value
      - .offset:         4
        .size:           4
        .value_kind:     by_value
      - .address_space:  global
        .offset:         8
        .size:           8
        .value_kind:     global_buffer
      - .offset:         16
        .size:           4
        .value_kind:     by_value
      - .offset:         20
        .size:           4
        .value_kind:     by_value
      - .offset:         24
        .size:           8
        .value_kind:     by_value
    .group_segment_fixed_size: 248
    .kernarg_segment_align: 8
    .kernarg_segment_size: 32
    .language:       OpenCL C
    .language_version:
      - 2
      - 0
    .max_flat_workgroup_size: 64
    .name:           _ZN9rocsolver6v33100L18trti2_kernel_smallILi15EdPdEEv13rocblas_fill_17rocblas_diagonal_T1_iil
    .private_segment_fixed_size: 0
    .sgpr_count:     26
    .sgpr_spill_count: 0
    .symbol:         _ZN9rocsolver6v33100L18trti2_kernel_smallILi15EdPdEEv13rocblas_fill_17rocblas_diagonal_T1_iil.kd
    .uniform_work_group_size: 1
    .uses_dynamic_stack: false
    .vgpr_count:     112
    .vgpr_spill_count: 0
    .wavefront_size: 32
    .workgroup_processor_mode: 1
  - .args:
      - .offset:         0
        .size:           4
        .value_kind:     by_value
      - .offset:         4
        .size:           4
        .value_kind:     by_value
      - .address_space:  global
        .offset:         8
        .size:           8
        .value_kind:     global_buffer
      - .offset:         16
        .size:           4
        .value_kind:     by_value
      - .offset:         20
        .size:           4
        .value_kind:     by_value
      - .offset:         24
        .size:           8
        .value_kind:     by_value
    .group_segment_fixed_size: 256
    .kernarg_segment_align: 8
    .kernarg_segment_size: 32
    .language:       OpenCL C
    .language_version:
      - 2
      - 0
    .max_flat_workgroup_size: 64
    .name:           _ZN9rocsolver6v33100L18trti2_kernel_smallILi16EdPdEEv13rocblas_fill_17rocblas_diagonal_T1_iil
    .private_segment_fixed_size: 0
    .sgpr_count:     26
    .sgpr_spill_count: 0
    .symbol:         _ZN9rocsolver6v33100L18trti2_kernel_smallILi16EdPdEEv13rocblas_fill_17rocblas_diagonal_T1_iil.kd
    .uniform_work_group_size: 1
    .uses_dynamic_stack: false
    .vgpr_count:     114
    .vgpr_spill_count: 0
    .wavefront_size: 32
    .workgroup_processor_mode: 1
  - .args:
      - .offset:         0
        .size:           4
        .value_kind:     by_value
      - .offset:         4
        .size:           4
        .value_kind:     by_value
      - .address_space:  global
        .offset:         8
        .size:           8
        .value_kind:     global_buffer
      - .offset:         16
        .size:           4
        .value_kind:     by_value
      - .offset:         20
        .size:           4
        .value_kind:     by_value
      - .offset:         24
        .size:           8
        .value_kind:     by_value
    .group_segment_fixed_size: 280
    .kernarg_segment_align: 8
    .kernarg_segment_size: 32
    .language:       OpenCL C
    .language_version:
      - 2
      - 0
    .max_flat_workgroup_size: 64
    .name:           _ZN9rocsolver6v33100L18trti2_kernel_smallILi17EdPdEEv13rocblas_fill_17rocblas_diagonal_T1_iil
    .private_segment_fixed_size: 144
    .sgpr_count:     18
    .sgpr_spill_count: 0
    .symbol:         _ZN9rocsolver6v33100L18trti2_kernel_smallILi17EdPdEEv13rocblas_fill_17rocblas_diagonal_T1_iil.kd
    .uniform_work_group_size: 1
    .uses_dynamic_stack: false
    .vgpr_count:     72
    .vgpr_spill_count: 0
    .wavefront_size: 32
    .workgroup_processor_mode: 1
  - .args:
      - .offset:         0
        .size:           4
        .value_kind:     by_value
      - .offset:         4
        .size:           4
        .value_kind:     by_value
      - .address_space:  global
        .offset:         8
        .size:           8
        .value_kind:     global_buffer
      - .offset:         16
        .size:           4
        .value_kind:     by_value
      - .offset:         20
        .size:           4
        .value_kind:     by_value
      - .offset:         24
        .size:           8
        .value_kind:     by_value
    .group_segment_fixed_size: 288
    .kernarg_segment_align: 8
    .kernarg_segment_size: 32
    .language:       OpenCL C
    .language_version:
      - 2
      - 0
    .max_flat_workgroup_size: 64
    .name:           _ZN9rocsolver6v33100L18trti2_kernel_smallILi18EdPdEEv13rocblas_fill_17rocblas_diagonal_T1_iil
    .private_segment_fixed_size: 160
    .sgpr_count:     18
    .sgpr_spill_count: 0
    .symbol:         _ZN9rocsolver6v33100L18trti2_kernel_smallILi18EdPdEEv13rocblas_fill_17rocblas_diagonal_T1_iil.kd
    .uniform_work_group_size: 1
    .uses_dynamic_stack: false
    .vgpr_count:     76
    .vgpr_spill_count: 0
    .wavefront_size: 32
    .workgroup_processor_mode: 1
  - .args:
      - .offset:         0
        .size:           4
        .value_kind:     by_value
      - .offset:         4
        .size:           4
        .value_kind:     by_value
      - .address_space:  global
        .offset:         8
        .size:           8
        .value_kind:     global_buffer
      - .offset:         16
        .size:           4
        .value_kind:     by_value
      - .offset:         20
        .size:           4
        .value_kind:     by_value
      - .offset:         24
        .size:           8
        .value_kind:     by_value
    .group_segment_fixed_size: 312
    .kernarg_segment_align: 8
    .kernarg_segment_size: 32
    .language:       OpenCL C
    .language_version:
      - 2
      - 0
    .max_flat_workgroup_size: 64
    .name:           _ZN9rocsolver6v33100L18trti2_kernel_smallILi19EdPdEEv13rocblas_fill_17rocblas_diagonal_T1_iil
    .private_segment_fixed_size: 160
    .sgpr_count:     18
    .sgpr_spill_count: 0
    .symbol:         _ZN9rocsolver6v33100L18trti2_kernel_smallILi19EdPdEEv13rocblas_fill_17rocblas_diagonal_T1_iil.kd
    .uniform_work_group_size: 1
    .uses_dynamic_stack: false
    .vgpr_count:     80
    .vgpr_spill_count: 0
    .wavefront_size: 32
    .workgroup_processor_mode: 1
  - .args:
      - .offset:         0
        .size:           4
        .value_kind:     by_value
      - .offset:         4
        .size:           4
        .value_kind:     by_value
      - .address_space:  global
        .offset:         8
        .size:           8
        .value_kind:     global_buffer
      - .offset:         16
        .size:           4
        .value_kind:     by_value
      - .offset:         20
        .size:           4
        .value_kind:     by_value
      - .offset:         24
        .size:           8
        .value_kind:     by_value
    .group_segment_fixed_size: 320
    .kernarg_segment_align: 8
    .kernarg_segment_size: 32
    .language:       OpenCL C
    .language_version:
      - 2
      - 0
    .max_flat_workgroup_size: 64
    .name:           _ZN9rocsolver6v33100L18trti2_kernel_smallILi20EdPdEEv13rocblas_fill_17rocblas_diagonal_T1_iil
    .private_segment_fixed_size: 176
    .sgpr_count:     18
    .sgpr_spill_count: 0
    .symbol:         _ZN9rocsolver6v33100L18trti2_kernel_smallILi20EdPdEEv13rocblas_fill_17rocblas_diagonal_T1_iil.kd
    .uniform_work_group_size: 1
    .uses_dynamic_stack: false
    .vgpr_count:     84
    .vgpr_spill_count: 0
    .wavefront_size: 32
    .workgroup_processor_mode: 1
  - .args:
      - .offset:         0
        .size:           4
        .value_kind:     by_value
      - .offset:         4
        .size:           4
        .value_kind:     by_value
      - .address_space:  global
        .offset:         8
        .size:           8
        .value_kind:     global_buffer
      - .offset:         16
        .size:           4
        .value_kind:     by_value
      - .offset:         20
        .size:           4
        .value_kind:     by_value
      - .offset:         24
        .size:           8
        .value_kind:     by_value
    .group_segment_fixed_size: 344
    .kernarg_segment_align: 8
    .kernarg_segment_size: 32
    .language:       OpenCL C
    .language_version:
      - 2
      - 0
    .max_flat_workgroup_size: 64
    .name:           _ZN9rocsolver6v33100L18trti2_kernel_smallILi21EdPdEEv13rocblas_fill_17rocblas_diagonal_T1_iil
    .private_segment_fixed_size: 176
    .sgpr_count:     18
    .sgpr_spill_count: 0
    .symbol:         _ZN9rocsolver6v33100L18trti2_kernel_smallILi21EdPdEEv13rocblas_fill_17rocblas_diagonal_T1_iil.kd
    .uniform_work_group_size: 1
    .uses_dynamic_stack: false
    .vgpr_count:     88
    .vgpr_spill_count: 0
    .wavefront_size: 32
    .workgroup_processor_mode: 1
  - .args:
      - .offset:         0
        .size:           4
        .value_kind:     by_value
      - .offset:         4
        .size:           4
        .value_kind:     by_value
      - .address_space:  global
        .offset:         8
        .size:           8
        .value_kind:     global_buffer
      - .offset:         16
        .size:           4
        .value_kind:     by_value
      - .offset:         20
        .size:           4
        .value_kind:     by_value
      - .offset:         24
        .size:           8
        .value_kind:     by_value
    .group_segment_fixed_size: 352
    .kernarg_segment_align: 8
    .kernarg_segment_size: 32
    .language:       OpenCL C
    .language_version:
      - 2
      - 0
    .max_flat_workgroup_size: 64
    .name:           _ZN9rocsolver6v33100L18trti2_kernel_smallILi22EdPdEEv13rocblas_fill_17rocblas_diagonal_T1_iil
    .private_segment_fixed_size: 192
    .sgpr_count:     18
    .sgpr_spill_count: 0
    .symbol:         _ZN9rocsolver6v33100L18trti2_kernel_smallILi22EdPdEEv13rocblas_fill_17rocblas_diagonal_T1_iil.kd
    .uniform_work_group_size: 1
    .uses_dynamic_stack: false
    .vgpr_count:     92
    .vgpr_spill_count: 0
    .wavefront_size: 32
    .workgroup_processor_mode: 1
  - .args:
      - .offset:         0
        .size:           4
        .value_kind:     by_value
      - .offset:         4
        .size:           4
        .value_kind:     by_value
      - .address_space:  global
        .offset:         8
        .size:           8
        .value_kind:     global_buffer
      - .offset:         16
        .size:           4
        .value_kind:     by_value
      - .offset:         20
        .size:           4
        .value_kind:     by_value
      - .offset:         24
        .size:           8
        .value_kind:     by_value
    .group_segment_fixed_size: 376
    .kernarg_segment_align: 8
    .kernarg_segment_size: 32
    .language:       OpenCL C
    .language_version:
      - 2
      - 0
    .max_flat_workgroup_size: 64
    .name:           _ZN9rocsolver6v33100L18trti2_kernel_smallILi23EdPdEEv13rocblas_fill_17rocblas_diagonal_T1_iil
    .private_segment_fixed_size: 192
    .sgpr_count:     18
    .sgpr_spill_count: 0
    .symbol:         _ZN9rocsolver6v33100L18trti2_kernel_smallILi23EdPdEEv13rocblas_fill_17rocblas_diagonal_T1_iil.kd
    .uniform_work_group_size: 1
    .uses_dynamic_stack: false
    .vgpr_count:     93
    .vgpr_spill_count: 0
    .wavefront_size: 32
    .workgroup_processor_mode: 1
  - .args:
      - .offset:         0
        .size:           4
        .value_kind:     by_value
      - .offset:         4
        .size:           4
        .value_kind:     by_value
      - .address_space:  global
        .offset:         8
        .size:           8
        .value_kind:     global_buffer
      - .offset:         16
        .size:           4
        .value_kind:     by_value
      - .offset:         20
        .size:           4
        .value_kind:     by_value
      - .offset:         24
        .size:           8
        .value_kind:     by_value
    .group_segment_fixed_size: 384
    .kernarg_segment_align: 8
    .kernarg_segment_size: 32
    .language:       OpenCL C
    .language_version:
      - 2
      - 0
    .max_flat_workgroup_size: 64
    .name:           _ZN9rocsolver6v33100L18trti2_kernel_smallILi24EdPdEEv13rocblas_fill_17rocblas_diagonal_T1_iil
    .private_segment_fixed_size: 208
    .sgpr_count:     18
    .sgpr_spill_count: 0
    .symbol:         _ZN9rocsolver6v33100L18trti2_kernel_smallILi24EdPdEEv13rocblas_fill_17rocblas_diagonal_T1_iil.kd
    .uniform_work_group_size: 1
    .uses_dynamic_stack: false
    .vgpr_count:     93
    .vgpr_spill_count: 0
    .wavefront_size: 32
    .workgroup_processor_mode: 1
  - .args:
      - .offset:         0
        .size:           4
        .value_kind:     by_value
      - .offset:         4
        .size:           4
        .value_kind:     by_value
      - .address_space:  global
        .offset:         8
        .size:           8
        .value_kind:     global_buffer
      - .offset:         16
        .size:           4
        .value_kind:     by_value
      - .offset:         20
        .size:           4
        .value_kind:     by_value
      - .offset:         24
        .size:           8
        .value_kind:     by_value
    .group_segment_fixed_size: 408
    .kernarg_segment_align: 8
    .kernarg_segment_size: 32
    .language:       OpenCL C
    .language_version:
      - 2
      - 0
    .max_flat_workgroup_size: 64
    .name:           _ZN9rocsolver6v33100L18trti2_kernel_smallILi25EdPdEEv13rocblas_fill_17rocblas_diagonal_T1_iil
    .private_segment_fixed_size: 208
    .sgpr_count:     18
    .sgpr_spill_count: 0
    .symbol:         _ZN9rocsolver6v33100L18trti2_kernel_smallILi25EdPdEEv13rocblas_fill_17rocblas_diagonal_T1_iil.kd
    .uniform_work_group_size: 1
    .uses_dynamic_stack: false
    .vgpr_count:     95
    .vgpr_spill_count: 0
    .wavefront_size: 32
    .workgroup_processor_mode: 1
  - .args:
      - .offset:         0
        .size:           4
        .value_kind:     by_value
      - .offset:         4
        .size:           4
        .value_kind:     by_value
      - .address_space:  global
        .offset:         8
        .size:           8
        .value_kind:     global_buffer
      - .offset:         16
        .size:           4
        .value_kind:     by_value
      - .offset:         20
        .size:           4
        .value_kind:     by_value
      - .offset:         24
        .size:           8
        .value_kind:     by_value
    .group_segment_fixed_size: 416
    .kernarg_segment_align: 8
    .kernarg_segment_size: 32
    .language:       OpenCL C
    .language_version:
      - 2
      - 0
    .max_flat_workgroup_size: 64
    .name:           _ZN9rocsolver6v33100L18trti2_kernel_smallILi26EdPdEEv13rocblas_fill_17rocblas_diagonal_T1_iil
    .private_segment_fixed_size: 224
    .sgpr_count:     18
    .sgpr_spill_count: 0
    .symbol:         _ZN9rocsolver6v33100L18trti2_kernel_smallILi26EdPdEEv13rocblas_fill_17rocblas_diagonal_T1_iil.kd
    .uniform_work_group_size: 1
    .uses_dynamic_stack: false
    .vgpr_count:     94
    .vgpr_spill_count: 0
    .wavefront_size: 32
    .workgroup_processor_mode: 1
  - .args:
      - .offset:         0
        .size:           4
        .value_kind:     by_value
      - .offset:         4
        .size:           4
        .value_kind:     by_value
      - .address_space:  global
        .offset:         8
        .size:           8
        .value_kind:     global_buffer
      - .offset:         16
        .size:           4
        .value_kind:     by_value
      - .offset:         20
        .size:           4
        .value_kind:     by_value
      - .offset:         24
        .size:           8
        .value_kind:     by_value
    .group_segment_fixed_size: 440
    .kernarg_segment_align: 8
    .kernarg_segment_size: 32
    .language:       OpenCL C
    .language_version:
      - 2
      - 0
    .max_flat_workgroup_size: 64
    .name:           _ZN9rocsolver6v33100L18trti2_kernel_smallILi27EdPdEEv13rocblas_fill_17rocblas_diagonal_T1_iil
    .private_segment_fixed_size: 224
    .sgpr_count:     18
    .sgpr_spill_count: 0
    .symbol:         _ZN9rocsolver6v33100L18trti2_kernel_smallILi27EdPdEEv13rocblas_fill_17rocblas_diagonal_T1_iil.kd
    .uniform_work_group_size: 1
    .uses_dynamic_stack: false
    .vgpr_count:     96
    .vgpr_spill_count: 0
    .wavefront_size: 32
    .workgroup_processor_mode: 1
  - .args:
      - .offset:         0
        .size:           4
        .value_kind:     by_value
      - .offset:         4
        .size:           4
        .value_kind:     by_value
      - .address_space:  global
        .offset:         8
        .size:           8
        .value_kind:     global_buffer
      - .offset:         16
        .size:           4
        .value_kind:     by_value
      - .offset:         20
        .size:           4
        .value_kind:     by_value
      - .offset:         24
        .size:           8
        .value_kind:     by_value
    .group_segment_fixed_size: 448
    .kernarg_segment_align: 8
    .kernarg_segment_size: 32
    .language:       OpenCL C
    .language_version:
      - 2
      - 0
    .max_flat_workgroup_size: 64
    .name:           _ZN9rocsolver6v33100L18trti2_kernel_smallILi28EdPdEEv13rocblas_fill_17rocblas_diagonal_T1_iil
    .private_segment_fixed_size: 240
    .sgpr_count:     18
    .sgpr_spill_count: 0
    .symbol:         _ZN9rocsolver6v33100L18trti2_kernel_smallILi28EdPdEEv13rocblas_fill_17rocblas_diagonal_T1_iil.kd
    .uniform_work_group_size: 1
    .uses_dynamic_stack: false
    .vgpr_count:     98
    .vgpr_spill_count: 0
    .wavefront_size: 32
    .workgroup_processor_mode: 1
  - .args:
      - .offset:         0
        .size:           4
        .value_kind:     by_value
      - .offset:         4
        .size:           4
        .value_kind:     by_value
      - .address_space:  global
        .offset:         8
        .size:           8
        .value_kind:     global_buffer
      - .offset:         16
        .size:           4
        .value_kind:     by_value
      - .offset:         20
        .size:           4
        .value_kind:     by_value
      - .offset:         24
        .size:           8
        .value_kind:     by_value
    .group_segment_fixed_size: 472
    .kernarg_segment_align: 8
    .kernarg_segment_size: 32
    .language:       OpenCL C
    .language_version:
      - 2
      - 0
    .max_flat_workgroup_size: 64
    .name:           _ZN9rocsolver6v33100L18trti2_kernel_smallILi29EdPdEEv13rocblas_fill_17rocblas_diagonal_T1_iil
    .private_segment_fixed_size: 240
    .sgpr_count:     18
    .sgpr_spill_count: 0
    .symbol:         _ZN9rocsolver6v33100L18trti2_kernel_smallILi29EdPdEEv13rocblas_fill_17rocblas_diagonal_T1_iil.kd
    .uniform_work_group_size: 1
    .uses_dynamic_stack: false
    .vgpr_count:     95
    .vgpr_spill_count: 0
    .wavefront_size: 32
    .workgroup_processor_mode: 1
  - .args:
      - .offset:         0
        .size:           4
        .value_kind:     by_value
      - .offset:         4
        .size:           4
        .value_kind:     by_value
      - .address_space:  global
        .offset:         8
        .size:           8
        .value_kind:     global_buffer
      - .offset:         16
        .size:           4
        .value_kind:     by_value
      - .offset:         20
        .size:           4
        .value_kind:     by_value
      - .offset:         24
        .size:           8
        .value_kind:     by_value
    .group_segment_fixed_size: 480
    .kernarg_segment_align: 8
    .kernarg_segment_size: 32
    .language:       OpenCL C
    .language_version:
      - 2
      - 0
    .max_flat_workgroup_size: 64
    .name:           _ZN9rocsolver6v33100L18trti2_kernel_smallILi30EdPdEEv13rocblas_fill_17rocblas_diagonal_T1_iil
    .private_segment_fixed_size: 256
    .sgpr_count:     18
    .sgpr_spill_count: 0
    .symbol:         _ZN9rocsolver6v33100L18trti2_kernel_smallILi30EdPdEEv13rocblas_fill_17rocblas_diagonal_T1_iil.kd
    .uniform_work_group_size: 1
    .uses_dynamic_stack: false
    .vgpr_count:     96
    .vgpr_spill_count: 0
    .wavefront_size: 32
    .workgroup_processor_mode: 1
  - .args:
      - .offset:         0
        .size:           4
        .value_kind:     by_value
      - .offset:         4
        .size:           4
        .value_kind:     by_value
      - .address_space:  global
        .offset:         8
        .size:           8
        .value_kind:     global_buffer
      - .offset:         16
        .size:           4
        .value_kind:     by_value
      - .offset:         20
        .size:           4
        .value_kind:     by_value
      - .offset:         24
        .size:           8
        .value_kind:     by_value
    .group_segment_fixed_size: 504
    .kernarg_segment_align: 8
    .kernarg_segment_size: 32
    .language:       OpenCL C
    .language_version:
      - 2
      - 0
    .max_flat_workgroup_size: 64
    .name:           _ZN9rocsolver6v33100L18trti2_kernel_smallILi31EdPdEEv13rocblas_fill_17rocblas_diagonal_T1_iil
    .private_segment_fixed_size: 256
    .sgpr_count:     18
    .sgpr_spill_count: 0
    .symbol:         _ZN9rocsolver6v33100L18trti2_kernel_smallILi31EdPdEEv13rocblas_fill_17rocblas_diagonal_T1_iil.kd
    .uniform_work_group_size: 1
    .uses_dynamic_stack: false
    .vgpr_count:     100
    .vgpr_spill_count: 0
    .wavefront_size: 32
    .workgroup_processor_mode: 1
  - .args:
      - .offset:         0
        .size:           4
        .value_kind:     by_value
      - .offset:         4
        .size:           4
        .value_kind:     by_value
      - .address_space:  global
        .offset:         8
        .size:           8
        .value_kind:     global_buffer
      - .offset:         16
        .size:           4
        .value_kind:     by_value
      - .offset:         20
        .size:           4
        .value_kind:     by_value
      - .offset:         24
        .size:           8
        .value_kind:     by_value
    .group_segment_fixed_size: 512
    .kernarg_segment_align: 8
    .kernarg_segment_size: 32
    .language:       OpenCL C
    .language_version:
      - 2
      - 0
    .max_flat_workgroup_size: 64
    .name:           _ZN9rocsolver6v33100L18trti2_kernel_smallILi32EdPdEEv13rocblas_fill_17rocblas_diagonal_T1_iil
    .private_segment_fixed_size: 272
    .sgpr_count:     18
    .sgpr_spill_count: 0
    .symbol:         _ZN9rocsolver6v33100L18trti2_kernel_smallILi32EdPdEEv13rocblas_fill_17rocblas_diagonal_T1_iil.kd
    .uniform_work_group_size: 1
    .uses_dynamic_stack: false
    .vgpr_count:     102
    .vgpr_spill_count: 0
    .wavefront_size: 32
    .workgroup_processor_mode: 1
  - .args:
      - .offset:         0
        .size:           4
        .value_kind:     by_value
      - .offset:         4
        .size:           4
        .value_kind:     by_value
      - .address_space:  global
        .offset:         8
        .size:           8
        .value_kind:     global_buffer
      - .offset:         16
        .size:           4
        .value_kind:     by_value
      - .offset:         20
        .size:           4
        .value_kind:     by_value
      - .offset:         24
        .size:           8
        .value_kind:     by_value
    .group_segment_fixed_size: 536
    .kernarg_segment_align: 8
    .kernarg_segment_size: 32
    .language:       OpenCL C
    .language_version:
      - 2
      - 0
    .max_flat_workgroup_size: 64
    .name:           _ZN9rocsolver6v33100L18trti2_kernel_smallILi33EdPdEEv13rocblas_fill_17rocblas_diagonal_T1_iil
    .private_segment_fixed_size: 272
    .sgpr_count:     18
    .sgpr_spill_count: 0
    .symbol:         _ZN9rocsolver6v33100L18trti2_kernel_smallILi33EdPdEEv13rocblas_fill_17rocblas_diagonal_T1_iil.kd
    .uniform_work_group_size: 1
    .uses_dynamic_stack: false
    .vgpr_count:     95
    .vgpr_spill_count: 0
    .wavefront_size: 32
    .workgroup_processor_mode: 1
  - .args:
      - .offset:         0
        .size:           4
        .value_kind:     by_value
      - .offset:         4
        .size:           4
        .value_kind:     by_value
      - .address_space:  global
        .offset:         8
        .size:           8
        .value_kind:     global_buffer
      - .offset:         16
        .size:           4
        .value_kind:     by_value
      - .offset:         20
        .size:           4
        .value_kind:     by_value
      - .offset:         24
        .size:           8
        .value_kind:     by_value
    .group_segment_fixed_size: 544
    .kernarg_segment_align: 8
    .kernarg_segment_size: 32
    .language:       OpenCL C
    .language_version:
      - 2
      - 0
    .max_flat_workgroup_size: 64
    .name:           _ZN9rocsolver6v33100L18trti2_kernel_smallILi34EdPdEEv13rocblas_fill_17rocblas_diagonal_T1_iil
    .private_segment_fixed_size: 288
    .sgpr_count:     18
    .sgpr_spill_count: 0
    .symbol:         _ZN9rocsolver6v33100L18trti2_kernel_smallILi34EdPdEEv13rocblas_fill_17rocblas_diagonal_T1_iil.kd
    .uniform_work_group_size: 1
    .uses_dynamic_stack: false
    .vgpr_count:     98
    .vgpr_spill_count: 0
    .wavefront_size: 32
    .workgroup_processor_mode: 1
  - .args:
      - .offset:         0
        .size:           4
        .value_kind:     by_value
      - .offset:         4
        .size:           4
        .value_kind:     by_value
      - .address_space:  global
        .offset:         8
        .size:           8
        .value_kind:     global_buffer
      - .offset:         16
        .size:           4
        .value_kind:     by_value
      - .offset:         20
        .size:           4
        .value_kind:     by_value
      - .offset:         24
        .size:           8
        .value_kind:     by_value
    .group_segment_fixed_size: 568
    .kernarg_segment_align: 8
    .kernarg_segment_size: 32
    .language:       OpenCL C
    .language_version:
      - 2
      - 0
    .max_flat_workgroup_size: 64
    .name:           _ZN9rocsolver6v33100L18trti2_kernel_smallILi35EdPdEEv13rocblas_fill_17rocblas_diagonal_T1_iil
    .private_segment_fixed_size: 288
    .sgpr_count:     18
    .sgpr_spill_count: 0
    .symbol:         _ZN9rocsolver6v33100L18trti2_kernel_smallILi35EdPdEEv13rocblas_fill_17rocblas_diagonal_T1_iil.kd
    .uniform_work_group_size: 1
    .uses_dynamic_stack: false
    .vgpr_count:     120
    .vgpr_spill_count: 0
    .wavefront_size: 32
    .workgroup_processor_mode: 1
  - .args:
      - .offset:         0
        .size:           4
        .value_kind:     by_value
      - .offset:         4
        .size:           4
        .value_kind:     by_value
      - .address_space:  global
        .offset:         8
        .size:           8
        .value_kind:     global_buffer
      - .offset:         16
        .size:           4
        .value_kind:     by_value
      - .offset:         20
        .size:           4
        .value_kind:     by_value
      - .offset:         24
        .size:           8
        .value_kind:     by_value
    .group_segment_fixed_size: 576
    .kernarg_segment_align: 8
    .kernarg_segment_size: 32
    .language:       OpenCL C
    .language_version:
      - 2
      - 0
    .max_flat_workgroup_size: 64
    .name:           _ZN9rocsolver6v33100L18trti2_kernel_smallILi36EdPdEEv13rocblas_fill_17rocblas_diagonal_T1_iil
    .private_segment_fixed_size: 304
    .sgpr_count:     18
    .sgpr_spill_count: 0
    .symbol:         _ZN9rocsolver6v33100L18trti2_kernel_smallILi36EdPdEEv13rocblas_fill_17rocblas_diagonal_T1_iil.kd
    .uniform_work_group_size: 1
    .uses_dynamic_stack: false
    .vgpr_count:     122
    .vgpr_spill_count: 0
    .wavefront_size: 32
    .workgroup_processor_mode: 1
  - .args:
      - .offset:         0
        .size:           4
        .value_kind:     by_value
      - .offset:         4
        .size:           4
        .value_kind:     by_value
      - .address_space:  global
        .offset:         8
        .size:           8
        .value_kind:     global_buffer
      - .offset:         16
        .size:           4
        .value_kind:     by_value
      - .offset:         20
        .size:           4
        .value_kind:     by_value
      - .offset:         24
        .size:           8
        .value_kind:     by_value
    .group_segment_fixed_size: 600
    .kernarg_segment_align: 8
    .kernarg_segment_size: 32
    .language:       OpenCL C
    .language_version:
      - 2
      - 0
    .max_flat_workgroup_size: 64
    .name:           _ZN9rocsolver6v33100L18trti2_kernel_smallILi37EdPdEEv13rocblas_fill_17rocblas_diagonal_T1_iil
    .private_segment_fixed_size: 304
    .sgpr_count:     18
    .sgpr_spill_count: 0
    .symbol:         _ZN9rocsolver6v33100L18trti2_kernel_smallILi37EdPdEEv13rocblas_fill_17rocblas_diagonal_T1_iil.kd
    .uniform_work_group_size: 1
    .uses_dynamic_stack: false
    .vgpr_count:     123
    .vgpr_spill_count: 0
    .wavefront_size: 32
    .workgroup_processor_mode: 1
  - .args:
      - .offset:         0
        .size:           4
        .value_kind:     by_value
      - .offset:         4
        .size:           4
        .value_kind:     by_value
      - .address_space:  global
        .offset:         8
        .size:           8
        .value_kind:     global_buffer
      - .offset:         16
        .size:           4
        .value_kind:     by_value
      - .offset:         20
        .size:           4
        .value_kind:     by_value
      - .offset:         24
        .size:           8
        .value_kind:     by_value
    .group_segment_fixed_size: 608
    .kernarg_segment_align: 8
    .kernarg_segment_size: 32
    .language:       OpenCL C
    .language_version:
      - 2
      - 0
    .max_flat_workgroup_size: 64
    .name:           _ZN9rocsolver6v33100L18trti2_kernel_smallILi38EdPdEEv13rocblas_fill_17rocblas_diagonal_T1_iil
    .private_segment_fixed_size: 320
    .sgpr_count:     18
    .sgpr_spill_count: 0
    .symbol:         _ZN9rocsolver6v33100L18trti2_kernel_smallILi38EdPdEEv13rocblas_fill_17rocblas_diagonal_T1_iil.kd
    .uniform_work_group_size: 1
    .uses_dynamic_stack: false
    .vgpr_count:     122
    .vgpr_spill_count: 0
    .wavefront_size: 32
    .workgroup_processor_mode: 1
  - .args:
      - .offset:         0
        .size:           4
        .value_kind:     by_value
      - .offset:         4
        .size:           4
        .value_kind:     by_value
      - .address_space:  global
        .offset:         8
        .size:           8
        .value_kind:     global_buffer
      - .offset:         16
        .size:           4
        .value_kind:     by_value
      - .offset:         20
        .size:           4
        .value_kind:     by_value
      - .offset:         24
        .size:           8
        .value_kind:     by_value
    .group_segment_fixed_size: 632
    .kernarg_segment_align: 8
    .kernarg_segment_size: 32
    .language:       OpenCL C
    .language_version:
      - 2
      - 0
    .max_flat_workgroup_size: 64
    .name:           _ZN9rocsolver6v33100L18trti2_kernel_smallILi39EdPdEEv13rocblas_fill_17rocblas_diagonal_T1_iil
    .private_segment_fixed_size: 320
    .sgpr_count:     19
    .sgpr_spill_count: 0
    .symbol:         _ZN9rocsolver6v33100L18trti2_kernel_smallILi39EdPdEEv13rocblas_fill_17rocblas_diagonal_T1_iil.kd
    .uniform_work_group_size: 1
    .uses_dynamic_stack: false
    .vgpr_count:     124
    .vgpr_spill_count: 0
    .wavefront_size: 32
    .workgroup_processor_mode: 1
  - .args:
      - .offset:         0
        .size:           4
        .value_kind:     by_value
      - .offset:         4
        .size:           4
        .value_kind:     by_value
      - .address_space:  global
        .offset:         8
        .size:           8
        .value_kind:     global_buffer
      - .offset:         16
        .size:           4
        .value_kind:     by_value
      - .offset:         20
        .size:           4
        .value_kind:     by_value
      - .offset:         24
        .size:           8
        .value_kind:     by_value
    .group_segment_fixed_size: 640
    .kernarg_segment_align: 8
    .kernarg_segment_size: 32
    .language:       OpenCL C
    .language_version:
      - 2
      - 0
    .max_flat_workgroup_size: 64
    .name:           _ZN9rocsolver6v33100L18trti2_kernel_smallILi40EdPdEEv13rocblas_fill_17rocblas_diagonal_T1_iil
    .private_segment_fixed_size: 336
    .sgpr_count:     19
    .sgpr_spill_count: 0
    .symbol:         _ZN9rocsolver6v33100L18trti2_kernel_smallILi40EdPdEEv13rocblas_fill_17rocblas_diagonal_T1_iil.kd
    .uniform_work_group_size: 1
    .uses_dynamic_stack: false
    .vgpr_count:     126
    .vgpr_spill_count: 0
    .wavefront_size: 32
    .workgroup_processor_mode: 1
  - .args:
      - .offset:         0
        .size:           4
        .value_kind:     by_value
      - .offset:         4
        .size:           4
        .value_kind:     by_value
      - .address_space:  global
        .offset:         8
        .size:           8
        .value_kind:     global_buffer
      - .offset:         16
        .size:           4
        .value_kind:     by_value
      - .offset:         20
        .size:           4
        .value_kind:     by_value
      - .offset:         24
        .size:           8
        .value_kind:     by_value
    .group_segment_fixed_size: 664
    .kernarg_segment_align: 8
    .kernarg_segment_size: 32
    .language:       OpenCL C
    .language_version:
      - 2
      - 0
    .max_flat_workgroup_size: 64
    .name:           _ZN9rocsolver6v33100L18trti2_kernel_smallILi41EdPdEEv13rocblas_fill_17rocblas_diagonal_T1_iil
    .private_segment_fixed_size: 336
    .sgpr_count:     20
    .sgpr_spill_count: 0
    .symbol:         _ZN9rocsolver6v33100L18trti2_kernel_smallILi41EdPdEEv13rocblas_fill_17rocblas_diagonal_T1_iil.kd
    .uniform_work_group_size: 1
    .uses_dynamic_stack: false
    .vgpr_count:     119
    .vgpr_spill_count: 0
    .wavefront_size: 32
    .workgroup_processor_mode: 1
  - .args:
      - .offset:         0
        .size:           4
        .value_kind:     by_value
      - .offset:         4
        .size:           4
        .value_kind:     by_value
      - .address_space:  global
        .offset:         8
        .size:           8
        .value_kind:     global_buffer
      - .offset:         16
        .size:           4
        .value_kind:     by_value
      - .offset:         20
        .size:           4
        .value_kind:     by_value
      - .offset:         24
        .size:           8
        .value_kind:     by_value
    .group_segment_fixed_size: 672
    .kernarg_segment_align: 8
    .kernarg_segment_size: 32
    .language:       OpenCL C
    .language_version:
      - 2
      - 0
    .max_flat_workgroup_size: 64
    .name:           _ZN9rocsolver6v33100L18trti2_kernel_smallILi42EdPdEEv13rocblas_fill_17rocblas_diagonal_T1_iil
    .private_segment_fixed_size: 352
    .sgpr_count:     20
    .sgpr_spill_count: 0
    .symbol:         _ZN9rocsolver6v33100L18trti2_kernel_smallILi42EdPdEEv13rocblas_fill_17rocblas_diagonal_T1_iil.kd
    .uniform_work_group_size: 1
    .uses_dynamic_stack: false
    .vgpr_count:     138
    .vgpr_spill_count: 0
    .wavefront_size: 32
    .workgroup_processor_mode: 1
  - .args:
      - .offset:         0
        .size:           4
        .value_kind:     by_value
      - .offset:         4
        .size:           4
        .value_kind:     by_value
      - .address_space:  global
        .offset:         8
        .size:           8
        .value_kind:     global_buffer
      - .offset:         16
        .size:           4
        .value_kind:     by_value
      - .offset:         20
        .size:           4
        .value_kind:     by_value
      - .offset:         24
        .size:           8
        .value_kind:     by_value
    .group_segment_fixed_size: 696
    .kernarg_segment_align: 8
    .kernarg_segment_size: 32
    .language:       OpenCL C
    .language_version:
      - 2
      - 0
    .max_flat_workgroup_size: 64
    .name:           _ZN9rocsolver6v33100L18trti2_kernel_smallILi43EdPdEEv13rocblas_fill_17rocblas_diagonal_T1_iil
    .private_segment_fixed_size: 352
    .sgpr_count:     21
    .sgpr_spill_count: 0
    .symbol:         _ZN9rocsolver6v33100L18trti2_kernel_smallILi43EdPdEEv13rocblas_fill_17rocblas_diagonal_T1_iil.kd
    .uniform_work_group_size: 1
    .uses_dynamic_stack: false
    .vgpr_count:     132
    .vgpr_spill_count: 0
    .wavefront_size: 32
    .workgroup_processor_mode: 1
  - .args:
      - .offset:         0
        .size:           4
        .value_kind:     by_value
      - .offset:         4
        .size:           4
        .value_kind:     by_value
      - .address_space:  global
        .offset:         8
        .size:           8
        .value_kind:     global_buffer
      - .offset:         16
        .size:           4
        .value_kind:     by_value
      - .offset:         20
        .size:           4
        .value_kind:     by_value
      - .offset:         24
        .size:           8
        .value_kind:     by_value
    .group_segment_fixed_size: 704
    .kernarg_segment_align: 8
    .kernarg_segment_size: 32
    .language:       OpenCL C
    .language_version:
      - 2
      - 0
    .max_flat_workgroup_size: 64
    .name:           _ZN9rocsolver6v33100L18trti2_kernel_smallILi44EdPdEEv13rocblas_fill_17rocblas_diagonal_T1_iil
    .private_segment_fixed_size: 368
    .sgpr_count:     21
    .sgpr_spill_count: 0
    .symbol:         _ZN9rocsolver6v33100L18trti2_kernel_smallILi44EdPdEEv13rocblas_fill_17rocblas_diagonal_T1_iil.kd
    .uniform_work_group_size: 1
    .uses_dynamic_stack: false
    .vgpr_count:     144
    .vgpr_spill_count: 0
    .wavefront_size: 32
    .workgroup_processor_mode: 1
  - .args:
      - .offset:         0
        .size:           4
        .value_kind:     by_value
      - .offset:         4
        .size:           4
        .value_kind:     by_value
      - .address_space:  global
        .offset:         8
        .size:           8
        .value_kind:     global_buffer
      - .offset:         16
        .size:           4
        .value_kind:     by_value
      - .offset:         20
        .size:           4
        .value_kind:     by_value
      - .offset:         24
        .size:           8
        .value_kind:     by_value
    .group_segment_fixed_size: 728
    .kernarg_segment_align: 8
    .kernarg_segment_size: 32
    .language:       OpenCL C
    .language_version:
      - 2
      - 0
    .max_flat_workgroup_size: 64
    .name:           _ZN9rocsolver6v33100L18trti2_kernel_smallILi45EdPdEEv13rocblas_fill_17rocblas_diagonal_T1_iil
    .private_segment_fixed_size: 368
    .sgpr_count:     22
    .sgpr_spill_count: 0
    .symbol:         _ZN9rocsolver6v33100L18trti2_kernel_smallILi45EdPdEEv13rocblas_fill_17rocblas_diagonal_T1_iil.kd
    .uniform_work_group_size: 1
    .uses_dynamic_stack: false
    .vgpr_count:     143
    .vgpr_spill_count: 0
    .wavefront_size: 32
    .workgroup_processor_mode: 1
  - .args:
      - .offset:         0
        .size:           4
        .value_kind:     by_value
      - .offset:         4
        .size:           4
        .value_kind:     by_value
      - .address_space:  global
        .offset:         8
        .size:           8
        .value_kind:     global_buffer
      - .offset:         16
        .size:           4
        .value_kind:     by_value
      - .offset:         20
        .size:           4
        .value_kind:     by_value
      - .offset:         24
        .size:           8
        .value_kind:     by_value
    .group_segment_fixed_size: 736
    .kernarg_segment_align: 8
    .kernarg_segment_size: 32
    .language:       OpenCL C
    .language_version:
      - 2
      - 0
    .max_flat_workgroup_size: 64
    .name:           _ZN9rocsolver6v33100L18trti2_kernel_smallILi46EdPdEEv13rocblas_fill_17rocblas_diagonal_T1_iil
    .private_segment_fixed_size: 384
    .sgpr_count:     22
    .sgpr_spill_count: 0
    .symbol:         _ZN9rocsolver6v33100L18trti2_kernel_smallILi46EdPdEEv13rocblas_fill_17rocblas_diagonal_T1_iil.kd
    .uniform_work_group_size: 1
    .uses_dynamic_stack: false
    .vgpr_count:     149
    .vgpr_spill_count: 0
    .wavefront_size: 32
    .workgroup_processor_mode: 1
  - .args:
      - .offset:         0
        .size:           4
        .value_kind:     by_value
      - .offset:         4
        .size:           4
        .value_kind:     by_value
      - .address_space:  global
        .offset:         8
        .size:           8
        .value_kind:     global_buffer
      - .offset:         16
        .size:           4
        .value_kind:     by_value
      - .offset:         20
        .size:           4
        .value_kind:     by_value
      - .offset:         24
        .size:           8
        .value_kind:     by_value
    .group_segment_fixed_size: 760
    .kernarg_segment_align: 8
    .kernarg_segment_size: 32
    .language:       OpenCL C
    .language_version:
      - 2
      - 0
    .max_flat_workgroup_size: 64
    .name:           _ZN9rocsolver6v33100L18trti2_kernel_smallILi47EdPdEEv13rocblas_fill_17rocblas_diagonal_T1_iil
    .private_segment_fixed_size: 384
    .sgpr_count:     23
    .sgpr_spill_count: 0
    .symbol:         _ZN9rocsolver6v33100L18trti2_kernel_smallILi47EdPdEEv13rocblas_fill_17rocblas_diagonal_T1_iil.kd
    .uniform_work_group_size: 1
    .uses_dynamic_stack: false
    .vgpr_count:     148
    .vgpr_spill_count: 0
    .wavefront_size: 32
    .workgroup_processor_mode: 1
  - .args:
      - .offset:         0
        .size:           4
        .value_kind:     by_value
      - .offset:         4
        .size:           4
        .value_kind:     by_value
      - .address_space:  global
        .offset:         8
        .size:           8
        .value_kind:     global_buffer
      - .offset:         16
        .size:           4
        .value_kind:     by_value
      - .offset:         20
        .size:           4
        .value_kind:     by_value
      - .offset:         24
        .size:           8
        .value_kind:     by_value
    .group_segment_fixed_size: 768
    .kernarg_segment_align: 8
    .kernarg_segment_size: 32
    .language:       OpenCL C
    .language_version:
      - 2
      - 0
    .max_flat_workgroup_size: 64
    .name:           _ZN9rocsolver6v33100L18trti2_kernel_smallILi48EdPdEEv13rocblas_fill_17rocblas_diagonal_T1_iil
    .private_segment_fixed_size: 400
    .sgpr_count:     23
    .sgpr_spill_count: 0
    .symbol:         _ZN9rocsolver6v33100L18trti2_kernel_smallILi48EdPdEEv13rocblas_fill_17rocblas_diagonal_T1_iil.kd
    .uniform_work_group_size: 1
    .uses_dynamic_stack: false
    .vgpr_count:     150
    .vgpr_spill_count: 0
    .wavefront_size: 32
    .workgroup_processor_mode: 1
  - .args:
      - .offset:         0
        .size:           4
        .value_kind:     by_value
      - .offset:         4
        .size:           4
        .value_kind:     by_value
      - .address_space:  global
        .offset:         8
        .size:           8
        .value_kind:     global_buffer
      - .offset:         16
        .size:           4
        .value_kind:     by_value
      - .offset:         20
        .size:           4
        .value_kind:     by_value
      - .offset:         24
        .size:           8
        .value_kind:     by_value
    .group_segment_fixed_size: 792
    .kernarg_segment_align: 8
    .kernarg_segment_size: 32
    .language:       OpenCL C
    .language_version:
      - 2
      - 0
    .max_flat_workgroup_size: 64
    .name:           _ZN9rocsolver6v33100L18trti2_kernel_smallILi49EdPdEEv13rocblas_fill_17rocblas_diagonal_T1_iil
    .private_segment_fixed_size: 400
    .sgpr_count:     24
    .sgpr_spill_count: 0
    .symbol:         _ZN9rocsolver6v33100L18trti2_kernel_smallILi49EdPdEEv13rocblas_fill_17rocblas_diagonal_T1_iil.kd
    .uniform_work_group_size: 1
    .uses_dynamic_stack: false
    .vgpr_count:     147
    .vgpr_spill_count: 0
    .wavefront_size: 32
    .workgroup_processor_mode: 1
  - .args:
      - .offset:         0
        .size:           4
        .value_kind:     by_value
      - .offset:         4
        .size:           4
        .value_kind:     by_value
      - .address_space:  global
        .offset:         8
        .size:           8
        .value_kind:     global_buffer
      - .offset:         16
        .size:           4
        .value_kind:     by_value
      - .offset:         20
        .size:           4
        .value_kind:     by_value
      - .offset:         24
        .size:           8
        .value_kind:     by_value
    .group_segment_fixed_size: 800
    .kernarg_segment_align: 8
    .kernarg_segment_size: 32
    .language:       OpenCL C
    .language_version:
      - 2
      - 0
    .max_flat_workgroup_size: 64
    .name:           _ZN9rocsolver6v33100L18trti2_kernel_smallILi50EdPdEEv13rocblas_fill_17rocblas_diagonal_T1_iil
    .private_segment_fixed_size: 416
    .sgpr_count:     24
    .sgpr_spill_count: 0
    .symbol:         _ZN9rocsolver6v33100L18trti2_kernel_smallILi50EdPdEEv13rocblas_fill_17rocblas_diagonal_T1_iil.kd
    .uniform_work_group_size: 1
    .uses_dynamic_stack: false
    .vgpr_count:     146
    .vgpr_spill_count: 0
    .wavefront_size: 32
    .workgroup_processor_mode: 1
  - .args:
      - .offset:         0
        .size:           4
        .value_kind:     by_value
      - .offset:         4
        .size:           4
        .value_kind:     by_value
      - .address_space:  global
        .offset:         8
        .size:           8
        .value_kind:     global_buffer
      - .offset:         16
        .size:           4
        .value_kind:     by_value
      - .offset:         20
        .size:           4
        .value_kind:     by_value
      - .offset:         24
        .size:           8
        .value_kind:     by_value
    .group_segment_fixed_size: 824
    .kernarg_segment_align: 8
    .kernarg_segment_size: 32
    .language:       OpenCL C
    .language_version:
      - 2
      - 0
    .max_flat_workgroup_size: 64
    .name:           _ZN9rocsolver6v33100L18trti2_kernel_smallILi51EdPdEEv13rocblas_fill_17rocblas_diagonal_T1_iil
    .private_segment_fixed_size: 416
    .sgpr_count:     25
    .sgpr_spill_count: 0
    .symbol:         _ZN9rocsolver6v33100L18trti2_kernel_smallILi51EdPdEEv13rocblas_fill_17rocblas_diagonal_T1_iil.kd
    .uniform_work_group_size: 1
    .uses_dynamic_stack: false
    .vgpr_count:     152
    .vgpr_spill_count: 0
    .wavefront_size: 32
    .workgroup_processor_mode: 1
  - .args:
      - .offset:         0
        .size:           4
        .value_kind:     by_value
      - .offset:         4
        .size:           4
        .value_kind:     by_value
      - .address_space:  global
        .offset:         8
        .size:           8
        .value_kind:     global_buffer
      - .offset:         16
        .size:           4
        .value_kind:     by_value
      - .offset:         20
        .size:           4
        .value_kind:     by_value
      - .offset:         24
        .size:           8
        .value_kind:     by_value
    .group_segment_fixed_size: 832
    .kernarg_segment_align: 8
    .kernarg_segment_size: 32
    .language:       OpenCL C
    .language_version:
      - 2
      - 0
    .max_flat_workgroup_size: 64
    .name:           _ZN9rocsolver6v33100L18trti2_kernel_smallILi52EdPdEEv13rocblas_fill_17rocblas_diagonal_T1_iil
    .private_segment_fixed_size: 432
    .sgpr_count:     25
    .sgpr_spill_count: 0
    .symbol:         _ZN9rocsolver6v33100L18trti2_kernel_smallILi52EdPdEEv13rocblas_fill_17rocblas_diagonal_T1_iil.kd
    .uniform_work_group_size: 1
    .uses_dynamic_stack: false
    .vgpr_count:     150
    .vgpr_spill_count: 0
    .wavefront_size: 32
    .workgroup_processor_mode: 1
  - .args:
      - .offset:         0
        .size:           4
        .value_kind:     by_value
      - .offset:         4
        .size:           4
        .value_kind:     by_value
      - .address_space:  global
        .offset:         8
        .size:           8
        .value_kind:     global_buffer
      - .offset:         16
        .size:           4
        .value_kind:     by_value
      - .offset:         20
        .size:           4
        .value_kind:     by_value
      - .offset:         24
        .size:           8
        .value_kind:     by_value
    .group_segment_fixed_size: 856
    .kernarg_segment_align: 8
    .kernarg_segment_size: 32
    .language:       OpenCL C
    .language_version:
      - 2
      - 0
    .max_flat_workgroup_size: 64
    .name:           _ZN9rocsolver6v33100L18trti2_kernel_smallILi53EdPdEEv13rocblas_fill_17rocblas_diagonal_T1_iil
    .private_segment_fixed_size: 432
    .sgpr_count:     26
    .sgpr_spill_count: 0
    .symbol:         _ZN9rocsolver6v33100L18trti2_kernel_smallILi53EdPdEEv13rocblas_fill_17rocblas_diagonal_T1_iil.kd
    .uniform_work_group_size: 1
    .uses_dynamic_stack: false
    .vgpr_count:     157
    .vgpr_spill_count: 0
    .wavefront_size: 32
    .workgroup_processor_mode: 1
  - .args:
      - .offset:         0
        .size:           4
        .value_kind:     by_value
      - .offset:         4
        .size:           4
        .value_kind:     by_value
      - .address_space:  global
        .offset:         8
        .size:           8
        .value_kind:     global_buffer
      - .offset:         16
        .size:           4
        .value_kind:     by_value
      - .offset:         20
        .size:           4
        .value_kind:     by_value
      - .offset:         24
        .size:           8
        .value_kind:     by_value
    .group_segment_fixed_size: 864
    .kernarg_segment_align: 8
    .kernarg_segment_size: 32
    .language:       OpenCL C
    .language_version:
      - 2
      - 0
    .max_flat_workgroup_size: 64
    .name:           _ZN9rocsolver6v33100L18trti2_kernel_smallILi54EdPdEEv13rocblas_fill_17rocblas_diagonal_T1_iil
    .private_segment_fixed_size: 448
    .sgpr_count:     26
    .sgpr_spill_count: 0
    .symbol:         _ZN9rocsolver6v33100L18trti2_kernel_smallILi54EdPdEEv13rocblas_fill_17rocblas_diagonal_T1_iil.kd
    .uniform_work_group_size: 1
    .uses_dynamic_stack: false
    .vgpr_count:     184
    .vgpr_spill_count: 0
    .wavefront_size: 32
    .workgroup_processor_mode: 1
  - .args:
      - .offset:         0
        .size:           4
        .value_kind:     by_value
      - .offset:         4
        .size:           4
        .value_kind:     by_value
      - .address_space:  global
        .offset:         8
        .size:           8
        .value_kind:     global_buffer
      - .offset:         16
        .size:           4
        .value_kind:     by_value
      - .offset:         20
        .size:           4
        .value_kind:     by_value
      - .offset:         24
        .size:           8
        .value_kind:     by_value
    .group_segment_fixed_size: 888
    .kernarg_segment_align: 8
    .kernarg_segment_size: 32
    .language:       OpenCL C
    .language_version:
      - 2
      - 0
    .max_flat_workgroup_size: 64
    .name:           _ZN9rocsolver6v33100L18trti2_kernel_smallILi55EdPdEEv13rocblas_fill_17rocblas_diagonal_T1_iil
    .private_segment_fixed_size: 448
    .sgpr_count:     27
    .sgpr_spill_count: 0
    .symbol:         _ZN9rocsolver6v33100L18trti2_kernel_smallILi55EdPdEEv13rocblas_fill_17rocblas_diagonal_T1_iil.kd
    .uniform_work_group_size: 1
    .uses_dynamic_stack: false
    .vgpr_count:     188
    .vgpr_spill_count: 0
    .wavefront_size: 32
    .workgroup_processor_mode: 1
  - .args:
      - .offset:         0
        .size:           4
        .value_kind:     by_value
      - .offset:         4
        .size:           4
        .value_kind:     by_value
      - .address_space:  global
        .offset:         8
        .size:           8
        .value_kind:     global_buffer
      - .offset:         16
        .size:           4
        .value_kind:     by_value
      - .offset:         20
        .size:           4
        .value_kind:     by_value
      - .offset:         24
        .size:           8
        .value_kind:     by_value
    .group_segment_fixed_size: 896
    .kernarg_segment_align: 8
    .kernarg_segment_size: 32
    .language:       OpenCL C
    .language_version:
      - 2
      - 0
    .max_flat_workgroup_size: 64
    .name:           _ZN9rocsolver6v33100L18trti2_kernel_smallILi56EdPdEEv13rocblas_fill_17rocblas_diagonal_T1_iil
    .private_segment_fixed_size: 464
    .sgpr_count:     27
    .sgpr_spill_count: 0
    .symbol:         _ZN9rocsolver6v33100L18trti2_kernel_smallILi56EdPdEEv13rocblas_fill_17rocblas_diagonal_T1_iil.kd
    .uniform_work_group_size: 1
    .uses_dynamic_stack: false
    .vgpr_count:     190
    .vgpr_spill_count: 0
    .wavefront_size: 32
    .workgroup_processor_mode: 1
  - .args:
      - .offset:         0
        .size:           4
        .value_kind:     by_value
      - .offset:         4
        .size:           4
        .value_kind:     by_value
      - .address_space:  global
        .offset:         8
        .size:           8
        .value_kind:     global_buffer
      - .offset:         16
        .size:           4
        .value_kind:     by_value
      - .offset:         20
        .size:           4
        .value_kind:     by_value
      - .offset:         24
        .size:           8
        .value_kind:     by_value
    .group_segment_fixed_size: 920
    .kernarg_segment_align: 8
    .kernarg_segment_size: 32
    .language:       OpenCL C
    .language_version:
      - 2
      - 0
    .max_flat_workgroup_size: 64
    .name:           _ZN9rocsolver6v33100L18trti2_kernel_smallILi57EdPdEEv13rocblas_fill_17rocblas_diagonal_T1_iil
    .private_segment_fixed_size: 464
    .sgpr_count:     28
    .sgpr_spill_count: 0
    .symbol:         _ZN9rocsolver6v33100L18trti2_kernel_smallILi57EdPdEEv13rocblas_fill_17rocblas_diagonal_T1_iil.kd
    .uniform_work_group_size: 1
    .uses_dynamic_stack: false
    .vgpr_count:     169
    .vgpr_spill_count: 0
    .wavefront_size: 32
    .workgroup_processor_mode: 1
  - .args:
      - .offset:         0
        .size:           4
        .value_kind:     by_value
      - .offset:         4
        .size:           4
        .value_kind:     by_value
      - .address_space:  global
        .offset:         8
        .size:           8
        .value_kind:     global_buffer
      - .offset:         16
        .size:           4
        .value_kind:     by_value
      - .offset:         20
        .size:           4
        .value_kind:     by_value
      - .offset:         24
        .size:           8
        .value_kind:     by_value
    .group_segment_fixed_size: 928
    .kernarg_segment_align: 8
    .kernarg_segment_size: 32
    .language:       OpenCL C
    .language_version:
      - 2
      - 0
    .max_flat_workgroup_size: 64
    .name:           _ZN9rocsolver6v33100L18trti2_kernel_smallILi58EdPdEEv13rocblas_fill_17rocblas_diagonal_T1_iil
    .private_segment_fixed_size: 480
    .sgpr_count:     28
    .sgpr_spill_count: 0
    .symbol:         _ZN9rocsolver6v33100L18trti2_kernel_smallILi58EdPdEEv13rocblas_fill_17rocblas_diagonal_T1_iil.kd
    .uniform_work_group_size: 1
    .uses_dynamic_stack: false
    .vgpr_count:     170
    .vgpr_spill_count: 0
    .wavefront_size: 32
    .workgroup_processor_mode: 1
  - .args:
      - .offset:         0
        .size:           4
        .value_kind:     by_value
      - .offset:         4
        .size:           4
        .value_kind:     by_value
      - .address_space:  global
        .offset:         8
        .size:           8
        .value_kind:     global_buffer
      - .offset:         16
        .size:           4
        .value_kind:     by_value
      - .offset:         20
        .size:           4
        .value_kind:     by_value
      - .offset:         24
        .size:           8
        .value_kind:     by_value
    .group_segment_fixed_size: 952
    .kernarg_segment_align: 8
    .kernarg_segment_size: 32
    .language:       OpenCL C
    .language_version:
      - 2
      - 0
    .max_flat_workgroup_size: 64
    .name:           _ZN9rocsolver6v33100L18trti2_kernel_smallILi59EdPdEEv13rocblas_fill_17rocblas_diagonal_T1_iil
    .private_segment_fixed_size: 480
    .sgpr_count:     29
    .sgpr_spill_count: 0
    .symbol:         _ZN9rocsolver6v33100L18trti2_kernel_smallILi59EdPdEEv13rocblas_fill_17rocblas_diagonal_T1_iil.kd
    .uniform_work_group_size: 1
    .uses_dynamic_stack: false
    .vgpr_count:     175
    .vgpr_spill_count: 0
    .wavefront_size: 32
    .workgroup_processor_mode: 1
  - .args:
      - .offset:         0
        .size:           4
        .value_kind:     by_value
      - .offset:         4
        .size:           4
        .value_kind:     by_value
      - .address_space:  global
        .offset:         8
        .size:           8
        .value_kind:     global_buffer
      - .offset:         16
        .size:           4
        .value_kind:     by_value
      - .offset:         20
        .size:           4
        .value_kind:     by_value
      - .offset:         24
        .size:           8
        .value_kind:     by_value
    .group_segment_fixed_size: 960
    .kernarg_segment_align: 8
    .kernarg_segment_size: 32
    .language:       OpenCL C
    .language_version:
      - 2
      - 0
    .max_flat_workgroup_size: 64
    .name:           _ZN9rocsolver6v33100L18trti2_kernel_smallILi60EdPdEEv13rocblas_fill_17rocblas_diagonal_T1_iil
    .private_segment_fixed_size: 496
    .sgpr_count:     29
    .sgpr_spill_count: 0
    .symbol:         _ZN9rocsolver6v33100L18trti2_kernel_smallILi60EdPdEEv13rocblas_fill_17rocblas_diagonal_T1_iil.kd
    .uniform_work_group_size: 1
    .uses_dynamic_stack: false
    .vgpr_count:     174
    .vgpr_spill_count: 0
    .wavefront_size: 32
    .workgroup_processor_mode: 1
  - .args:
      - .offset:         0
        .size:           4
        .value_kind:     by_value
      - .offset:         4
        .size:           4
        .value_kind:     by_value
      - .address_space:  global
        .offset:         8
        .size:           8
        .value_kind:     global_buffer
      - .offset:         16
        .size:           4
        .value_kind:     by_value
      - .offset:         20
        .size:           4
        .value_kind:     by_value
      - .offset:         24
        .size:           8
        .value_kind:     by_value
    .group_segment_fixed_size: 984
    .kernarg_segment_align: 8
    .kernarg_segment_size: 32
    .language:       OpenCL C
    .language_version:
      - 2
      - 0
    .max_flat_workgroup_size: 64
    .name:           _ZN9rocsolver6v33100L18trti2_kernel_smallILi61EdPdEEv13rocblas_fill_17rocblas_diagonal_T1_iil
    .private_segment_fixed_size: 496
    .sgpr_count:     30
    .sgpr_spill_count: 0
    .symbol:         _ZN9rocsolver6v33100L18trti2_kernel_smallILi61EdPdEEv13rocblas_fill_17rocblas_diagonal_T1_iil.kd
    .uniform_work_group_size: 1
    .uses_dynamic_stack: false
    .vgpr_count:     169
    .vgpr_spill_count: 0
    .wavefront_size: 32
    .workgroup_processor_mode: 1
  - .args:
      - .offset:         0
        .size:           4
        .value_kind:     by_value
      - .offset:         4
        .size:           4
        .value_kind:     by_value
      - .address_space:  global
        .offset:         8
        .size:           8
        .value_kind:     global_buffer
      - .offset:         16
        .size:           4
        .value_kind:     by_value
      - .offset:         20
        .size:           4
        .value_kind:     by_value
      - .offset:         24
        .size:           8
        .value_kind:     by_value
    .group_segment_fixed_size: 992
    .kernarg_segment_align: 8
    .kernarg_segment_size: 32
    .language:       OpenCL C
    .language_version:
      - 2
      - 0
    .max_flat_workgroup_size: 64
    .name:           _ZN9rocsolver6v33100L18trti2_kernel_smallILi62EdPdEEv13rocblas_fill_17rocblas_diagonal_T1_iil
    .private_segment_fixed_size: 512
    .sgpr_count:     30
    .sgpr_spill_count: 0
    .symbol:         _ZN9rocsolver6v33100L18trti2_kernel_smallILi62EdPdEEv13rocblas_fill_17rocblas_diagonal_T1_iil.kd
    .uniform_work_group_size: 1
    .uses_dynamic_stack: false
    .vgpr_count:     178
    .vgpr_spill_count: 0
    .wavefront_size: 32
    .workgroup_processor_mode: 1
  - .args:
      - .offset:         0
        .size:           4
        .value_kind:     by_value
      - .offset:         4
        .size:           4
        .value_kind:     by_value
      - .address_space:  global
        .offset:         8
        .size:           8
        .value_kind:     global_buffer
      - .offset:         16
        .size:           4
        .value_kind:     by_value
      - .offset:         20
        .size:           4
        .value_kind:     by_value
      - .offset:         24
        .size:           8
        .value_kind:     by_value
    .group_segment_fixed_size: 1016
    .kernarg_segment_align: 8
    .kernarg_segment_size: 32
    .language:       OpenCL C
    .language_version:
      - 2
      - 0
    .max_flat_workgroup_size: 64
    .name:           _ZN9rocsolver6v33100L18trti2_kernel_smallILi63EdPdEEv13rocblas_fill_17rocblas_diagonal_T1_iil
    .private_segment_fixed_size: 512
    .sgpr_count:     31
    .sgpr_spill_count: 0
    .symbol:         _ZN9rocsolver6v33100L18trti2_kernel_smallILi63EdPdEEv13rocblas_fill_17rocblas_diagonal_T1_iil.kd
    .uniform_work_group_size: 1
    .uses_dynamic_stack: false
    .vgpr_count:     180
    .vgpr_spill_count: 0
    .wavefront_size: 32
    .workgroup_processor_mode: 1
  - .args:
      - .offset:         0
        .size:           4
        .value_kind:     by_value
      - .offset:         4
        .size:           4
        .value_kind:     by_value
      - .address_space:  global
        .offset:         8
        .size:           8
        .value_kind:     global_buffer
      - .offset:         16
        .size:           4
        .value_kind:     by_value
      - .offset:         20
        .size:           4
        .value_kind:     by_value
      - .offset:         24
        .size:           8
        .value_kind:     by_value
    .group_segment_fixed_size: 1024
    .kernarg_segment_align: 8
    .kernarg_segment_size: 32
    .language:       OpenCL C
    .language_version:
      - 2
      - 0
    .max_flat_workgroup_size: 64
    .name:           _ZN9rocsolver6v33100L18trti2_kernel_smallILi64EdPdEEv13rocblas_fill_17rocblas_diagonal_T1_iil
    .private_segment_fixed_size: 528
    .sgpr_count:     31
    .sgpr_spill_count: 0
    .symbol:         _ZN9rocsolver6v33100L18trti2_kernel_smallILi64EdPdEEv13rocblas_fill_17rocblas_diagonal_T1_iil.kd
    .uniform_work_group_size: 1
    .uses_dynamic_stack: false
    .vgpr_count:     197
    .vgpr_spill_count: 0
    .wavefront_size: 32
    .workgroup_processor_mode: 1
  - .args:
      - .offset:         0
        .size:           4
        .value_kind:     by_value
      - .offset:         4
        .size:           4
        .value_kind:     by_value
      - .address_space:  global
        .offset:         8
        .size:           8
        .value_kind:     global_buffer
      - .offset:         16
        .size:           4
        .value_kind:     by_value
      - .offset:         20
        .size:           4
        .value_kind:     by_value
      - .offset:         24
        .size:           8
        .value_kind:     by_value
    .group_segment_fixed_size: 0
    .kernarg_segment_align: 8
    .kernarg_segment_size: 32
    .language:       OpenCL C
    .language_version:
      - 2
      - 0
    .max_flat_workgroup_size: 64
    .name:           _ZN9rocsolver6v33100L18trti2_kernel_smallILi1EdPKPdEEv13rocblas_fill_17rocblas_diagonal_T1_iil
    .private_segment_fixed_size: 0
    .sgpr_count:     18
    .sgpr_spill_count: 0
    .symbol:         _ZN9rocsolver6v33100L18trti2_kernel_smallILi1EdPKPdEEv13rocblas_fill_17rocblas_diagonal_T1_iil.kd
    .uniform_work_group_size: 1
    .uses_dynamic_stack: false
    .vgpr_count:     8
    .vgpr_spill_count: 0
    .wavefront_size: 32
    .workgroup_processor_mode: 1
  - .args:
      - .offset:         0
        .size:           4
        .value_kind:     by_value
      - .offset:         4
        .size:           4
        .value_kind:     by_value
      - .address_space:  global
        .offset:         8
        .size:           8
        .value_kind:     global_buffer
      - .offset:         16
        .size:           4
        .value_kind:     by_value
      - .offset:         20
        .size:           4
        .value_kind:     by_value
      - .offset:         24
        .size:           8
        .value_kind:     by_value
    .group_segment_fixed_size: 32
    .kernarg_segment_align: 8
    .kernarg_segment_size: 32
    .language:       OpenCL C
    .language_version:
      - 2
      - 0
    .max_flat_workgroup_size: 64
    .name:           _ZN9rocsolver6v33100L18trti2_kernel_smallILi2EdPKPdEEv13rocblas_fill_17rocblas_diagonal_T1_iil
    .private_segment_fixed_size: 0
    .sgpr_count:     18
    .sgpr_spill_count: 0
    .symbol:         _ZN9rocsolver6v33100L18trti2_kernel_smallILi2EdPKPdEEv13rocblas_fill_17rocblas_diagonal_T1_iil.kd
    .uniform_work_group_size: 1
    .uses_dynamic_stack: false
    .vgpr_count:     21
    .vgpr_spill_count: 0
    .wavefront_size: 32
    .workgroup_processor_mode: 1
  - .args:
      - .offset:         0
        .size:           4
        .value_kind:     by_value
      - .offset:         4
        .size:           4
        .value_kind:     by_value
      - .address_space:  global
        .offset:         8
        .size:           8
        .value_kind:     global_buffer
      - .offset:         16
        .size:           4
        .value_kind:     by_value
      - .offset:         20
        .size:           4
        .value_kind:     by_value
      - .offset:         24
        .size:           8
        .value_kind:     by_value
    .group_segment_fixed_size: 56
    .kernarg_segment_align: 8
    .kernarg_segment_size: 32
    .language:       OpenCL C
    .language_version:
      - 2
      - 0
    .max_flat_workgroup_size: 64
    .name:           _ZN9rocsolver6v33100L18trti2_kernel_smallILi3EdPKPdEEv13rocblas_fill_17rocblas_diagonal_T1_iil
    .private_segment_fixed_size: 0
    .sgpr_count:     18
    .sgpr_spill_count: 0
    .symbol:         _ZN9rocsolver6v33100L18trti2_kernel_smallILi3EdPKPdEEv13rocblas_fill_17rocblas_diagonal_T1_iil.kd
    .uniform_work_group_size: 1
    .uses_dynamic_stack: false
    .vgpr_count:     25
    .vgpr_spill_count: 0
    .wavefront_size: 32
    .workgroup_processor_mode: 1
  - .args:
      - .offset:         0
        .size:           4
        .value_kind:     by_value
      - .offset:         4
        .size:           4
        .value_kind:     by_value
      - .address_space:  global
        .offset:         8
        .size:           8
        .value_kind:     global_buffer
      - .offset:         16
        .size:           4
        .value_kind:     by_value
      - .offset:         20
        .size:           4
        .value_kind:     by_value
      - .offset:         24
        .size:           8
        .value_kind:     by_value
    .group_segment_fixed_size: 64
    .kernarg_segment_align: 8
    .kernarg_segment_size: 32
    .language:       OpenCL C
    .language_version:
      - 2
      - 0
    .max_flat_workgroup_size: 64
    .name:           _ZN9rocsolver6v33100L18trti2_kernel_smallILi4EdPKPdEEv13rocblas_fill_17rocblas_diagonal_T1_iil
    .private_segment_fixed_size: 0
    .sgpr_count:     18
    .sgpr_spill_count: 0
    .symbol:         _ZN9rocsolver6v33100L18trti2_kernel_smallILi4EdPKPdEEv13rocblas_fill_17rocblas_diagonal_T1_iil.kd
    .uniform_work_group_size: 1
    .uses_dynamic_stack: false
    .vgpr_count:     41
    .vgpr_spill_count: 0
    .wavefront_size: 32
    .workgroup_processor_mode: 1
  - .args:
      - .offset:         0
        .size:           4
        .value_kind:     by_value
      - .offset:         4
        .size:           4
        .value_kind:     by_value
      - .address_space:  global
        .offset:         8
        .size:           8
        .value_kind:     global_buffer
      - .offset:         16
        .size:           4
        .value_kind:     by_value
      - .offset:         20
        .size:           4
        .value_kind:     by_value
      - .offset:         24
        .size:           8
        .value_kind:     by_value
    .group_segment_fixed_size: 88
    .kernarg_segment_align: 8
    .kernarg_segment_size: 32
    .language:       OpenCL C
    .language_version:
      - 2
      - 0
    .max_flat_workgroup_size: 64
    .name:           _ZN9rocsolver6v33100L18trti2_kernel_smallILi5EdPKPdEEv13rocblas_fill_17rocblas_diagonal_T1_iil
    .private_segment_fixed_size: 0
    .sgpr_count:     18
    .sgpr_spill_count: 0
    .symbol:         _ZN9rocsolver6v33100L18trti2_kernel_smallILi5EdPKPdEEv13rocblas_fill_17rocblas_diagonal_T1_iil.kd
    .uniform_work_group_size: 1
    .uses_dynamic_stack: false
    .vgpr_count:     54
    .vgpr_spill_count: 0
    .wavefront_size: 32
    .workgroup_processor_mode: 1
  - .args:
      - .offset:         0
        .size:           4
        .value_kind:     by_value
      - .offset:         4
        .size:           4
        .value_kind:     by_value
      - .address_space:  global
        .offset:         8
        .size:           8
        .value_kind:     global_buffer
      - .offset:         16
        .size:           4
        .value_kind:     by_value
      - .offset:         20
        .size:           4
        .value_kind:     by_value
      - .offset:         24
        .size:           8
        .value_kind:     by_value
    .group_segment_fixed_size: 96
    .kernarg_segment_align: 8
    .kernarg_segment_size: 32
    .language:       OpenCL C
    .language_version:
      - 2
      - 0
    .max_flat_workgroup_size: 64
    .name:           _ZN9rocsolver6v33100L18trti2_kernel_smallILi6EdPKPdEEv13rocblas_fill_17rocblas_diagonal_T1_iil
    .private_segment_fixed_size: 0
    .sgpr_count:     18
    .sgpr_spill_count: 0
    .symbol:         _ZN9rocsolver6v33100L18trti2_kernel_smallILi6EdPKPdEEv13rocblas_fill_17rocblas_diagonal_T1_iil.kd
    .uniform_work_group_size: 1
    .uses_dynamic_stack: false
    .vgpr_count:     62
    .vgpr_spill_count: 0
    .wavefront_size: 32
    .workgroup_processor_mode: 1
  - .args:
      - .offset:         0
        .size:           4
        .value_kind:     by_value
      - .offset:         4
        .size:           4
        .value_kind:     by_value
      - .address_space:  global
        .offset:         8
        .size:           8
        .value_kind:     global_buffer
      - .offset:         16
        .size:           4
        .value_kind:     by_value
      - .offset:         20
        .size:           4
        .value_kind:     by_value
      - .offset:         24
        .size:           8
        .value_kind:     by_value
    .group_segment_fixed_size: 120
    .kernarg_segment_align: 8
    .kernarg_segment_size: 32
    .language:       OpenCL C
    .language_version:
      - 2
      - 0
    .max_flat_workgroup_size: 64
    .name:           _ZN9rocsolver6v33100L18trti2_kernel_smallILi7EdPKPdEEv13rocblas_fill_17rocblas_diagonal_T1_iil
    .private_segment_fixed_size: 0
    .sgpr_count:     18
    .sgpr_spill_count: 0
    .symbol:         _ZN9rocsolver6v33100L18trti2_kernel_smallILi7EdPKPdEEv13rocblas_fill_17rocblas_diagonal_T1_iil.kd
    .uniform_work_group_size: 1
    .uses_dynamic_stack: false
    .vgpr_count:     64
    .vgpr_spill_count: 0
    .wavefront_size: 32
    .workgroup_processor_mode: 1
  - .args:
      - .offset:         0
        .size:           4
        .value_kind:     by_value
      - .offset:         4
        .size:           4
        .value_kind:     by_value
      - .address_space:  global
        .offset:         8
        .size:           8
        .value_kind:     global_buffer
      - .offset:         16
        .size:           4
        .value_kind:     by_value
      - .offset:         20
        .size:           4
        .value_kind:     by_value
      - .offset:         24
        .size:           8
        .value_kind:     by_value
    .group_segment_fixed_size: 128
    .kernarg_segment_align: 8
    .kernarg_segment_size: 32
    .language:       OpenCL C
    .language_version:
      - 2
      - 0
    .max_flat_workgroup_size: 64
    .name:           _ZN9rocsolver6v33100L18trti2_kernel_smallILi8EdPKPdEEv13rocblas_fill_17rocblas_diagonal_T1_iil
    .private_segment_fixed_size: 0
    .sgpr_count:     18
    .sgpr_spill_count: 0
    .symbol:         _ZN9rocsolver6v33100L18trti2_kernel_smallILi8EdPKPdEEv13rocblas_fill_17rocblas_diagonal_T1_iil.kd
    .uniform_work_group_size: 1
    .uses_dynamic_stack: false
    .vgpr_count:     66
    .vgpr_spill_count: 0
    .wavefront_size: 32
    .workgroup_processor_mode: 1
  - .args:
      - .offset:         0
        .size:           4
        .value_kind:     by_value
      - .offset:         4
        .size:           4
        .value_kind:     by_value
      - .address_space:  global
        .offset:         8
        .size:           8
        .value_kind:     global_buffer
      - .offset:         16
        .size:           4
        .value_kind:     by_value
      - .offset:         20
        .size:           4
        .value_kind:     by_value
      - .offset:         24
        .size:           8
        .value_kind:     by_value
    .group_segment_fixed_size: 152
    .kernarg_segment_align: 8
    .kernarg_segment_size: 32
    .language:       OpenCL C
    .language_version:
      - 2
      - 0
    .max_flat_workgroup_size: 64
    .name:           _ZN9rocsolver6v33100L18trti2_kernel_smallILi9EdPKPdEEv13rocblas_fill_17rocblas_diagonal_T1_iil
    .private_segment_fixed_size: 0
    .sgpr_count:     18
    .sgpr_spill_count: 0
    .symbol:         _ZN9rocsolver6v33100L18trti2_kernel_smallILi9EdPKPdEEv13rocblas_fill_17rocblas_diagonal_T1_iil.kd
    .uniform_work_group_size: 1
    .uses_dynamic_stack: false
    .vgpr_count:     100
    .vgpr_spill_count: 0
    .wavefront_size: 32
    .workgroup_processor_mode: 1
  - .args:
      - .offset:         0
        .size:           4
        .value_kind:     by_value
      - .offset:         4
        .size:           4
        .value_kind:     by_value
      - .address_space:  global
        .offset:         8
        .size:           8
        .value_kind:     global_buffer
      - .offset:         16
        .size:           4
        .value_kind:     by_value
      - .offset:         20
        .size:           4
        .value_kind:     by_value
      - .offset:         24
        .size:           8
        .value_kind:     by_value
    .group_segment_fixed_size: 160
    .kernarg_segment_align: 8
    .kernarg_segment_size: 32
    .language:       OpenCL C
    .language_version:
      - 2
      - 0
    .max_flat_workgroup_size: 64
    .name:           _ZN9rocsolver6v33100L18trti2_kernel_smallILi10EdPKPdEEv13rocblas_fill_17rocblas_diagonal_T1_iil
    .private_segment_fixed_size: 0
    .sgpr_count:     18
    .sgpr_spill_count: 0
    .symbol:         _ZN9rocsolver6v33100L18trti2_kernel_smallILi10EdPKPdEEv13rocblas_fill_17rocblas_diagonal_T1_iil.kd
    .uniform_work_group_size: 1
    .uses_dynamic_stack: false
    .vgpr_count:     102
    .vgpr_spill_count: 0
    .wavefront_size: 32
    .workgroup_processor_mode: 1
  - .args:
      - .offset:         0
        .size:           4
        .value_kind:     by_value
      - .offset:         4
        .size:           4
        .value_kind:     by_value
      - .address_space:  global
        .offset:         8
        .size:           8
        .value_kind:     global_buffer
      - .offset:         16
        .size:           4
        .value_kind:     by_value
      - .offset:         20
        .size:           4
        .value_kind:     by_value
      - .offset:         24
        .size:           8
        .value_kind:     by_value
    .group_segment_fixed_size: 184
    .kernarg_segment_align: 8
    .kernarg_segment_size: 32
    .language:       OpenCL C
    .language_version:
      - 2
      - 0
    .max_flat_workgroup_size: 64
    .name:           _ZN9rocsolver6v33100L18trti2_kernel_smallILi11EdPKPdEEv13rocblas_fill_17rocblas_diagonal_T1_iil
    .private_segment_fixed_size: 0
    .sgpr_count:     18
    .sgpr_spill_count: 0
    .symbol:         _ZN9rocsolver6v33100L18trti2_kernel_smallILi11EdPKPdEEv13rocblas_fill_17rocblas_diagonal_T1_iil.kd
    .uniform_work_group_size: 1
    .uses_dynamic_stack: false
    .vgpr_count:     104
    .vgpr_spill_count: 0
    .wavefront_size: 32
    .workgroup_processor_mode: 1
  - .args:
      - .offset:         0
        .size:           4
        .value_kind:     by_value
      - .offset:         4
        .size:           4
        .value_kind:     by_value
      - .address_space:  global
        .offset:         8
        .size:           8
        .value_kind:     global_buffer
      - .offset:         16
        .size:           4
        .value_kind:     by_value
      - .offset:         20
        .size:           4
        .value_kind:     by_value
      - .offset:         24
        .size:           8
        .value_kind:     by_value
    .group_segment_fixed_size: 192
    .kernarg_segment_align: 8
    .kernarg_segment_size: 32
    .language:       OpenCL C
    .language_version:
      - 2
      - 0
    .max_flat_workgroup_size: 64
    .name:           _ZN9rocsolver6v33100L18trti2_kernel_smallILi12EdPKPdEEv13rocblas_fill_17rocblas_diagonal_T1_iil
    .private_segment_fixed_size: 0
    .sgpr_count:     18
    .sgpr_spill_count: 0
    .symbol:         _ZN9rocsolver6v33100L18trti2_kernel_smallILi12EdPKPdEEv13rocblas_fill_17rocblas_diagonal_T1_iil.kd
    .uniform_work_group_size: 1
    .uses_dynamic_stack: false
    .vgpr_count:     106
    .vgpr_spill_count: 0
    .wavefront_size: 32
    .workgroup_processor_mode: 1
  - .args:
      - .offset:         0
        .size:           4
        .value_kind:     by_value
      - .offset:         4
        .size:           4
        .value_kind:     by_value
      - .address_space:  global
        .offset:         8
        .size:           8
        .value_kind:     global_buffer
      - .offset:         16
        .size:           4
        .value_kind:     by_value
      - .offset:         20
        .size:           4
        .value_kind:     by_value
      - .offset:         24
        .size:           8
        .value_kind:     by_value
    .group_segment_fixed_size: 216
    .kernarg_segment_align: 8
    .kernarg_segment_size: 32
    .language:       OpenCL C
    .language_version:
      - 2
      - 0
    .max_flat_workgroup_size: 64
    .name:           _ZN9rocsolver6v33100L18trti2_kernel_smallILi13EdPKPdEEv13rocblas_fill_17rocblas_diagonal_T1_iil
    .private_segment_fixed_size: 0
    .sgpr_count:     22
    .sgpr_spill_count: 0
    .symbol:         _ZN9rocsolver6v33100L18trti2_kernel_smallILi13EdPKPdEEv13rocblas_fill_17rocblas_diagonal_T1_iil.kd
    .uniform_work_group_size: 1
    .uses_dynamic_stack: false
    .vgpr_count:     108
    .vgpr_spill_count: 0
    .wavefront_size: 32
    .workgroup_processor_mode: 1
  - .args:
      - .offset:         0
        .size:           4
        .value_kind:     by_value
      - .offset:         4
        .size:           4
        .value_kind:     by_value
      - .address_space:  global
        .offset:         8
        .size:           8
        .value_kind:     global_buffer
      - .offset:         16
        .size:           4
        .value_kind:     by_value
      - .offset:         20
        .size:           4
        .value_kind:     by_value
      - .offset:         24
        .size:           8
        .value_kind:     by_value
    .group_segment_fixed_size: 224
    .kernarg_segment_align: 8
    .kernarg_segment_size: 32
    .language:       OpenCL C
    .language_version:
      - 2
      - 0
    .max_flat_workgroup_size: 64
    .name:           _ZN9rocsolver6v33100L18trti2_kernel_smallILi14EdPKPdEEv13rocblas_fill_17rocblas_diagonal_T1_iil
    .private_segment_fixed_size: 0
    .sgpr_count:     22
    .sgpr_spill_count: 0
    .symbol:         _ZN9rocsolver6v33100L18trti2_kernel_smallILi14EdPKPdEEv13rocblas_fill_17rocblas_diagonal_T1_iil.kd
    .uniform_work_group_size: 1
    .uses_dynamic_stack: false
    .vgpr_count:     110
    .vgpr_spill_count: 0
    .wavefront_size: 32
    .workgroup_processor_mode: 1
  - .args:
      - .offset:         0
        .size:           4
        .value_kind:     by_value
      - .offset:         4
        .size:           4
        .value_kind:     by_value
      - .address_space:  global
        .offset:         8
        .size:           8
        .value_kind:     global_buffer
      - .offset:         16
        .size:           4
        .value_kind:     by_value
      - .offset:         20
        .size:           4
        .value_kind:     by_value
      - .offset:         24
        .size:           8
        .value_kind:     by_value
    .group_segment_fixed_size: 248
    .kernarg_segment_align: 8
    .kernarg_segment_size: 32
    .language:       OpenCL C
    .language_version:
      - 2
      - 0
    .max_flat_workgroup_size: 64
    .name:           _ZN9rocsolver6v33100L18trti2_kernel_smallILi15EdPKPdEEv13rocblas_fill_17rocblas_diagonal_T1_iil
    .private_segment_fixed_size: 0
    .sgpr_count:     22
    .sgpr_spill_count: 0
    .symbol:         _ZN9rocsolver6v33100L18trti2_kernel_smallILi15EdPKPdEEv13rocblas_fill_17rocblas_diagonal_T1_iil.kd
    .uniform_work_group_size: 1
    .uses_dynamic_stack: false
    .vgpr_count:     112
    .vgpr_spill_count: 0
    .wavefront_size: 32
    .workgroup_processor_mode: 1
  - .args:
      - .offset:         0
        .size:           4
        .value_kind:     by_value
      - .offset:         4
        .size:           4
        .value_kind:     by_value
      - .address_space:  global
        .offset:         8
        .size:           8
        .value_kind:     global_buffer
      - .offset:         16
        .size:           4
        .value_kind:     by_value
      - .offset:         20
        .size:           4
        .value_kind:     by_value
      - .offset:         24
        .size:           8
        .value_kind:     by_value
    .group_segment_fixed_size: 256
    .kernarg_segment_align: 8
    .kernarg_segment_size: 32
    .language:       OpenCL C
    .language_version:
      - 2
      - 0
    .max_flat_workgroup_size: 64
    .name:           _ZN9rocsolver6v33100L18trti2_kernel_smallILi16EdPKPdEEv13rocblas_fill_17rocblas_diagonal_T1_iil
    .private_segment_fixed_size: 0
    .sgpr_count:     22
    .sgpr_spill_count: 0
    .symbol:         _ZN9rocsolver6v33100L18trti2_kernel_smallILi16EdPKPdEEv13rocblas_fill_17rocblas_diagonal_T1_iil.kd
    .uniform_work_group_size: 1
    .uses_dynamic_stack: false
    .vgpr_count:     114
    .vgpr_spill_count: 0
    .wavefront_size: 32
    .workgroup_processor_mode: 1
  - .args:
      - .offset:         0
        .size:           4
        .value_kind:     by_value
      - .offset:         4
        .size:           4
        .value_kind:     by_value
      - .address_space:  global
        .offset:         8
        .size:           8
        .value_kind:     global_buffer
      - .offset:         16
        .size:           4
        .value_kind:     by_value
      - .offset:         20
        .size:           4
        .value_kind:     by_value
      - .offset:         24
        .size:           8
        .value_kind:     by_value
    .group_segment_fixed_size: 280
    .kernarg_segment_align: 8
    .kernarg_segment_size: 32
    .language:       OpenCL C
    .language_version:
      - 2
      - 0
    .max_flat_workgroup_size: 64
    .name:           _ZN9rocsolver6v33100L18trti2_kernel_smallILi17EdPKPdEEv13rocblas_fill_17rocblas_diagonal_T1_iil
    .private_segment_fixed_size: 144
    .sgpr_count:     18
    .sgpr_spill_count: 0
    .symbol:         _ZN9rocsolver6v33100L18trti2_kernel_smallILi17EdPKPdEEv13rocblas_fill_17rocblas_diagonal_T1_iil.kd
    .uniform_work_group_size: 1
    .uses_dynamic_stack: false
    .vgpr_count:     72
    .vgpr_spill_count: 0
    .wavefront_size: 32
    .workgroup_processor_mode: 1
  - .args:
      - .offset:         0
        .size:           4
        .value_kind:     by_value
      - .offset:         4
        .size:           4
        .value_kind:     by_value
      - .address_space:  global
        .offset:         8
        .size:           8
        .value_kind:     global_buffer
      - .offset:         16
        .size:           4
        .value_kind:     by_value
      - .offset:         20
        .size:           4
        .value_kind:     by_value
      - .offset:         24
        .size:           8
        .value_kind:     by_value
    .group_segment_fixed_size: 288
    .kernarg_segment_align: 8
    .kernarg_segment_size: 32
    .language:       OpenCL C
    .language_version:
      - 2
      - 0
    .max_flat_workgroup_size: 64
    .name:           _ZN9rocsolver6v33100L18trti2_kernel_smallILi18EdPKPdEEv13rocblas_fill_17rocblas_diagonal_T1_iil
    .private_segment_fixed_size: 160
    .sgpr_count:     18
    .sgpr_spill_count: 0
    .symbol:         _ZN9rocsolver6v33100L18trti2_kernel_smallILi18EdPKPdEEv13rocblas_fill_17rocblas_diagonal_T1_iil.kd
    .uniform_work_group_size: 1
    .uses_dynamic_stack: false
    .vgpr_count:     76
    .vgpr_spill_count: 0
    .wavefront_size: 32
    .workgroup_processor_mode: 1
  - .args:
      - .offset:         0
        .size:           4
        .value_kind:     by_value
      - .offset:         4
        .size:           4
        .value_kind:     by_value
      - .address_space:  global
        .offset:         8
        .size:           8
        .value_kind:     global_buffer
      - .offset:         16
        .size:           4
        .value_kind:     by_value
      - .offset:         20
        .size:           4
        .value_kind:     by_value
      - .offset:         24
        .size:           8
        .value_kind:     by_value
    .group_segment_fixed_size: 312
    .kernarg_segment_align: 8
    .kernarg_segment_size: 32
    .language:       OpenCL C
    .language_version:
      - 2
      - 0
    .max_flat_workgroup_size: 64
    .name:           _ZN9rocsolver6v33100L18trti2_kernel_smallILi19EdPKPdEEv13rocblas_fill_17rocblas_diagonal_T1_iil
    .private_segment_fixed_size: 160
    .sgpr_count:     18
    .sgpr_spill_count: 0
    .symbol:         _ZN9rocsolver6v33100L18trti2_kernel_smallILi19EdPKPdEEv13rocblas_fill_17rocblas_diagonal_T1_iil.kd
    .uniform_work_group_size: 1
    .uses_dynamic_stack: false
    .vgpr_count:     80
    .vgpr_spill_count: 0
    .wavefront_size: 32
    .workgroup_processor_mode: 1
  - .args:
      - .offset:         0
        .size:           4
        .value_kind:     by_value
      - .offset:         4
        .size:           4
        .value_kind:     by_value
      - .address_space:  global
        .offset:         8
        .size:           8
        .value_kind:     global_buffer
      - .offset:         16
        .size:           4
        .value_kind:     by_value
      - .offset:         20
        .size:           4
        .value_kind:     by_value
      - .offset:         24
        .size:           8
        .value_kind:     by_value
    .group_segment_fixed_size: 320
    .kernarg_segment_align: 8
    .kernarg_segment_size: 32
    .language:       OpenCL C
    .language_version:
      - 2
      - 0
    .max_flat_workgroup_size: 64
    .name:           _ZN9rocsolver6v33100L18trti2_kernel_smallILi20EdPKPdEEv13rocblas_fill_17rocblas_diagonal_T1_iil
    .private_segment_fixed_size: 176
    .sgpr_count:     18
    .sgpr_spill_count: 0
    .symbol:         _ZN9rocsolver6v33100L18trti2_kernel_smallILi20EdPKPdEEv13rocblas_fill_17rocblas_diagonal_T1_iil.kd
    .uniform_work_group_size: 1
    .uses_dynamic_stack: false
    .vgpr_count:     84
    .vgpr_spill_count: 0
    .wavefront_size: 32
    .workgroup_processor_mode: 1
  - .args:
      - .offset:         0
        .size:           4
        .value_kind:     by_value
      - .offset:         4
        .size:           4
        .value_kind:     by_value
      - .address_space:  global
        .offset:         8
        .size:           8
        .value_kind:     global_buffer
      - .offset:         16
        .size:           4
        .value_kind:     by_value
      - .offset:         20
        .size:           4
        .value_kind:     by_value
      - .offset:         24
        .size:           8
        .value_kind:     by_value
    .group_segment_fixed_size: 344
    .kernarg_segment_align: 8
    .kernarg_segment_size: 32
    .language:       OpenCL C
    .language_version:
      - 2
      - 0
    .max_flat_workgroup_size: 64
    .name:           _ZN9rocsolver6v33100L18trti2_kernel_smallILi21EdPKPdEEv13rocblas_fill_17rocblas_diagonal_T1_iil
    .private_segment_fixed_size: 176
    .sgpr_count:     18
    .sgpr_spill_count: 0
    .symbol:         _ZN9rocsolver6v33100L18trti2_kernel_smallILi21EdPKPdEEv13rocblas_fill_17rocblas_diagonal_T1_iil.kd
    .uniform_work_group_size: 1
    .uses_dynamic_stack: false
    .vgpr_count:     88
    .vgpr_spill_count: 0
    .wavefront_size: 32
    .workgroup_processor_mode: 1
  - .args:
      - .offset:         0
        .size:           4
        .value_kind:     by_value
      - .offset:         4
        .size:           4
        .value_kind:     by_value
      - .address_space:  global
        .offset:         8
        .size:           8
        .value_kind:     global_buffer
      - .offset:         16
        .size:           4
        .value_kind:     by_value
      - .offset:         20
        .size:           4
        .value_kind:     by_value
      - .offset:         24
        .size:           8
        .value_kind:     by_value
    .group_segment_fixed_size: 352
    .kernarg_segment_align: 8
    .kernarg_segment_size: 32
    .language:       OpenCL C
    .language_version:
      - 2
      - 0
    .max_flat_workgroup_size: 64
    .name:           _ZN9rocsolver6v33100L18trti2_kernel_smallILi22EdPKPdEEv13rocblas_fill_17rocblas_diagonal_T1_iil
    .private_segment_fixed_size: 192
    .sgpr_count:     18
    .sgpr_spill_count: 0
    .symbol:         _ZN9rocsolver6v33100L18trti2_kernel_smallILi22EdPKPdEEv13rocblas_fill_17rocblas_diagonal_T1_iil.kd
    .uniform_work_group_size: 1
    .uses_dynamic_stack: false
    .vgpr_count:     92
    .vgpr_spill_count: 0
    .wavefront_size: 32
    .workgroup_processor_mode: 1
  - .args:
      - .offset:         0
        .size:           4
        .value_kind:     by_value
      - .offset:         4
        .size:           4
        .value_kind:     by_value
      - .address_space:  global
        .offset:         8
        .size:           8
        .value_kind:     global_buffer
      - .offset:         16
        .size:           4
        .value_kind:     by_value
      - .offset:         20
        .size:           4
        .value_kind:     by_value
      - .offset:         24
        .size:           8
        .value_kind:     by_value
    .group_segment_fixed_size: 376
    .kernarg_segment_align: 8
    .kernarg_segment_size: 32
    .language:       OpenCL C
    .language_version:
      - 2
      - 0
    .max_flat_workgroup_size: 64
    .name:           _ZN9rocsolver6v33100L18trti2_kernel_smallILi23EdPKPdEEv13rocblas_fill_17rocblas_diagonal_T1_iil
    .private_segment_fixed_size: 192
    .sgpr_count:     18
    .sgpr_spill_count: 0
    .symbol:         _ZN9rocsolver6v33100L18trti2_kernel_smallILi23EdPKPdEEv13rocblas_fill_17rocblas_diagonal_T1_iil.kd
    .uniform_work_group_size: 1
    .uses_dynamic_stack: false
    .vgpr_count:     93
    .vgpr_spill_count: 0
    .wavefront_size: 32
    .workgroup_processor_mode: 1
  - .args:
      - .offset:         0
        .size:           4
        .value_kind:     by_value
      - .offset:         4
        .size:           4
        .value_kind:     by_value
      - .address_space:  global
        .offset:         8
        .size:           8
        .value_kind:     global_buffer
      - .offset:         16
        .size:           4
        .value_kind:     by_value
      - .offset:         20
        .size:           4
        .value_kind:     by_value
      - .offset:         24
        .size:           8
        .value_kind:     by_value
    .group_segment_fixed_size: 384
    .kernarg_segment_align: 8
    .kernarg_segment_size: 32
    .language:       OpenCL C
    .language_version:
      - 2
      - 0
    .max_flat_workgroup_size: 64
    .name:           _ZN9rocsolver6v33100L18trti2_kernel_smallILi24EdPKPdEEv13rocblas_fill_17rocblas_diagonal_T1_iil
    .private_segment_fixed_size: 208
    .sgpr_count:     18
    .sgpr_spill_count: 0
    .symbol:         _ZN9rocsolver6v33100L18trti2_kernel_smallILi24EdPKPdEEv13rocblas_fill_17rocblas_diagonal_T1_iil.kd
    .uniform_work_group_size: 1
    .uses_dynamic_stack: false
    .vgpr_count:     93
    .vgpr_spill_count: 0
    .wavefront_size: 32
    .workgroup_processor_mode: 1
  - .args:
      - .offset:         0
        .size:           4
        .value_kind:     by_value
      - .offset:         4
        .size:           4
        .value_kind:     by_value
      - .address_space:  global
        .offset:         8
        .size:           8
        .value_kind:     global_buffer
      - .offset:         16
        .size:           4
        .value_kind:     by_value
      - .offset:         20
        .size:           4
        .value_kind:     by_value
      - .offset:         24
        .size:           8
        .value_kind:     by_value
    .group_segment_fixed_size: 408
    .kernarg_segment_align: 8
    .kernarg_segment_size: 32
    .language:       OpenCL C
    .language_version:
      - 2
      - 0
    .max_flat_workgroup_size: 64
    .name:           _ZN9rocsolver6v33100L18trti2_kernel_smallILi25EdPKPdEEv13rocblas_fill_17rocblas_diagonal_T1_iil
    .private_segment_fixed_size: 208
    .sgpr_count:     18
    .sgpr_spill_count: 0
    .symbol:         _ZN9rocsolver6v33100L18trti2_kernel_smallILi25EdPKPdEEv13rocblas_fill_17rocblas_diagonal_T1_iil.kd
    .uniform_work_group_size: 1
    .uses_dynamic_stack: false
    .vgpr_count:     95
    .vgpr_spill_count: 0
    .wavefront_size: 32
    .workgroup_processor_mode: 1
  - .args:
      - .offset:         0
        .size:           4
        .value_kind:     by_value
      - .offset:         4
        .size:           4
        .value_kind:     by_value
      - .address_space:  global
        .offset:         8
        .size:           8
        .value_kind:     global_buffer
      - .offset:         16
        .size:           4
        .value_kind:     by_value
      - .offset:         20
        .size:           4
        .value_kind:     by_value
      - .offset:         24
        .size:           8
        .value_kind:     by_value
    .group_segment_fixed_size: 416
    .kernarg_segment_align: 8
    .kernarg_segment_size: 32
    .language:       OpenCL C
    .language_version:
      - 2
      - 0
    .max_flat_workgroup_size: 64
    .name:           _ZN9rocsolver6v33100L18trti2_kernel_smallILi26EdPKPdEEv13rocblas_fill_17rocblas_diagonal_T1_iil
    .private_segment_fixed_size: 224
    .sgpr_count:     18
    .sgpr_spill_count: 0
    .symbol:         _ZN9rocsolver6v33100L18trti2_kernel_smallILi26EdPKPdEEv13rocblas_fill_17rocblas_diagonal_T1_iil.kd
    .uniform_work_group_size: 1
    .uses_dynamic_stack: false
    .vgpr_count:     94
    .vgpr_spill_count: 0
    .wavefront_size: 32
    .workgroup_processor_mode: 1
  - .args:
      - .offset:         0
        .size:           4
        .value_kind:     by_value
      - .offset:         4
        .size:           4
        .value_kind:     by_value
      - .address_space:  global
        .offset:         8
        .size:           8
        .value_kind:     global_buffer
      - .offset:         16
        .size:           4
        .value_kind:     by_value
      - .offset:         20
        .size:           4
        .value_kind:     by_value
      - .offset:         24
        .size:           8
        .value_kind:     by_value
    .group_segment_fixed_size: 440
    .kernarg_segment_align: 8
    .kernarg_segment_size: 32
    .language:       OpenCL C
    .language_version:
      - 2
      - 0
    .max_flat_workgroup_size: 64
    .name:           _ZN9rocsolver6v33100L18trti2_kernel_smallILi27EdPKPdEEv13rocblas_fill_17rocblas_diagonal_T1_iil
    .private_segment_fixed_size: 224
    .sgpr_count:     18
    .sgpr_spill_count: 0
    .symbol:         _ZN9rocsolver6v33100L18trti2_kernel_smallILi27EdPKPdEEv13rocblas_fill_17rocblas_diagonal_T1_iil.kd
    .uniform_work_group_size: 1
    .uses_dynamic_stack: false
    .vgpr_count:     99
    .vgpr_spill_count: 0
    .wavefront_size: 32
    .workgroup_processor_mode: 1
  - .args:
      - .offset:         0
        .size:           4
        .value_kind:     by_value
      - .offset:         4
        .size:           4
        .value_kind:     by_value
      - .address_space:  global
        .offset:         8
        .size:           8
        .value_kind:     global_buffer
      - .offset:         16
        .size:           4
        .value_kind:     by_value
      - .offset:         20
        .size:           4
        .value_kind:     by_value
      - .offset:         24
        .size:           8
        .value_kind:     by_value
    .group_segment_fixed_size: 448
    .kernarg_segment_align: 8
    .kernarg_segment_size: 32
    .language:       OpenCL C
    .language_version:
      - 2
      - 0
    .max_flat_workgroup_size: 64
    .name:           _ZN9rocsolver6v33100L18trti2_kernel_smallILi28EdPKPdEEv13rocblas_fill_17rocblas_diagonal_T1_iil
    .private_segment_fixed_size: 240
    .sgpr_count:     18
    .sgpr_spill_count: 0
    .symbol:         _ZN9rocsolver6v33100L18trti2_kernel_smallILi28EdPKPdEEv13rocblas_fill_17rocblas_diagonal_T1_iil.kd
    .uniform_work_group_size: 1
    .uses_dynamic_stack: false
    .vgpr_count:     98
    .vgpr_spill_count: 0
    .wavefront_size: 32
    .workgroup_processor_mode: 1
  - .args:
      - .offset:         0
        .size:           4
        .value_kind:     by_value
      - .offset:         4
        .size:           4
        .value_kind:     by_value
      - .address_space:  global
        .offset:         8
        .size:           8
        .value_kind:     global_buffer
      - .offset:         16
        .size:           4
        .value_kind:     by_value
      - .offset:         20
        .size:           4
        .value_kind:     by_value
      - .offset:         24
        .size:           8
        .value_kind:     by_value
    .group_segment_fixed_size: 472
    .kernarg_segment_align: 8
    .kernarg_segment_size: 32
    .language:       OpenCL C
    .language_version:
      - 2
      - 0
    .max_flat_workgroup_size: 64
    .name:           _ZN9rocsolver6v33100L18trti2_kernel_smallILi29EdPKPdEEv13rocblas_fill_17rocblas_diagonal_T1_iil
    .private_segment_fixed_size: 240
    .sgpr_count:     18
    .sgpr_spill_count: 0
    .symbol:         _ZN9rocsolver6v33100L18trti2_kernel_smallILi29EdPKPdEEv13rocblas_fill_17rocblas_diagonal_T1_iil.kd
    .uniform_work_group_size: 1
    .uses_dynamic_stack: false
    .vgpr_count:     103
    .vgpr_spill_count: 0
    .wavefront_size: 32
    .workgroup_processor_mode: 1
  - .args:
      - .offset:         0
        .size:           4
        .value_kind:     by_value
      - .offset:         4
        .size:           4
        .value_kind:     by_value
      - .address_space:  global
        .offset:         8
        .size:           8
        .value_kind:     global_buffer
      - .offset:         16
        .size:           4
        .value_kind:     by_value
      - .offset:         20
        .size:           4
        .value_kind:     by_value
      - .offset:         24
        .size:           8
        .value_kind:     by_value
    .group_segment_fixed_size: 480
    .kernarg_segment_align: 8
    .kernarg_segment_size: 32
    .language:       OpenCL C
    .language_version:
      - 2
      - 0
    .max_flat_workgroup_size: 64
    .name:           _ZN9rocsolver6v33100L18trti2_kernel_smallILi30EdPKPdEEv13rocblas_fill_17rocblas_diagonal_T1_iil
    .private_segment_fixed_size: 256
    .sgpr_count:     18
    .sgpr_spill_count: 0
    .symbol:         _ZN9rocsolver6v33100L18trti2_kernel_smallILi30EdPKPdEEv13rocblas_fill_17rocblas_diagonal_T1_iil.kd
    .uniform_work_group_size: 1
    .uses_dynamic_stack: false
    .vgpr_count:     96
    .vgpr_spill_count: 0
    .wavefront_size: 32
    .workgroup_processor_mode: 1
  - .args:
      - .offset:         0
        .size:           4
        .value_kind:     by_value
      - .offset:         4
        .size:           4
        .value_kind:     by_value
      - .address_space:  global
        .offset:         8
        .size:           8
        .value_kind:     global_buffer
      - .offset:         16
        .size:           4
        .value_kind:     by_value
      - .offset:         20
        .size:           4
        .value_kind:     by_value
      - .offset:         24
        .size:           8
        .value_kind:     by_value
    .group_segment_fixed_size: 504
    .kernarg_segment_align: 8
    .kernarg_segment_size: 32
    .language:       OpenCL C
    .language_version:
      - 2
      - 0
    .max_flat_workgroup_size: 64
    .name:           _ZN9rocsolver6v33100L18trti2_kernel_smallILi31EdPKPdEEv13rocblas_fill_17rocblas_diagonal_T1_iil
    .private_segment_fixed_size: 256
    .sgpr_count:     18
    .sgpr_spill_count: 0
    .symbol:         _ZN9rocsolver6v33100L18trti2_kernel_smallILi31EdPKPdEEv13rocblas_fill_17rocblas_diagonal_T1_iil.kd
    .uniform_work_group_size: 1
    .uses_dynamic_stack: false
    .vgpr_count:     100
    .vgpr_spill_count: 0
    .wavefront_size: 32
    .workgroup_processor_mode: 1
  - .args:
      - .offset:         0
        .size:           4
        .value_kind:     by_value
      - .offset:         4
        .size:           4
        .value_kind:     by_value
      - .address_space:  global
        .offset:         8
        .size:           8
        .value_kind:     global_buffer
      - .offset:         16
        .size:           4
        .value_kind:     by_value
      - .offset:         20
        .size:           4
        .value_kind:     by_value
      - .offset:         24
        .size:           8
        .value_kind:     by_value
    .group_segment_fixed_size: 512
    .kernarg_segment_align: 8
    .kernarg_segment_size: 32
    .language:       OpenCL C
    .language_version:
      - 2
      - 0
    .max_flat_workgroup_size: 64
    .name:           _ZN9rocsolver6v33100L18trti2_kernel_smallILi32EdPKPdEEv13rocblas_fill_17rocblas_diagonal_T1_iil
    .private_segment_fixed_size: 272
    .sgpr_count:     18
    .sgpr_spill_count: 0
    .symbol:         _ZN9rocsolver6v33100L18trti2_kernel_smallILi32EdPKPdEEv13rocblas_fill_17rocblas_diagonal_T1_iil.kd
    .uniform_work_group_size: 1
    .uses_dynamic_stack: false
    .vgpr_count:     102
    .vgpr_spill_count: 0
    .wavefront_size: 32
    .workgroup_processor_mode: 1
  - .args:
      - .offset:         0
        .size:           4
        .value_kind:     by_value
      - .offset:         4
        .size:           4
        .value_kind:     by_value
      - .address_space:  global
        .offset:         8
        .size:           8
        .value_kind:     global_buffer
      - .offset:         16
        .size:           4
        .value_kind:     by_value
      - .offset:         20
        .size:           4
        .value_kind:     by_value
      - .offset:         24
        .size:           8
        .value_kind:     by_value
    .group_segment_fixed_size: 536
    .kernarg_segment_align: 8
    .kernarg_segment_size: 32
    .language:       OpenCL C
    .language_version:
      - 2
      - 0
    .max_flat_workgroup_size: 64
    .name:           _ZN9rocsolver6v33100L18trti2_kernel_smallILi33EdPKPdEEv13rocblas_fill_17rocblas_diagonal_T1_iil
    .private_segment_fixed_size: 272
    .sgpr_count:     18
    .sgpr_spill_count: 0
    .symbol:         _ZN9rocsolver6v33100L18trti2_kernel_smallILi33EdPKPdEEv13rocblas_fill_17rocblas_diagonal_T1_iil.kd
    .uniform_work_group_size: 1
    .uses_dynamic_stack: false
    .vgpr_count:     99
    .vgpr_spill_count: 0
    .wavefront_size: 32
    .workgroup_processor_mode: 1
  - .args:
      - .offset:         0
        .size:           4
        .value_kind:     by_value
      - .offset:         4
        .size:           4
        .value_kind:     by_value
      - .address_space:  global
        .offset:         8
        .size:           8
        .value_kind:     global_buffer
      - .offset:         16
        .size:           4
        .value_kind:     by_value
      - .offset:         20
        .size:           4
        .value_kind:     by_value
      - .offset:         24
        .size:           8
        .value_kind:     by_value
    .group_segment_fixed_size: 544
    .kernarg_segment_align: 8
    .kernarg_segment_size: 32
    .language:       OpenCL C
    .language_version:
      - 2
      - 0
    .max_flat_workgroup_size: 64
    .name:           _ZN9rocsolver6v33100L18trti2_kernel_smallILi34EdPKPdEEv13rocblas_fill_17rocblas_diagonal_T1_iil
    .private_segment_fixed_size: 288
    .sgpr_count:     18
    .sgpr_spill_count: 0
    .symbol:         _ZN9rocsolver6v33100L18trti2_kernel_smallILi34EdPKPdEEv13rocblas_fill_17rocblas_diagonal_T1_iil.kd
    .uniform_work_group_size: 1
    .uses_dynamic_stack: false
    .vgpr_count:     98
    .vgpr_spill_count: 0
    .wavefront_size: 32
    .workgroup_processor_mode: 1
  - .args:
      - .offset:         0
        .size:           4
        .value_kind:     by_value
      - .offset:         4
        .size:           4
        .value_kind:     by_value
      - .address_space:  global
        .offset:         8
        .size:           8
        .value_kind:     global_buffer
      - .offset:         16
        .size:           4
        .value_kind:     by_value
      - .offset:         20
        .size:           4
        .value_kind:     by_value
      - .offset:         24
        .size:           8
        .value_kind:     by_value
    .group_segment_fixed_size: 568
    .kernarg_segment_align: 8
    .kernarg_segment_size: 32
    .language:       OpenCL C
    .language_version:
      - 2
      - 0
    .max_flat_workgroup_size: 64
    .name:           _ZN9rocsolver6v33100L18trti2_kernel_smallILi35EdPKPdEEv13rocblas_fill_17rocblas_diagonal_T1_iil
    .private_segment_fixed_size: 288
    .sgpr_count:     18
    .sgpr_spill_count: 0
    .symbol:         _ZN9rocsolver6v33100L18trti2_kernel_smallILi35EdPKPdEEv13rocblas_fill_17rocblas_diagonal_T1_iil.kd
    .uniform_work_group_size: 1
    .uses_dynamic_stack: false
    .vgpr_count:     120
    .vgpr_spill_count: 0
    .wavefront_size: 32
    .workgroup_processor_mode: 1
  - .args:
      - .offset:         0
        .size:           4
        .value_kind:     by_value
      - .offset:         4
        .size:           4
        .value_kind:     by_value
      - .address_space:  global
        .offset:         8
        .size:           8
        .value_kind:     global_buffer
      - .offset:         16
        .size:           4
        .value_kind:     by_value
      - .offset:         20
        .size:           4
        .value_kind:     by_value
      - .offset:         24
        .size:           8
        .value_kind:     by_value
    .group_segment_fixed_size: 576
    .kernarg_segment_align: 8
    .kernarg_segment_size: 32
    .language:       OpenCL C
    .language_version:
      - 2
      - 0
    .max_flat_workgroup_size: 64
    .name:           _ZN9rocsolver6v33100L18trti2_kernel_smallILi36EdPKPdEEv13rocblas_fill_17rocblas_diagonal_T1_iil
    .private_segment_fixed_size: 304
    .sgpr_count:     18
    .sgpr_spill_count: 0
    .symbol:         _ZN9rocsolver6v33100L18trti2_kernel_smallILi36EdPKPdEEv13rocblas_fill_17rocblas_diagonal_T1_iil.kd
    .uniform_work_group_size: 1
    .uses_dynamic_stack: false
    .vgpr_count:     122
    .vgpr_spill_count: 0
    .wavefront_size: 32
    .workgroup_processor_mode: 1
  - .args:
      - .offset:         0
        .size:           4
        .value_kind:     by_value
      - .offset:         4
        .size:           4
        .value_kind:     by_value
      - .address_space:  global
        .offset:         8
        .size:           8
        .value_kind:     global_buffer
      - .offset:         16
        .size:           4
        .value_kind:     by_value
      - .offset:         20
        .size:           4
        .value_kind:     by_value
      - .offset:         24
        .size:           8
        .value_kind:     by_value
    .group_segment_fixed_size: 600
    .kernarg_segment_align: 8
    .kernarg_segment_size: 32
    .language:       OpenCL C
    .language_version:
      - 2
      - 0
    .max_flat_workgroup_size: 64
    .name:           _ZN9rocsolver6v33100L18trti2_kernel_smallILi37EdPKPdEEv13rocblas_fill_17rocblas_diagonal_T1_iil
    .private_segment_fixed_size: 304
    .sgpr_count:     18
    .sgpr_spill_count: 0
    .symbol:         _ZN9rocsolver6v33100L18trti2_kernel_smallILi37EdPKPdEEv13rocblas_fill_17rocblas_diagonal_T1_iil.kd
    .uniform_work_group_size: 1
    .uses_dynamic_stack: false
    .vgpr_count:     123
    .vgpr_spill_count: 0
    .wavefront_size: 32
    .workgroup_processor_mode: 1
  - .args:
      - .offset:         0
        .size:           4
        .value_kind:     by_value
      - .offset:         4
        .size:           4
        .value_kind:     by_value
      - .address_space:  global
        .offset:         8
        .size:           8
        .value_kind:     global_buffer
      - .offset:         16
        .size:           4
        .value_kind:     by_value
      - .offset:         20
        .size:           4
        .value_kind:     by_value
      - .offset:         24
        .size:           8
        .value_kind:     by_value
    .group_segment_fixed_size: 608
    .kernarg_segment_align: 8
    .kernarg_segment_size: 32
    .language:       OpenCL C
    .language_version:
      - 2
      - 0
    .max_flat_workgroup_size: 64
    .name:           _ZN9rocsolver6v33100L18trti2_kernel_smallILi38EdPKPdEEv13rocblas_fill_17rocblas_diagonal_T1_iil
    .private_segment_fixed_size: 320
    .sgpr_count:     18
    .sgpr_spill_count: 0
    .symbol:         _ZN9rocsolver6v33100L18trti2_kernel_smallILi38EdPKPdEEv13rocblas_fill_17rocblas_diagonal_T1_iil.kd
    .uniform_work_group_size: 1
    .uses_dynamic_stack: false
    .vgpr_count:     122
    .vgpr_spill_count: 0
    .wavefront_size: 32
    .workgroup_processor_mode: 1
  - .args:
      - .offset:         0
        .size:           4
        .value_kind:     by_value
      - .offset:         4
        .size:           4
        .value_kind:     by_value
      - .address_space:  global
        .offset:         8
        .size:           8
        .value_kind:     global_buffer
      - .offset:         16
        .size:           4
        .value_kind:     by_value
      - .offset:         20
        .size:           4
        .value_kind:     by_value
      - .offset:         24
        .size:           8
        .value_kind:     by_value
    .group_segment_fixed_size: 632
    .kernarg_segment_align: 8
    .kernarg_segment_size: 32
    .language:       OpenCL C
    .language_version:
      - 2
      - 0
    .max_flat_workgroup_size: 64
    .name:           _ZN9rocsolver6v33100L18trti2_kernel_smallILi39EdPKPdEEv13rocblas_fill_17rocblas_diagonal_T1_iil
    .private_segment_fixed_size: 320
    .sgpr_count:     19
    .sgpr_spill_count: 0
    .symbol:         _ZN9rocsolver6v33100L18trti2_kernel_smallILi39EdPKPdEEv13rocblas_fill_17rocblas_diagonal_T1_iil.kd
    .uniform_work_group_size: 1
    .uses_dynamic_stack: false
    .vgpr_count:     127
    .vgpr_spill_count: 0
    .wavefront_size: 32
    .workgroup_processor_mode: 1
  - .args:
      - .offset:         0
        .size:           4
        .value_kind:     by_value
      - .offset:         4
        .size:           4
        .value_kind:     by_value
      - .address_space:  global
        .offset:         8
        .size:           8
        .value_kind:     global_buffer
      - .offset:         16
        .size:           4
        .value_kind:     by_value
      - .offset:         20
        .size:           4
        .value_kind:     by_value
      - .offset:         24
        .size:           8
        .value_kind:     by_value
    .group_segment_fixed_size: 640
    .kernarg_segment_align: 8
    .kernarg_segment_size: 32
    .language:       OpenCL C
    .language_version:
      - 2
      - 0
    .max_flat_workgroup_size: 64
    .name:           _ZN9rocsolver6v33100L18trti2_kernel_smallILi40EdPKPdEEv13rocblas_fill_17rocblas_diagonal_T1_iil
    .private_segment_fixed_size: 336
    .sgpr_count:     19
    .sgpr_spill_count: 0
    .symbol:         _ZN9rocsolver6v33100L18trti2_kernel_smallILi40EdPKPdEEv13rocblas_fill_17rocblas_diagonal_T1_iil.kd
    .uniform_work_group_size: 1
    .uses_dynamic_stack: false
    .vgpr_count:     126
    .vgpr_spill_count: 0
    .wavefront_size: 32
    .workgroup_processor_mode: 1
  - .args:
      - .offset:         0
        .size:           4
        .value_kind:     by_value
      - .offset:         4
        .size:           4
        .value_kind:     by_value
      - .address_space:  global
        .offset:         8
        .size:           8
        .value_kind:     global_buffer
      - .offset:         16
        .size:           4
        .value_kind:     by_value
      - .offset:         20
        .size:           4
        .value_kind:     by_value
      - .offset:         24
        .size:           8
        .value_kind:     by_value
    .group_segment_fixed_size: 664
    .kernarg_segment_align: 8
    .kernarg_segment_size: 32
    .language:       OpenCL C
    .language_version:
      - 2
      - 0
    .max_flat_workgroup_size: 64
    .name:           _ZN9rocsolver6v33100L18trti2_kernel_smallILi41EdPKPdEEv13rocblas_fill_17rocblas_diagonal_T1_iil
    .private_segment_fixed_size: 336
    .sgpr_count:     20
    .sgpr_spill_count: 0
    .symbol:         _ZN9rocsolver6v33100L18trti2_kernel_smallILi41EdPKPdEEv13rocblas_fill_17rocblas_diagonal_T1_iil.kd
    .uniform_work_group_size: 1
    .uses_dynamic_stack: false
    .vgpr_count:     123
    .vgpr_spill_count: 0
    .wavefront_size: 32
    .workgroup_processor_mode: 1
  - .args:
      - .offset:         0
        .size:           4
        .value_kind:     by_value
      - .offset:         4
        .size:           4
        .value_kind:     by_value
      - .address_space:  global
        .offset:         8
        .size:           8
        .value_kind:     global_buffer
      - .offset:         16
        .size:           4
        .value_kind:     by_value
      - .offset:         20
        .size:           4
        .value_kind:     by_value
      - .offset:         24
        .size:           8
        .value_kind:     by_value
    .group_segment_fixed_size: 672
    .kernarg_segment_align: 8
    .kernarg_segment_size: 32
    .language:       OpenCL C
    .language_version:
      - 2
      - 0
    .max_flat_workgroup_size: 64
    .name:           _ZN9rocsolver6v33100L18trti2_kernel_smallILi42EdPKPdEEv13rocblas_fill_17rocblas_diagonal_T1_iil
    .private_segment_fixed_size: 352
    .sgpr_count:     20
    .sgpr_spill_count: 0
    .symbol:         _ZN9rocsolver6v33100L18trti2_kernel_smallILi42EdPKPdEEv13rocblas_fill_17rocblas_diagonal_T1_iil.kd
    .uniform_work_group_size: 1
    .uses_dynamic_stack: false
    .vgpr_count:     130
    .vgpr_spill_count: 0
    .wavefront_size: 32
    .workgroup_processor_mode: 1
  - .args:
      - .offset:         0
        .size:           4
        .value_kind:     by_value
      - .offset:         4
        .size:           4
        .value_kind:     by_value
      - .address_space:  global
        .offset:         8
        .size:           8
        .value_kind:     global_buffer
      - .offset:         16
        .size:           4
        .value_kind:     by_value
      - .offset:         20
        .size:           4
        .value_kind:     by_value
      - .offset:         24
        .size:           8
        .value_kind:     by_value
    .group_segment_fixed_size: 696
    .kernarg_segment_align: 8
    .kernarg_segment_size: 32
    .language:       OpenCL C
    .language_version:
      - 2
      - 0
    .max_flat_workgroup_size: 64
    .name:           _ZN9rocsolver6v33100L18trti2_kernel_smallILi43EdPKPdEEv13rocblas_fill_17rocblas_diagonal_T1_iil
    .private_segment_fixed_size: 352
    .sgpr_count:     21
    .sgpr_spill_count: 0
    .symbol:         _ZN9rocsolver6v33100L18trti2_kernel_smallILi43EdPKPdEEv13rocblas_fill_17rocblas_diagonal_T1_iil.kd
    .uniform_work_group_size: 1
    .uses_dynamic_stack: false
    .vgpr_count:     132
    .vgpr_spill_count: 0
    .wavefront_size: 32
    .workgroup_processor_mode: 1
  - .args:
      - .offset:         0
        .size:           4
        .value_kind:     by_value
      - .offset:         4
        .size:           4
        .value_kind:     by_value
      - .address_space:  global
        .offset:         8
        .size:           8
        .value_kind:     global_buffer
      - .offset:         16
        .size:           4
        .value_kind:     by_value
      - .offset:         20
        .size:           4
        .value_kind:     by_value
      - .offset:         24
        .size:           8
        .value_kind:     by_value
    .group_segment_fixed_size: 704
    .kernarg_segment_align: 8
    .kernarg_segment_size: 32
    .language:       OpenCL C
    .language_version:
      - 2
      - 0
    .max_flat_workgroup_size: 64
    .name:           _ZN9rocsolver6v33100L18trti2_kernel_smallILi44EdPKPdEEv13rocblas_fill_17rocblas_diagonal_T1_iil
    .private_segment_fixed_size: 368
    .sgpr_count:     21
    .sgpr_spill_count: 0
    .symbol:         _ZN9rocsolver6v33100L18trti2_kernel_smallILi44EdPKPdEEv13rocblas_fill_17rocblas_diagonal_T1_iil.kd
    .uniform_work_group_size: 1
    .uses_dynamic_stack: false
    .vgpr_count:     146
    .vgpr_spill_count: 0
    .wavefront_size: 32
    .workgroup_processor_mode: 1
  - .args:
      - .offset:         0
        .size:           4
        .value_kind:     by_value
      - .offset:         4
        .size:           4
        .value_kind:     by_value
      - .address_space:  global
        .offset:         8
        .size:           8
        .value_kind:     global_buffer
      - .offset:         16
        .size:           4
        .value_kind:     by_value
      - .offset:         20
        .size:           4
        .value_kind:     by_value
      - .offset:         24
        .size:           8
        .value_kind:     by_value
    .group_segment_fixed_size: 728
    .kernarg_segment_align: 8
    .kernarg_segment_size: 32
    .language:       OpenCL C
    .language_version:
      - 2
      - 0
    .max_flat_workgroup_size: 64
    .name:           _ZN9rocsolver6v33100L18trti2_kernel_smallILi45EdPKPdEEv13rocblas_fill_17rocblas_diagonal_T1_iil
    .private_segment_fixed_size: 368
    .sgpr_count:     22
    .sgpr_spill_count: 0
    .symbol:         _ZN9rocsolver6v33100L18trti2_kernel_smallILi45EdPKPdEEv13rocblas_fill_17rocblas_diagonal_T1_iil.kd
    .uniform_work_group_size: 1
    .uses_dynamic_stack: false
    .vgpr_count:     147
    .vgpr_spill_count: 0
    .wavefront_size: 32
    .workgroup_processor_mode: 1
  - .args:
      - .offset:         0
        .size:           4
        .value_kind:     by_value
      - .offset:         4
        .size:           4
        .value_kind:     by_value
      - .address_space:  global
        .offset:         8
        .size:           8
        .value_kind:     global_buffer
      - .offset:         16
        .size:           4
        .value_kind:     by_value
      - .offset:         20
        .size:           4
        .value_kind:     by_value
      - .offset:         24
        .size:           8
        .value_kind:     by_value
    .group_segment_fixed_size: 736
    .kernarg_segment_align: 8
    .kernarg_segment_size: 32
    .language:       OpenCL C
    .language_version:
      - 2
      - 0
    .max_flat_workgroup_size: 64
    .name:           _ZN9rocsolver6v33100L18trti2_kernel_smallILi46EdPKPdEEv13rocblas_fill_17rocblas_diagonal_T1_iil
    .private_segment_fixed_size: 384
    .sgpr_count:     22
    .sgpr_spill_count: 0
    .symbol:         _ZN9rocsolver6v33100L18trti2_kernel_smallILi46EdPKPdEEv13rocblas_fill_17rocblas_diagonal_T1_iil.kd
    .uniform_work_group_size: 1
    .uses_dynamic_stack: false
    .vgpr_count:     146
    .vgpr_spill_count: 0
    .wavefront_size: 32
    .workgroup_processor_mode: 1
  - .args:
      - .offset:         0
        .size:           4
        .value_kind:     by_value
      - .offset:         4
        .size:           4
        .value_kind:     by_value
      - .address_space:  global
        .offset:         8
        .size:           8
        .value_kind:     global_buffer
      - .offset:         16
        .size:           4
        .value_kind:     by_value
      - .offset:         20
        .size:           4
        .value_kind:     by_value
      - .offset:         24
        .size:           8
        .value_kind:     by_value
    .group_segment_fixed_size: 760
    .kernarg_segment_align: 8
    .kernarg_segment_size: 32
    .language:       OpenCL C
    .language_version:
      - 2
      - 0
    .max_flat_workgroup_size: 64
    .name:           _ZN9rocsolver6v33100L18trti2_kernel_smallILi47EdPKPdEEv13rocblas_fill_17rocblas_diagonal_T1_iil
    .private_segment_fixed_size: 384
    .sgpr_count:     23
    .sgpr_spill_count: 0
    .symbol:         _ZN9rocsolver6v33100L18trti2_kernel_smallILi47EdPKPdEEv13rocblas_fill_17rocblas_diagonal_T1_iil.kd
    .uniform_work_group_size: 1
    .uses_dynamic_stack: false
    .vgpr_count:     148
    .vgpr_spill_count: 0
    .wavefront_size: 32
    .workgroup_processor_mode: 1
  - .args:
      - .offset:         0
        .size:           4
        .value_kind:     by_value
      - .offset:         4
        .size:           4
        .value_kind:     by_value
      - .address_space:  global
        .offset:         8
        .size:           8
        .value_kind:     global_buffer
      - .offset:         16
        .size:           4
        .value_kind:     by_value
      - .offset:         20
        .size:           4
        .value_kind:     by_value
      - .offset:         24
        .size:           8
        .value_kind:     by_value
    .group_segment_fixed_size: 768
    .kernarg_segment_align: 8
    .kernarg_segment_size: 32
    .language:       OpenCL C
    .language_version:
      - 2
      - 0
    .max_flat_workgroup_size: 64
    .name:           _ZN9rocsolver6v33100L18trti2_kernel_smallILi48EdPKPdEEv13rocblas_fill_17rocblas_diagonal_T1_iil
    .private_segment_fixed_size: 400
    .sgpr_count:     23
    .sgpr_spill_count: 0
    .symbol:         _ZN9rocsolver6v33100L18trti2_kernel_smallILi48EdPKPdEEv13rocblas_fill_17rocblas_diagonal_T1_iil.kd
    .uniform_work_group_size: 1
    .uses_dynamic_stack: false
    .vgpr_count:     150
    .vgpr_spill_count: 0
    .wavefront_size: 32
    .workgroup_processor_mode: 1
  - .args:
      - .offset:         0
        .size:           4
        .value_kind:     by_value
      - .offset:         4
        .size:           4
        .value_kind:     by_value
      - .address_space:  global
        .offset:         8
        .size:           8
        .value_kind:     global_buffer
      - .offset:         16
        .size:           4
        .value_kind:     by_value
      - .offset:         20
        .size:           4
        .value_kind:     by_value
      - .offset:         24
        .size:           8
        .value_kind:     by_value
    .group_segment_fixed_size: 792
    .kernarg_segment_align: 8
    .kernarg_segment_size: 32
    .language:       OpenCL C
    .language_version:
      - 2
      - 0
    .max_flat_workgroup_size: 64
    .name:           _ZN9rocsolver6v33100L18trti2_kernel_smallILi49EdPKPdEEv13rocblas_fill_17rocblas_diagonal_T1_iil
    .private_segment_fixed_size: 400
    .sgpr_count:     24
    .sgpr_spill_count: 0
    .symbol:         _ZN9rocsolver6v33100L18trti2_kernel_smallILi49EdPKPdEEv13rocblas_fill_17rocblas_diagonal_T1_iil.kd
    .uniform_work_group_size: 1
    .uses_dynamic_stack: false
    .vgpr_count:     147
    .vgpr_spill_count: 0
    .wavefront_size: 32
    .workgroup_processor_mode: 1
  - .args:
      - .offset:         0
        .size:           4
        .value_kind:     by_value
      - .offset:         4
        .size:           4
        .value_kind:     by_value
      - .address_space:  global
        .offset:         8
        .size:           8
        .value_kind:     global_buffer
      - .offset:         16
        .size:           4
        .value_kind:     by_value
      - .offset:         20
        .size:           4
        .value_kind:     by_value
      - .offset:         24
        .size:           8
        .value_kind:     by_value
    .group_segment_fixed_size: 800
    .kernarg_segment_align: 8
    .kernarg_segment_size: 32
    .language:       OpenCL C
    .language_version:
      - 2
      - 0
    .max_flat_workgroup_size: 64
    .name:           _ZN9rocsolver6v33100L18trti2_kernel_smallILi50EdPKPdEEv13rocblas_fill_17rocblas_diagonal_T1_iil
    .private_segment_fixed_size: 416
    .sgpr_count:     24
    .sgpr_spill_count: 0
    .symbol:         _ZN9rocsolver6v33100L18trti2_kernel_smallILi50EdPKPdEEv13rocblas_fill_17rocblas_diagonal_T1_iil.kd
    .uniform_work_group_size: 1
    .uses_dynamic_stack: false
    .vgpr_count:     146
    .vgpr_spill_count: 0
    .wavefront_size: 32
    .workgroup_processor_mode: 1
  - .args:
      - .offset:         0
        .size:           4
        .value_kind:     by_value
      - .offset:         4
        .size:           4
        .value_kind:     by_value
      - .address_space:  global
        .offset:         8
        .size:           8
        .value_kind:     global_buffer
      - .offset:         16
        .size:           4
        .value_kind:     by_value
      - .offset:         20
        .size:           4
        .value_kind:     by_value
      - .offset:         24
        .size:           8
        .value_kind:     by_value
    .group_segment_fixed_size: 824
    .kernarg_segment_align: 8
    .kernarg_segment_size: 32
    .language:       OpenCL C
    .language_version:
      - 2
      - 0
    .max_flat_workgroup_size: 64
    .name:           _ZN9rocsolver6v33100L18trti2_kernel_smallILi51EdPKPdEEv13rocblas_fill_17rocblas_diagonal_T1_iil
    .private_segment_fixed_size: 416
    .sgpr_count:     25
    .sgpr_spill_count: 0
    .symbol:         _ZN9rocsolver6v33100L18trti2_kernel_smallILi51EdPKPdEEv13rocblas_fill_17rocblas_diagonal_T1_iil.kd
    .uniform_work_group_size: 1
    .uses_dynamic_stack: false
    .vgpr_count:     152
    .vgpr_spill_count: 0
    .wavefront_size: 32
    .workgroup_processor_mode: 1
  - .args:
      - .offset:         0
        .size:           4
        .value_kind:     by_value
      - .offset:         4
        .size:           4
        .value_kind:     by_value
      - .address_space:  global
        .offset:         8
        .size:           8
        .value_kind:     global_buffer
      - .offset:         16
        .size:           4
        .value_kind:     by_value
      - .offset:         20
        .size:           4
        .value_kind:     by_value
      - .offset:         24
        .size:           8
        .value_kind:     by_value
    .group_segment_fixed_size: 832
    .kernarg_segment_align: 8
    .kernarg_segment_size: 32
    .language:       OpenCL C
    .language_version:
      - 2
      - 0
    .max_flat_workgroup_size: 64
    .name:           _ZN9rocsolver6v33100L18trti2_kernel_smallILi52EdPKPdEEv13rocblas_fill_17rocblas_diagonal_T1_iil
    .private_segment_fixed_size: 432
    .sgpr_count:     25
    .sgpr_spill_count: 0
    .symbol:         _ZN9rocsolver6v33100L18trti2_kernel_smallILi52EdPKPdEEv13rocblas_fill_17rocblas_diagonal_T1_iil.kd
    .uniform_work_group_size: 1
    .uses_dynamic_stack: false
    .vgpr_count:     150
    .vgpr_spill_count: 0
    .wavefront_size: 32
    .workgroup_processor_mode: 1
  - .args:
      - .offset:         0
        .size:           4
        .value_kind:     by_value
      - .offset:         4
        .size:           4
        .value_kind:     by_value
      - .address_space:  global
        .offset:         8
        .size:           8
        .value_kind:     global_buffer
      - .offset:         16
        .size:           4
        .value_kind:     by_value
      - .offset:         20
        .size:           4
        .value_kind:     by_value
      - .offset:         24
        .size:           8
        .value_kind:     by_value
    .group_segment_fixed_size: 856
    .kernarg_segment_align: 8
    .kernarg_segment_size: 32
    .language:       OpenCL C
    .language_version:
      - 2
      - 0
    .max_flat_workgroup_size: 64
    .name:           _ZN9rocsolver6v33100L18trti2_kernel_smallILi53EdPKPdEEv13rocblas_fill_17rocblas_diagonal_T1_iil
    .private_segment_fixed_size: 432
    .sgpr_count:     26
    .sgpr_spill_count: 0
    .symbol:         _ZN9rocsolver6v33100L18trti2_kernel_smallILi53EdPKPdEEv13rocblas_fill_17rocblas_diagonal_T1_iil.kd
    .uniform_work_group_size: 1
    .uses_dynamic_stack: false
    .vgpr_count:     153
    .vgpr_spill_count: 0
    .wavefront_size: 32
    .workgroup_processor_mode: 1
  - .args:
      - .offset:         0
        .size:           4
        .value_kind:     by_value
      - .offset:         4
        .size:           4
        .value_kind:     by_value
      - .address_space:  global
        .offset:         8
        .size:           8
        .value_kind:     global_buffer
      - .offset:         16
        .size:           4
        .value_kind:     by_value
      - .offset:         20
        .size:           4
        .value_kind:     by_value
      - .offset:         24
        .size:           8
        .value_kind:     by_value
    .group_segment_fixed_size: 864
    .kernarg_segment_align: 8
    .kernarg_segment_size: 32
    .language:       OpenCL C
    .language_version:
      - 2
      - 0
    .max_flat_workgroup_size: 64
    .name:           _ZN9rocsolver6v33100L18trti2_kernel_smallILi54EdPKPdEEv13rocblas_fill_17rocblas_diagonal_T1_iil
    .private_segment_fixed_size: 448
    .sgpr_count:     26
    .sgpr_spill_count: 0
    .symbol:         _ZN9rocsolver6v33100L18trti2_kernel_smallILi54EdPKPdEEv13rocblas_fill_17rocblas_diagonal_T1_iil.kd
    .uniform_work_group_size: 1
    .uses_dynamic_stack: false
    .vgpr_count:     177
    .vgpr_spill_count: 0
    .wavefront_size: 32
    .workgroup_processor_mode: 1
  - .args:
      - .offset:         0
        .size:           4
        .value_kind:     by_value
      - .offset:         4
        .size:           4
        .value_kind:     by_value
      - .address_space:  global
        .offset:         8
        .size:           8
        .value_kind:     global_buffer
      - .offset:         16
        .size:           4
        .value_kind:     by_value
      - .offset:         20
        .size:           4
        .value_kind:     by_value
      - .offset:         24
        .size:           8
        .value_kind:     by_value
    .group_segment_fixed_size: 888
    .kernarg_segment_align: 8
    .kernarg_segment_size: 32
    .language:       OpenCL C
    .language_version:
      - 2
      - 0
    .max_flat_workgroup_size: 64
    .name:           _ZN9rocsolver6v33100L18trti2_kernel_smallILi55EdPKPdEEv13rocblas_fill_17rocblas_diagonal_T1_iil
    .private_segment_fixed_size: 448
    .sgpr_count:     27
    .sgpr_spill_count: 0
    .symbol:         _ZN9rocsolver6v33100L18trti2_kernel_smallILi55EdPKPdEEv13rocblas_fill_17rocblas_diagonal_T1_iil.kd
    .uniform_work_group_size: 1
    .uses_dynamic_stack: false
    .vgpr_count:     172
    .vgpr_spill_count: 0
    .wavefront_size: 32
    .workgroup_processor_mode: 1
  - .args:
      - .offset:         0
        .size:           4
        .value_kind:     by_value
      - .offset:         4
        .size:           4
        .value_kind:     by_value
      - .address_space:  global
        .offset:         8
        .size:           8
        .value_kind:     global_buffer
      - .offset:         16
        .size:           4
        .value_kind:     by_value
      - .offset:         20
        .size:           4
        .value_kind:     by_value
      - .offset:         24
        .size:           8
        .value_kind:     by_value
    .group_segment_fixed_size: 896
    .kernarg_segment_align: 8
    .kernarg_segment_size: 32
    .language:       OpenCL C
    .language_version:
      - 2
      - 0
    .max_flat_workgroup_size: 64
    .name:           _ZN9rocsolver6v33100L18trti2_kernel_smallILi56EdPKPdEEv13rocblas_fill_17rocblas_diagonal_T1_iil
    .private_segment_fixed_size: 464
    .sgpr_count:     27
    .sgpr_spill_count: 0
    .symbol:         _ZN9rocsolver6v33100L18trti2_kernel_smallILi56EdPKPdEEv13rocblas_fill_17rocblas_diagonal_T1_iil.kd
    .uniform_work_group_size: 1
    .uses_dynamic_stack: false
    .vgpr_count:     174
    .vgpr_spill_count: 0
    .wavefront_size: 32
    .workgroup_processor_mode: 1
  - .args:
      - .offset:         0
        .size:           4
        .value_kind:     by_value
      - .offset:         4
        .size:           4
        .value_kind:     by_value
      - .address_space:  global
        .offset:         8
        .size:           8
        .value_kind:     global_buffer
      - .offset:         16
        .size:           4
        .value_kind:     by_value
      - .offset:         20
        .size:           4
        .value_kind:     by_value
      - .offset:         24
        .size:           8
        .value_kind:     by_value
    .group_segment_fixed_size: 920
    .kernarg_segment_align: 8
    .kernarg_segment_size: 32
    .language:       OpenCL C
    .language_version:
      - 2
      - 0
    .max_flat_workgroup_size: 64
    .name:           _ZN9rocsolver6v33100L18trti2_kernel_smallILi57EdPKPdEEv13rocblas_fill_17rocblas_diagonal_T1_iil
    .private_segment_fixed_size: 464
    .sgpr_count:     28
    .sgpr_spill_count: 0
    .symbol:         _ZN9rocsolver6v33100L18trti2_kernel_smallILi57EdPKPdEEv13rocblas_fill_17rocblas_diagonal_T1_iil.kd
    .uniform_work_group_size: 1
    .uses_dynamic_stack: false
    .vgpr_count:     171
    .vgpr_spill_count: 0
    .wavefront_size: 32
    .workgroup_processor_mode: 1
  - .args:
      - .offset:         0
        .size:           4
        .value_kind:     by_value
      - .offset:         4
        .size:           4
        .value_kind:     by_value
      - .address_space:  global
        .offset:         8
        .size:           8
        .value_kind:     global_buffer
      - .offset:         16
        .size:           4
        .value_kind:     by_value
      - .offset:         20
        .size:           4
        .value_kind:     by_value
      - .offset:         24
        .size:           8
        .value_kind:     by_value
    .group_segment_fixed_size: 928
    .kernarg_segment_align: 8
    .kernarg_segment_size: 32
    .language:       OpenCL C
    .language_version:
      - 2
      - 0
    .max_flat_workgroup_size: 64
    .name:           _ZN9rocsolver6v33100L18trti2_kernel_smallILi58EdPKPdEEv13rocblas_fill_17rocblas_diagonal_T1_iil
    .private_segment_fixed_size: 480
    .sgpr_count:     28
    .sgpr_spill_count: 0
    .symbol:         _ZN9rocsolver6v33100L18trti2_kernel_smallILi58EdPKPdEEv13rocblas_fill_17rocblas_diagonal_T1_iil.kd
    .uniform_work_group_size: 1
    .uses_dynamic_stack: false
    .vgpr_count:     170
    .vgpr_spill_count: 0
    .wavefront_size: 32
    .workgroup_processor_mode: 1
  - .args:
      - .offset:         0
        .size:           4
        .value_kind:     by_value
      - .offset:         4
        .size:           4
        .value_kind:     by_value
      - .address_space:  global
        .offset:         8
        .size:           8
        .value_kind:     global_buffer
      - .offset:         16
        .size:           4
        .value_kind:     by_value
      - .offset:         20
        .size:           4
        .value_kind:     by_value
      - .offset:         24
        .size:           8
        .value_kind:     by_value
    .group_segment_fixed_size: 952
    .kernarg_segment_align: 8
    .kernarg_segment_size: 32
    .language:       OpenCL C
    .language_version:
      - 2
      - 0
    .max_flat_workgroup_size: 64
    .name:           _ZN9rocsolver6v33100L18trti2_kernel_smallILi59EdPKPdEEv13rocblas_fill_17rocblas_diagonal_T1_iil
    .private_segment_fixed_size: 480
    .sgpr_count:     29
    .sgpr_spill_count: 0
    .symbol:         _ZN9rocsolver6v33100L18trti2_kernel_smallILi59EdPKPdEEv13rocblas_fill_17rocblas_diagonal_T1_iil.kd
    .uniform_work_group_size: 1
    .uses_dynamic_stack: false
    .vgpr_count:     175
    .vgpr_spill_count: 0
    .wavefront_size: 32
    .workgroup_processor_mode: 1
  - .args:
      - .offset:         0
        .size:           4
        .value_kind:     by_value
      - .offset:         4
        .size:           4
        .value_kind:     by_value
      - .address_space:  global
        .offset:         8
        .size:           8
        .value_kind:     global_buffer
      - .offset:         16
        .size:           4
        .value_kind:     by_value
      - .offset:         20
        .size:           4
        .value_kind:     by_value
      - .offset:         24
        .size:           8
        .value_kind:     by_value
    .group_segment_fixed_size: 960
    .kernarg_segment_align: 8
    .kernarg_segment_size: 32
    .language:       OpenCL C
    .language_version:
      - 2
      - 0
    .max_flat_workgroup_size: 64
    .name:           _ZN9rocsolver6v33100L18trti2_kernel_smallILi60EdPKPdEEv13rocblas_fill_17rocblas_diagonal_T1_iil
    .private_segment_fixed_size: 496
    .sgpr_count:     29
    .sgpr_spill_count: 0
    .symbol:         _ZN9rocsolver6v33100L18trti2_kernel_smallILi60EdPKPdEEv13rocblas_fill_17rocblas_diagonal_T1_iil.kd
    .uniform_work_group_size: 1
    .uses_dynamic_stack: false
    .vgpr_count:     177
    .vgpr_spill_count: 0
    .wavefront_size: 32
    .workgroup_processor_mode: 1
  - .args:
      - .offset:         0
        .size:           4
        .value_kind:     by_value
      - .offset:         4
        .size:           4
        .value_kind:     by_value
      - .address_space:  global
        .offset:         8
        .size:           8
        .value_kind:     global_buffer
      - .offset:         16
        .size:           4
        .value_kind:     by_value
      - .offset:         20
        .size:           4
        .value_kind:     by_value
      - .offset:         24
        .size:           8
        .value_kind:     by_value
    .group_segment_fixed_size: 984
    .kernarg_segment_align: 8
    .kernarg_segment_size: 32
    .language:       OpenCL C
    .language_version:
      - 2
      - 0
    .max_flat_workgroup_size: 64
    .name:           _ZN9rocsolver6v33100L18trti2_kernel_smallILi61EdPKPdEEv13rocblas_fill_17rocblas_diagonal_T1_iil
    .private_segment_fixed_size: 496
    .sgpr_count:     30
    .sgpr_spill_count: 0
    .symbol:         _ZN9rocsolver6v33100L18trti2_kernel_smallILi61EdPKPdEEv13rocblas_fill_17rocblas_diagonal_T1_iil.kd
    .uniform_work_group_size: 1
    .uses_dynamic_stack: false
    .vgpr_count:     173
    .vgpr_spill_count: 0
    .wavefront_size: 32
    .workgroup_processor_mode: 1
  - .args:
      - .offset:         0
        .size:           4
        .value_kind:     by_value
      - .offset:         4
        .size:           4
        .value_kind:     by_value
      - .address_space:  global
        .offset:         8
        .size:           8
        .value_kind:     global_buffer
      - .offset:         16
        .size:           4
        .value_kind:     by_value
      - .offset:         20
        .size:           4
        .value_kind:     by_value
      - .offset:         24
        .size:           8
        .value_kind:     by_value
    .group_segment_fixed_size: 992
    .kernarg_segment_align: 8
    .kernarg_segment_size: 32
    .language:       OpenCL C
    .language_version:
      - 2
      - 0
    .max_flat_workgroup_size: 64
    .name:           _ZN9rocsolver6v33100L18trti2_kernel_smallILi62EdPKPdEEv13rocblas_fill_17rocblas_diagonal_T1_iil
    .private_segment_fixed_size: 512
    .sgpr_count:     30
    .sgpr_spill_count: 0
    .symbol:         _ZN9rocsolver6v33100L18trti2_kernel_smallILi62EdPKPdEEv13rocblas_fill_17rocblas_diagonal_T1_iil.kd
    .uniform_work_group_size: 1
    .uses_dynamic_stack: false
    .vgpr_count:     178
    .vgpr_spill_count: 0
    .wavefront_size: 32
    .workgroup_processor_mode: 1
  - .args:
      - .offset:         0
        .size:           4
        .value_kind:     by_value
      - .offset:         4
        .size:           4
        .value_kind:     by_value
      - .address_space:  global
        .offset:         8
        .size:           8
        .value_kind:     global_buffer
      - .offset:         16
        .size:           4
        .value_kind:     by_value
      - .offset:         20
        .size:           4
        .value_kind:     by_value
      - .offset:         24
        .size:           8
        .value_kind:     by_value
    .group_segment_fixed_size: 1016
    .kernarg_segment_align: 8
    .kernarg_segment_size: 32
    .language:       OpenCL C
    .language_version:
      - 2
      - 0
    .max_flat_workgroup_size: 64
    .name:           _ZN9rocsolver6v33100L18trti2_kernel_smallILi63EdPKPdEEv13rocblas_fill_17rocblas_diagonal_T1_iil
    .private_segment_fixed_size: 512
    .sgpr_count:     31
    .sgpr_spill_count: 0
    .symbol:         _ZN9rocsolver6v33100L18trti2_kernel_smallILi63EdPKPdEEv13rocblas_fill_17rocblas_diagonal_T1_iil.kd
    .uniform_work_group_size: 1
    .uses_dynamic_stack: false
    .vgpr_count:     180
    .vgpr_spill_count: 0
    .wavefront_size: 32
    .workgroup_processor_mode: 1
  - .args:
      - .offset:         0
        .size:           4
        .value_kind:     by_value
      - .offset:         4
        .size:           4
        .value_kind:     by_value
      - .address_space:  global
        .offset:         8
        .size:           8
        .value_kind:     global_buffer
      - .offset:         16
        .size:           4
        .value_kind:     by_value
      - .offset:         20
        .size:           4
        .value_kind:     by_value
      - .offset:         24
        .size:           8
        .value_kind:     by_value
    .group_segment_fixed_size: 1024
    .kernarg_segment_align: 8
    .kernarg_segment_size: 32
    .language:       OpenCL C
    .language_version:
      - 2
      - 0
    .max_flat_workgroup_size: 64
    .name:           _ZN9rocsolver6v33100L18trti2_kernel_smallILi64EdPKPdEEv13rocblas_fill_17rocblas_diagonal_T1_iil
    .private_segment_fixed_size: 528
    .sgpr_count:     31
    .sgpr_spill_count: 0
    .symbol:         _ZN9rocsolver6v33100L18trti2_kernel_smallILi64EdPKPdEEv13rocblas_fill_17rocblas_diagonal_T1_iil.kd
    .uniform_work_group_size: 1
    .uses_dynamic_stack: false
    .vgpr_count:     197
    .vgpr_spill_count: 0
    .wavefront_size: 32
    .workgroup_processor_mode: 1
amdhsa.target:   amdgcn-amd-amdhsa--gfx1100
amdhsa.version:
  - 1
  - 2
...

	.end_amdgpu_metadata
